;; amdgpu-corpus repo=ggml-org/llama.cpp kind=compiled arch=gfx1201 opt=O3
	.amdgcn_target "amdgcn-amd-amdhsa--gfx1201"
	.amdhsa_code_object_version 6
	.section	.text._ZL18flash_attn_ext_f16ILi64ELi64ELi32ELi2ELb0ELb0EEvPKcS1_S1_S1_S1_PKiPfP15HIP_vector_typeIfLj2EEffffjfiS5_IjLj3EEiiiiiiiiiiiliiliiiiil,"axG",@progbits,_ZL18flash_attn_ext_f16ILi64ELi64ELi32ELi2ELb0ELb0EEvPKcS1_S1_S1_S1_PKiPfP15HIP_vector_typeIfLj2EEffffjfiS5_IjLj3EEiiiiiiiiiiiliiliiiiil,comdat
	.globl	_ZL18flash_attn_ext_f16ILi64ELi64ELi32ELi2ELb0ELb0EEvPKcS1_S1_S1_S1_PKiPfP15HIP_vector_typeIfLj2EEffffjfiS5_IjLj3EEiiiiiiiiiiiliiliiiiil ; -- Begin function _ZL18flash_attn_ext_f16ILi64ELi64ELi32ELi2ELb0ELb0EEvPKcS1_S1_S1_S1_PKiPfP15HIP_vector_typeIfLj2EEffffjfiS5_IjLj3EEiiiiiiiiiiiliiliiiiil
	.p2align	8
	.type	_ZL18flash_attn_ext_f16ILi64ELi64ELi32ELi2ELb0ELb0EEvPKcS1_S1_S1_S1_PKiPfP15HIP_vector_typeIfLj2EEffffjfiS5_IjLj3EEiiiiiiiiiiiliiliiiiil,@function
_ZL18flash_attn_ext_f16ILi64ELi64ELi32ELi2ELb0ELb0EEvPKcS1_S1_S1_S1_PKiPfP15HIP_vector_typeIfLj2EEffffjfiS5_IjLj3EEiiiiiiiiiiiliiliiiiil: ; @_ZL18flash_attn_ext_f16ILi64ELi64ELi32ELi2ELb0ELb0EEvPKcS1_S1_S1_S1_PKiPfP15HIP_vector_typeIfLj2EEffffjfiS5_IjLj3EEiiiiiiiiiiiliiliiiiil
; %bb.0:
	s_mov_b64 s[10:11], s[0:1]
	s_clause 0x1
	s_load_b64 s[0:1], s[0:1], 0x80
	s_load_b128 s[24:27], s[10:11], 0x64
	s_mov_b32 s22, ttmp9
	s_mov_b32 s23, 0
                                        ; implicit-def: $vgpr255 : SGPR spill to VGPR lane
	s_mov_b64 s[58:59], s[10:11]
	s_wait_kmcnt 0x0
	s_abs_i32 s2, s1
	s_abs_i32 s5, s25
	s_cvt_f32_u32 s3, s2
	s_sub_co_i32 s4, 0, s2
	s_delay_alu instid0(SALU_CYCLE_2) | instskip(NEXT) | instid1(TRANS32_DEP_1)
	v_rcp_iflag_f32_e32 v1, s3
	v_readfirstlane_b32 s3, v1
	s_mul_f32 s3, s3, 0x4f7ffffe
	s_wait_alu 0xfffe
	s_delay_alu instid0(SALU_CYCLE_2) | instskip(SKIP_1) | instid1(SALU_CYCLE_2)
	s_cvt_u32_f32 s3, s3
	s_wait_alu 0xfffe
	s_mul_i32 s4, s4, s3
	s_delay_alu instid0(SALU_CYCLE_1) | instskip(NEXT) | instid1(SALU_CYCLE_1)
	s_mul_hi_u32 s4, s3, s4
	s_add_co_i32 s3, s3, s4
	s_xor_b32 s4, s25, s1
	s_wait_alu 0xfffe
	s_mul_hi_u32 s3, s5, s3
	s_ashr_i32 s4, s4, 31
	s_wait_alu 0xfffe
	s_mul_i32 s6, s3, s2
	s_delay_alu instid0(SALU_CYCLE_1)
	s_sub_co_i32 s5, s5, s6
	s_add_co_i32 s6, s3, 1
	s_sub_co_i32 s7, s5, s2
	s_cmp_ge_u32 s5, s2
	s_cselect_b32 s3, s6, s3
	s_cselect_b32 s5, s7, s5
	s_wait_alu 0xfffe
	s_add_co_i32 s6, s3, 1
	s_cmp_ge_u32 s5, s2
	s_cselect_b32 s2, s6, s3
	s_add_co_i32 s0, s0, 63
	s_wait_alu 0xfffe
	s_xor_b32 s2, s2, s4
	s_add_co_i32 s3, s24, 31
	s_ashr_i32 s5, s0, 31
	s_wait_alu 0xfffe
	s_sub_co_i32 s94, s2, s4
	s_lshr_b32 s6, s3, 5
	s_lshr_b32 s2, s5, 26
	s_add_co_i32 s3, s94, 1
	s_wait_alu 0xfffe
	s_add_co_i32 s0, s0, s2
	s_lshr_b32 s2, s3, 31
	s_ashr_i32 s99, s0, 6
	s_wait_alu 0xfffe
	s_add_co_i32 s3, s3, s2
	s_mul_i32 s96, s6, s99
	s_wait_alu 0xfffe
	s_ashr_i32 s0, s3, 1
	v_writelane_b32 v255, s6, 0
	s_mul_i32 s97, s96, s0
	s_mov_b32 s0, s23
	s_mul_i32 s98, s97, s1
	s_delay_alu instid0(SALU_CYCLE_1)
	s_mul_i32 s2, s98, s26
	s_wait_alu 0xfffe
	s_ashr_i32 s3, s2, 31
	s_wait_alu 0xfffe
	s_mul_u64 s[8:9], s[2:3], s[22:23]
	s_load_b32 s22, s[10:11], 0xd0
	s_mov_b32 s1, s9
	s_delay_alu instid0(SALU_CYCLE_1)
	s_cmp_lg_u64 s[0:1], 0
	s_wait_kmcnt 0x0
	s_add_nc_u64 s[4:5], s[22:23], 0
	s_cbranch_scc0 .LBB0_423
; %bb.1:
	s_xor_b64 s[10:11], s[4:5], 0
	s_mov_b32 s13, s23
	s_cvt_f32_u32 s0, s10
	s_cvt_f32_u32 s1, s11
	s_sub_nc_u64 s[6:7], 0, s[10:11]
	s_mov_b32 s17, s23
	s_delay_alu instid0(SALU_CYCLE_1) | instskip(NEXT) | instid1(SALU_CYCLE_3)
	s_fmamk_f32 s0, s1, 0x4f800000, s0
	v_s_rcp_f32 s0, s0
	s_delay_alu instid0(TRANS32_DEP_1) | instskip(SKIP_1) | instid1(SALU_CYCLE_2)
	s_mul_f32 s0, s0, 0x5f7ffffc
	s_wait_alu 0xfffe
	s_mul_f32 s1, s0, 0x2f800000
	s_wait_alu 0xfffe
	s_delay_alu instid0(SALU_CYCLE_2) | instskip(SKIP_1) | instid1(SALU_CYCLE_2)
	s_trunc_f32 s1, s1
	s_wait_alu 0xfffe
	s_fmamk_f32 s0, s1, 0xcf800000, s0
	s_cvt_u32_f32 s1, s1
	s_wait_alu 0xfffe
	s_delay_alu instid0(SALU_CYCLE_1) | instskip(SKIP_1) | instid1(SALU_CYCLE_2)
	s_cvt_u32_f32 s0, s0
	s_wait_alu 0xfffe
	s_mul_u64 s[14:15], s[6:7], s[0:1]
	s_delay_alu instid0(SALU_CYCLE_1)
	s_mul_hi_u32 s19, s0, s15
	s_mul_i32 s18, s0, s15
	s_mul_hi_u32 s12, s0, s14
	s_mul_i32 s20, s1, s14
	s_add_nc_u64 s[12:13], s[12:13], s[18:19]
	s_mul_hi_u32 s16, s1, s14
	s_mul_hi_u32 s21, s1, s15
	s_add_co_u32 s12, s12, s20
	s_add_co_ci_u32 s16, s13, s16
	s_mul_i32 s14, s1, s15
	s_add_co_ci_u32 s15, s21, 0
	s_delay_alu instid0(SALU_CYCLE_1) | instskip(SKIP_3) | instid1(SALU_CYCLE_1)
	s_add_nc_u64 s[12:13], s[16:17], s[14:15]
	s_mov_b32 s15, s23
	s_add_co_u32 s0, s0, s12
	s_cselect_b32 s12, -1, 0
	s_cmp_lg_u32 s12, 0
	s_add_co_ci_u32 s1, s1, s13
	s_mov_b32 s13, s23
	s_wait_alu 0xfffe
	s_mul_u64 s[6:7], s[6:7], s[0:1]
	s_wait_alu 0xfffe
	s_mul_hi_u32 s17, s0, s7
	s_mul_i32 s16, s0, s7
	s_mul_hi_u32 s12, s0, s6
	s_mul_i32 s18, s1, s6
	s_add_nc_u64 s[12:13], s[12:13], s[16:17]
	s_mul_hi_u32 s14, s1, s6
	s_mul_hi_u32 s19, s1, s7
	s_mul_i32 s6, s1, s7
	s_add_co_u32 s7, s12, s18
	s_add_co_ci_u32 s14, s13, s14
	s_add_co_ci_u32 s7, s19, 0
	s_mov_b32 s13, s23
	s_wait_alu 0xfffe
	s_add_nc_u64 s[6:7], s[14:15], s[6:7]
	s_wait_alu 0xfffe
	s_add_co_u32 s14, s0, s6
	s_cselect_b32 s0, -1, 0
	s_wait_alu 0xfffe
	s_cmp_lg_u32 s0, 0
	s_add_co_ci_u32 s18, s1, s7
	s_ashr_i32 s0, s9, 31
	s_wait_alu 0xfffe
	s_mov_b32 s1, s0
	s_wait_alu 0xfffe
	s_add_nc_u64 s[6:7], s[8:9], s[0:1]
	s_wait_alu 0xfffe
	s_xor_b64 s[6:7], s[6:7], s[0:1]
	s_wait_alu 0xfffe
	s_mul_hi_u32 s17, s6, s18
	s_mul_i32 s16, s6, s18
	s_mul_hi_u32 s12, s6, s14
	s_mul_hi_u32 s19, s7, s14
	s_mul_i32 s14, s7, s14
	s_add_nc_u64 s[12:13], s[12:13], s[16:17]
	s_mul_hi_u32 s9, s7, s18
	s_add_co_u32 s12, s12, s14
	s_add_co_ci_u32 s14, s13, s19
	s_mul_i32 s16, s7, s18
	s_add_co_ci_u32 s17, s9, 0
	s_delay_alu instid0(SALU_CYCLE_1) | instskip(NEXT) | instid1(SALU_CYCLE_1)
	s_add_nc_u64 s[12:13], s[14:15], s[16:17]
	s_mul_u64 s[14:15], s[10:11], s[12:13]
	s_delay_alu instid0(SALU_CYCLE_1)
	s_sub_co_u32 s6, s6, s14
	s_cselect_b32 s9, -1, 0
	s_sub_co_i32 s14, s7, s15
	s_cmp_lg_u32 s9, 0
	s_sub_co_ci_u32 s14, s14, s11
	s_wait_alu 0xfffe
	s_sub_co_u32 s16, s6, s10
	s_cselect_b32 s17, -1, 0
	s_delay_alu instid0(SALU_CYCLE_1) | instskip(SKIP_1) | instid1(SALU_CYCLE_1)
	s_cmp_lg_u32 s17, 0
	s_sub_co_ci_u32 s14, s14, 0
	s_cmp_ge_u32 s14, s11
	s_cselect_b32 s18, -1, 0
	s_cmp_ge_u32 s16, s10
	s_add_nc_u64 s[16:17], s[12:13], 1
	s_cselect_b32 s19, -1, 0
	s_cmp_eq_u32 s14, s11
	s_cselect_b32 s14, s19, s18
	s_add_nc_u64 s[18:19], s[12:13], 2
	s_cmp_lg_u32 s14, 0
	s_cselect_b32 s14, s18, s16
	s_cselect_b32 s16, s19, s17
	s_cmp_lg_u32 s9, 0
	s_sub_co_ci_u32 s7, s7, s15
	s_wait_alu 0xfffe
	s_cmp_ge_u32 s7, s11
	s_cselect_b32 s9, -1, 0
	s_cmp_ge_u32 s6, s10
	s_cselect_b32 s6, -1, 0
	s_cmp_eq_u32 s7, s11
	s_wait_alu 0xfffe
	s_cselect_b32 s6, s6, s9
	s_wait_alu 0xfffe
	s_cmp_lg_u32 s6, 0
	s_cselect_b32 s7, s16, s13
	s_cselect_b32 s6, s14, s12
	s_xor_b64 s[0:1], s[0:1], 0
	s_wait_alu 0xfffe
	s_xor_b64 s[6:7], s[6:7], s[0:1]
	s_wait_alu 0xfffe
	s_sub_nc_u64 s[48:49], s[6:7], s[0:1]
	s_load_b64 s[46:47], s[58:59], 0x74
	v_cvt_f32_u32_e32 v1, s22
	s_and_not1_b32 vcc_lo, exec_lo, s23
	s_cbranch_vccnz .LBB0_3
.LBB0_2:
	s_delay_alu instid0(VALU_DEP_1) | instskip(SKIP_1) | instid1(TRANS32_DEP_1)
	v_rcp_iflag_f32_e32 v2, v1
	s_sub_co_i32 s1, 0, s22
	v_mul_f32_e32 v2, 0x4f7ffffe, v2
	s_delay_alu instid0(VALU_DEP_1) | instskip(NEXT) | instid1(VALU_DEP_1)
	v_cvt_u32_f32_e32 v2, v2
	v_readfirstlane_b32 s0, v2
	s_wait_alu 0xfffe
	s_mul_i32 s1, s1, s0
	s_wait_alu 0xfffe
	s_mul_hi_u32 s1, s0, s1
	s_wait_alu 0xfffe
	s_add_co_i32 s0, s0, s1
	s_wait_alu 0xfffe
	s_mul_hi_u32 s0, s8, s0
	s_wait_alu 0xfffe
	s_mul_i32 s1, s0, s22
	s_add_co_i32 s6, s0, 1
	s_wait_alu 0xfffe
	s_sub_co_i32 s1, s8, s1
	s_wait_alu 0xfffe
	s_sub_co_i32 s7, s1, s22
	s_cmp_ge_u32 s1, s22
	s_cselect_b32 s0, s6, s0
	s_wait_alu 0xfffe
	s_cselect_b32 s1, s7, s1
	s_add_co_i32 s6, s0, 1
	s_wait_alu 0xfffe
	s_cmp_ge_u32 s1, s22
	s_cselect_b32 s48, s6, s0
.LBB0_3:
	s_add_co_i32 s8, ttmp9, 1
	s_mov_b32 s9, 0
	s_delay_alu instid0(SALU_CYCLE_1)
	s_mul_u64 s[2:3], s[2:3], s[8:9]
	s_mov_b32 s0, s9
	s_wait_alu 0xfffe
	s_mov_b32 s1, s3
	s_wait_alu 0xfffe
	s_cmp_lg_u64 s[0:1], 0
	s_cbranch_scc0 .LBB0_424
; %bb.4:
	s_xor_b64 s[4:5], s[4:5], 0
	s_delay_alu instid0(SALU_CYCLE_1) | instskip(SKIP_3) | instid1(SALU_CYCLE_1)
	s_cvt_f32_u32 s0, s4
	s_cvt_f32_u32 s1, s5
	s_sub_nc_u64 s[6:7], 0, s[4:5]
	s_wait_alu 0xfffe
	s_fmamk_f32 s0, s1, 0x4f800000, s0
	s_wait_alu 0xfffe
	s_delay_alu instid0(SALU_CYCLE_2) | instskip(NEXT) | instid1(TRANS32_DEP_1)
	v_s_rcp_f32 s0, s0
	s_mul_f32 s0, s0, 0x5f7ffffc
	s_wait_alu 0xfffe
	s_delay_alu instid0(SALU_CYCLE_2) | instskip(SKIP_1) | instid1(SALU_CYCLE_2)
	s_mul_f32 s1, s0, 0x2f800000
	s_wait_alu 0xfffe
	s_trunc_f32 s1, s1
	s_wait_alu 0xfffe
	s_delay_alu instid0(SALU_CYCLE_2) | instskip(SKIP_2) | instid1(SALU_CYCLE_1)
	s_fmamk_f32 s0, s1, 0xcf800000, s0
	s_cvt_u32_f32 s1, s1
	s_wait_alu 0xfffe
	s_cvt_u32_f32 s0, s0
	s_wait_alu 0xfffe
	s_delay_alu instid0(SALU_CYCLE_2) | instskip(NEXT) | instid1(SALU_CYCLE_1)
	s_mul_u64 s[10:11], s[6:7], s[0:1]
	s_mul_hi_u32 s13, s0, s11
	s_mul_i32 s12, s0, s11
	s_mul_hi_u32 s8, s0, s10
	s_mul_i32 s15, s1, s10
	s_add_nc_u64 s[12:13], s[8:9], s[12:13]
	s_mul_hi_u32 s14, s1, s10
	s_mul_hi_u32 s16, s1, s11
	s_add_co_u32 s8, s12, s15
	s_add_co_ci_u32 s8, s13, s14
	s_mul_i32 s10, s1, s11
	s_add_co_ci_u32 s11, s16, 0
	s_delay_alu instid0(SALU_CYCLE_1) | instskip(NEXT) | instid1(SALU_CYCLE_1)
	s_add_nc_u64 s[10:11], s[8:9], s[10:11]
	s_add_co_u32 s0, s0, s10
	s_cselect_b32 s8, -1, 0
	s_delay_alu instid0(SALU_CYCLE_1)
	s_cmp_lg_u32 s8, 0
	s_add_co_ci_u32 s1, s1, s11
	s_wait_alu 0xfffe
	s_mul_u64 s[6:7], s[6:7], s[0:1]
	s_wait_alu 0xfffe
	s_mul_hi_u32 s11, s0, s7
	s_mul_i32 s10, s0, s7
	s_mul_hi_u32 s8, s0, s6
	s_mul_i32 s13, s1, s6
	s_add_nc_u64 s[10:11], s[8:9], s[10:11]
	s_mul_hi_u32 s12, s1, s6
	s_mul_hi_u32 s14, s1, s7
	s_mul_i32 s6, s1, s7
	s_add_co_u32 s7, s10, s13
	s_add_co_ci_u32 s8, s11, s12
	s_add_co_ci_u32 s7, s14, 0
	s_wait_alu 0xfffe
	s_add_nc_u64 s[6:7], s[8:9], s[6:7]
	s_wait_alu 0xfffe
	s_add_co_u32 s12, s0, s6
	s_cselect_b32 s0, -1, 0
	s_wait_alu 0xfffe
	s_cmp_lg_u32 s0, 0
	s_add_co_ci_u32 s13, s1, s7
	s_ashr_i32 s0, s3, 31
	s_wait_alu 0xfffe
	s_mov_b32 s1, s0
	s_wait_alu 0xfffe
	s_add_nc_u64 s[6:7], s[2:3], s[0:1]
	s_wait_alu 0xfffe
	s_xor_b64 s[6:7], s[6:7], s[0:1]
	s_wait_alu 0xfffe
	s_mul_hi_u32 s11, s6, s13
	s_mul_i32 s10, s6, s13
	s_mul_hi_u32 s8, s6, s12
	s_mul_i32 s15, s7, s12
	s_add_nc_u64 s[10:11], s[8:9], s[10:11]
	s_mul_hi_u32 s14, s7, s12
	s_mul_hi_u32 s3, s7, s13
	s_add_co_u32 s8, s10, s15
	s_add_co_ci_u32 s8, s11, s14
	s_mul_i32 s12, s7, s13
	s_wait_alu 0xfffe
	s_add_co_ci_u32 s13, s3, 0
	s_delay_alu instid0(SALU_CYCLE_1) | instskip(NEXT) | instid1(SALU_CYCLE_1)
	s_add_nc_u64 s[10:11], s[8:9], s[12:13]
	s_mul_u64 s[12:13], s[4:5], s[10:11]
	s_delay_alu instid0(SALU_CYCLE_1)
	s_sub_co_u32 s3, s6, s12
	s_cselect_b32 s6, -1, 0
	s_sub_co_i32 s8, s7, s13
	s_wait_alu 0xfffe
	s_cmp_lg_u32 s6, 0
	s_sub_co_ci_u32 s8, s8, s5
	s_sub_co_u32 s12, s3, s4
	s_cselect_b32 s14, -1, 0
	s_delay_alu instid0(SALU_CYCLE_1) | instskip(SKIP_2) | instid1(SALU_CYCLE_1)
	s_cmp_lg_u32 s14, 0
	s_add_nc_u64 s[14:15], s[10:11], 1
	s_sub_co_ci_u32 s8, s8, 0
	s_cmp_ge_u32 s8, s5
	s_cselect_b32 s16, -1, 0
	s_cmp_ge_u32 s12, s4
	s_cselect_b32 s12, -1, 0
	s_cmp_eq_u32 s8, s5
	s_cselect_b32 s8, s12, s16
	s_add_nc_u64 s[16:17], s[10:11], 2
	s_cmp_lg_u32 s8, 0
	s_cselect_b32 s8, s16, s14
	s_cselect_b32 s12, s17, s15
	s_cmp_lg_u32 s6, 0
	s_sub_co_ci_u32 s6, s7, s13
	s_wait_alu 0xfffe
	s_cmp_ge_u32 s6, s5
	s_cselect_b32 s7, -1, 0
	s_cmp_ge_u32 s3, s4
	s_cselect_b32 s3, -1, 0
	s_cmp_eq_u32 s6, s5
	s_wait_alu 0xfffe
	s_cselect_b32 s3, s3, s7
	s_wait_alu 0xfffe
	s_cmp_lg_u32 s3, 0
	s_cselect_b32 s5, s12, s11
	s_cselect_b32 s4, s8, s10
	s_xor_b64 s[0:1], s[0:1], 0
	s_wait_alu 0xfffe
	s_xor_b64 s[4:5], s[4:5], s[0:1]
	s_delay_alu instid0(SALU_CYCLE_1)
	s_sub_nc_u64 s[54:55], s[4:5], s[0:1]
	s_load_b64 s[36:37], s[58:59], 0x5c
	s_and_not1_b32 vcc_lo, exec_lo, s9
	s_cbranch_vccnz .LBB0_6
.LBB0_5:
	v_rcp_iflag_f32_e32 v1, v1
	s_sub_co_i32 s1, 0, s22
	s_delay_alu instid0(TRANS32_DEP_1) | instskip(NEXT) | instid1(VALU_DEP_1)
	v_mul_f32_e32 v1, 0x4f7ffffe, v1
	v_cvt_u32_f32_e32 v1, v1
	s_delay_alu instid0(VALU_DEP_1)
	v_readfirstlane_b32 s0, v1
	s_wait_alu 0xfffe
	s_mul_i32 s1, s1, s0
	s_wait_alu 0xfffe
	s_mul_hi_u32 s1, s0, s1
	s_wait_alu 0xfffe
	s_add_co_i32 s0, s0, s1
	s_wait_alu 0xfffe
	s_mul_hi_u32 s0, s2, s0
	s_wait_alu 0xfffe
	s_mul_i32 s1, s0, s22
	s_wait_alu 0xfffe
	s_sub_co_i32 s1, s2, s1
	s_add_co_i32 s2, s0, 1
	s_wait_alu 0xfffe
	s_sub_co_i32 s3, s1, s22
	s_cmp_ge_u32 s1, s22
	s_cselect_b32 s0, s2, s0
	s_wait_alu 0xfffe
	s_cselect_b32 s1, s3, s1
	s_add_co_i32 s2, s0, 1
	s_wait_alu 0xfffe
	s_cmp_ge_u32 s1, s22
	s_cselect_b32 s54, s2, s0
.LBB0_6:
	v_writelane_b32 v255, s22, 1
	s_abs_i32 s49, s99
	s_ashr_i32 s7, s27, 3
	s_cvt_f32_u32 s0, s49
	s_sub_co_i32 s4, 0, s49
	v_writelane_b32 v255, s23, 2
	s_clause 0x4
	s_load_b512 s[8:23], s[58:59], 0x0
	s_load_b32 s1, s[58:59], 0x40
	s_load_b64 s[44:45], s[58:59], 0x8c
	s_load_b128 s[28:31], s[58:59], 0x98
	s_load_b64 s[2:3], s[58:59], 0xa8
	v_rcp_iflag_f32_e32 v1, s0
	s_wait_kmcnt 0x0
	s_ashr_i32 s6, s46, 3
	s_ashr_i32 s55, s99, 31
	v_bfe_u32 v85, v0, 10, 10
	v_bfe_u32 v32, v0, 10, 1
	v_and_b32_e32 v48, 0x3ff, v0
	v_lshrrev_b32_e32 v33, 10, v0
	s_mov_b32 s57, 0
	v_add_nc_u32_e32 v87, 4, v85
	v_add_nc_u32_e32 v86, 8, v85
	v_readfirstlane_b32 s0, v1
	v_add_nc_u32_e32 v84, 12, v85
	v_add_nc_u32_e32 v83, 16, v85
	;; [unrolled: 1-line block ×4, first 2 shown]
	s_mul_f32 s0, s0, 0x4f7ffffe
	s_cvt_f16_f32 s1, s1
	s_ashr_i32 s26, s44, 2
	s_ashr_i32 s34, s30, 2
	v_writelane_b32 v255, s2, 3
	s_wait_alu 0xfffe
	s_cvt_u32_f32 s0, s0
	v_add_nc_u32_e32 v80, 28, v85
	v_add_nc_u32_e32 v248, 32, v85
	;; [unrolled: 1-line block ×3, first 2 shown]
	v_writelane_b32 v255, s3, 4
	s_clause 0x1
	s_load_b64 s[40:41], s[58:59], 0xb8
	s_load_b64 s[2:3], s[58:59], 0xc8
	s_mul_i32 s4, s4, s0
	v_add_nc_u32_e32 v246, 40, v85
	s_mul_hi_u32 s4, s0, s4
	v_add_nc_u32_e32 v245, 44, v85
	s_add_co_i32 s52, s0, s4
	v_add_nc_u32_e32 v244, 48, v85
	v_add_nc_u32_e32 v243, 52, v85
	;; [unrolled: 1-line block ×4, first 2 shown]
	s_mov_b32 s53, s57
	s_wait_kmcnt 0x0
	s_ashr_i32 s38, s41, 1
	v_writelane_b32 v255, s2, 5
	v_writelane_b32 v255, s3, 6
	s_abs_i32 s3, s48
	s_ashr_i32 s2, s48, 31
	s_wait_alu 0xfffe
	s_mul_hi_u32 s0, s3, s52
	s_wait_alu 0xfffe
	s_mul_i32 s0, s0, s49
	v_writelane_b32 v255, s6, 7
	s_wait_alu 0xfffe
	s_sub_co_i32 s0, s3, s0
	s_wait_alu 0xfffe
	s_sub_co_i32 s3, s0, s49
	s_cmp_ge_u32 s0, s49
	v_writelane_b32 v255, s40, 8
	s_wait_alu 0xfffe
	s_cselect_b32 s0, s3, s0
	s_wait_alu 0xfffe
	s_sub_co_i32 s3, s0, s49
	s_cmp_ge_u32 s0, s49
	v_writelane_b32 v255, s41, 9
	s_wait_alu 0xfffe
	s_cselect_b32 s0, s3, s0
	s_sub_co_i32 s3, s54, s48
	s_wait_alu 0xfffe
	s_xor_b32 s0, s0, s2
	s_wait_alu 0xfffe
	s_sub_co_i32 s95, s0, s2
	v_writelane_b32 v255, s1, 10
	s_add_co_i32 s3, s3, s95
	s_wait_alu 0xfffe
	s_min_i32 s33, s99, s3
	s_cmp_gt_i32 s54, s48
	s_cselect_b32 s0, -1, 0
	s_cmp_le_i32 s54, s48
	s_cselect_b32 s2, -1, 0
	s_cmp_gt_i32 s99, s3
	s_cselect_b32 s3, -1, 0
	s_wait_alu 0xfffe
	s_or_b32 s2, s3, s2
	s_wait_alu 0xfffe
	s_and_b32 vcc_lo, exec_lo, s2
	s_cbranch_vccnz .LBB0_354
; %bb.7:
	v_bfe_u32 v1, v0, 3, 7
	s_cmp_eq_u64 s[16:17], 0
	v_and_b32_e32 v17, 15, v0
	s_cselect_b32 s0, -1, 0
	s_cmp_lg_u64 s[18:19], 0
	v_lshl_add_u32 v4, v85, 2, v1
	s_wait_alu 0xfffe
	v_writelane_b32 v255, s0, 11
	v_dual_mov_b32 v93, 0 :: v_dual_and_b32 v2, 0x70, v0
	v_mul_u32_u24_e32 v3, 0x90, v17
	v_mul_lo_u32 v1, s26, v4
	v_lshlrev_b32_e32 v88, 2, v48
	s_cselect_b32 s0, -1, 0
	v_lshlrev_b32_e32 v20, 4, v85
	s_wait_alu 0xfffe
	v_writelane_b32 v255, s0, 12
	s_lshl_b32 s0, s26, 4
	v_add3_u32 v89, 0, v3, v2
	v_and_b32_e32 v19, 28, v88
	s_wait_alu 0xfffe
	v_add_nc_u32_e32 v3, s0, v1
	v_and_or_b32 v8, v0, 14, v20
	v_mul_lo_u32 v7, s34, v4
	v_mul_u32_u24_e32 v18, 0x90, v4
	v_or_b32_e32 v23, 12, v48
	v_add_nc_u32_e32 v5, s0, v3
	v_lshrrev_b32_e32 v22, 1, v8
	v_lshlrev_b32_e32 v24, 2, v19
	v_bfe_u32 v12, v0, 1, 9
	s_and_b32 s100, 0xffff, s1
	v_add_nc_u32_e32 v9, s0, v5
	s_lshl_b32 s0, s34, 4
	v_mad_u32_u24 v22, 0x90, v22, 0
	v_add3_u32 v96, 0, v18, v24
	v_and_b32_e32 v18, 0x7c, v23
	s_wait_alu 0xfffe
	v_add_nc_u32_e32 v11, s0, v7
	v_and_b32_e32 v21, 56, v12
	s_movk_i32 s1, 0x240
	s_lshl_b32 s56, ttmp9, 6
	v_add_nc_u32_e32 v103, v22, v18
	v_or_b32_e32 v18, v20, v48
	v_add_nc_u32_e32 v13, s0, v11
	v_lshl_add_u32 v99, v21, 1, v22
	s_wait_alu 0xfffe
	v_mad_u32_u24 v95, 0x90, v85, s1
	s_abs_i32 s101, s98
	v_lshlrev_b32_e32 v22, 3, v18
	v_add_nc_u32_e32 v15, s0, v13
	s_lshl_b64 s[0:1], s[56:57], 3
	v_lshl_add_u32 v106, v17, 2, 0
	s_wait_alu 0xfffe
	s_add_nc_u64 s[0:1], s[22:23], s[0:1]
	v_and_b32_e32 v16, 0x1fe, v12
	s_wait_alu 0xfffe
	v_add_co_u32 v22, s0, s0, v22
	s_wait_alu 0xf1ff
	v_add_co_ci_u32_e64 v23, null, s1, 0, s0
	s_cvt_f32_u32 s0, s101
	v_mad_u32_u24 v111, 0x90, v21, v106
	v_lshl_add_u32 v129, v21, 2, 0
	v_or_b32_e32 v17, v20, v17
	v_bfe_u32 v20, v0, 10, 4
	s_wait_alu 0xfffe
	v_rcp_iflag_f32_e32 v21, s0
	s_abs_i32 s104, s40
	v_or_b32_e32 v25, 6, v16
	v_mul_u32_u24_e32 v130, 0x90, v17
	v_and_or_b32 v17, 0xf0, v83, v20
	s_cvt_f32_u32 s0, s104
	s_abs_i32 s102, s97
	v_add_nc_u32_e32 v90, 0, v88
	v_mul_u32_u24_e32 v97, 0x90, v25
	v_mad_u32_u24 v112, 0x90, v25, v106
	v_and_b32_e32 v114, 1, v0
	s_wait_alu 0xfffe
	v_rcp_iflag_f32_e32 v25, s0
	v_readfirstlane_b32 s0, v21
	v_mul_u32_u24_e32 v21, 0x90, v17
	v_and_b32_e32 v0, 7, v0
	s_cvt_f32_u32 s1, s102
	s_abs_i32 s103, s96
	v_and_or_b32 v24, 0xf0, v248, v20
	s_cvt_f32_u32 s3, s103
	v_lshlrev_b32_e32 v135, 4, v0
	v_add_nc_u32_e32 v0, v90, v21
	scratch_store_b64 off, v[22:23], off    ; 8-byte Folded Spill
	s_wait_alu 0xfffe
	v_rcp_iflag_f32_e32 v22, s1
	v_rcp_iflag_f32_e32 v23, s3
	v_and_or_b32 v20, 0xf0, v244, v20
	scratch_store_b32 off, v0, off offset:76 ; 4-byte Folded Spill
	v_ashrrev_i32_e32 v8, 31, v7
	v_mul_u32_u24_e32 v18, 0x90, v18
	v_mad_u32_u24 v17, 0x90, v17, 0
	v_ashrrev_i32_e32 v12, 31, v11
	v_ashrrev_i32_e32 v14, 31, v13
	v_lshlrev_b64_e32 v[35:36], 2, v[7:8]
	v_readfirstlane_b32 s1, v22
	v_mul_u32_u24_e32 v22, 0x90, v24
	v_readfirstlane_b32 s3, v23
	v_mul_u32_u24_e32 v23, 0x90, v20
	v_lshlrev_b64_e32 v[37:38], 2, v[11:12]
	v_lshlrev_b64_e32 v[39:40], 2, v[13:14]
	v_add_nc_u32_e32 v0, v90, v22
	v_or_b32_e32 v26, 7, v16
	v_ashrrev_i32_e32 v16, 31, v15
	v_ashrrev_i32_e32 v2, 31, v1
	;; [unrolled: 1-line block ×3, first 2 shown]
	scratch_store_b32 off, v0, off offset:84 ; 4-byte Folded Spill
	v_add_nc_u32_e32 v0, v90, v23
	v_lshlrev_b64_e32 v[41:42], 2, v[15:16]
	v_lshlrev_b64_e32 v[43:44], 2, v[1:2]
	s_mul_f32 s0, s0, 0x4f7ffffe
	v_lshlrev_b64_e32 v[45:46], 2, v[3:4]
	scratch_store_b32 off, v0, off offset:92 ; 4-byte Folded Spill
	v_add_nc_u32_e32 v0, 0, v18
	scratch_store_b32 off, v17, off offset:80 ; 4-byte Folded Spill
	v_mad_u32_u24 v17, 0x90, v24, 0
	s_wait_alu 0xfffe
	s_cvt_u32_f32 s0, s0
	s_sub_co_i32 s5, 0, s101
	scratch_store_b32 off, v0, off offset:8 ; 4-byte Folded Spill
	v_add_co_u32 v0, vcc_lo, s12, v35
	scratch_store_b32 off, v17, off offset:88 ; 4-byte Folded Spill
	v_mad_u32_u24 v17, 0x90, v20, 0
	s_ashr_i32 s30, s98, 31
	scratch_store_b32 off, v0, off offset:12 ; 4-byte Folded Spill
	v_add_co_ci_u32_e64 v0, null, s13, v36, vcc_lo
	scratch_store_b32 off, v17, off offset:96 ; 4-byte Folded Spill
	v_ashrrev_i32_e32 v6, 31, v5
	s_wait_alu 0xfffe
	s_mul_i32 s5, s5, s0
	scratch_store_b32 off, v0, off offset:16 ; 4-byte Folded Spill
	v_add_co_u32 v0, vcc_lo, s12, v37
	v_writelane_b32 v255, s30, 13
	s_mul_hi_u32 s5, s0, s5
	s_mul_f32 s1, s1, 0x4f7ffffe
	scratch_store_b32 off, v0, off offset:20 ; 4-byte Folded Spill
	s_wait_alu 0xfffd
	v_add_co_ci_u32_e64 v0, null, s13, v38, vcc_lo
	s_add_co_i32 s40, s0, s5
	s_mov_b32 s41, s57
	v_lshlrev_b64_e32 v[49:50], 2, v[5:6]
	scratch_store_b32 off, v0, off offset:24 ; 4-byte Folded Spill
	v_add_co_u32 v0, vcc_lo, s12, v39
	s_wait_alu 0xfffe
	v_writelane_b32 v255, s40, 14
	s_cvt_u32_f32 s1, s1
	v_ashrrev_i32_e32 v10, 31, v9
	scratch_store_b32 off, v0, off offset:28 ; 4-byte Folded Spill
	s_wait_alu 0xfffd
	v_add_co_ci_u32_e64 v0, null, s13, v40, vcc_lo
	s_sub_co_i32 s0, 0, s102
	v_writelane_b32 v255, s41, 15
	v_readfirstlane_b32 s4, v25
	scratch_store_b32 off, v0, off offset:32 ; 4-byte Folded Spill
	v_add_co_u32 v0, vcc_lo, s12, v41
	s_wait_alu 0xfffe
	s_mul_i32 s0, s0, s1
	s_ashr_i32 s5, s97, 31
	s_wait_alu 0xfffe
	s_mul_hi_u32 s0, s1, s0
	scratch_store_b32 off, v0, off offset:36 ; 4-byte Folded Spill
	s_wait_alu 0xfffd
	v_add_co_ci_u32_e64 v0, null, s13, v42, vcc_lo
	s_mul_f32 s3, s3, 0x4f7ffffe
	v_lshlrev_b64_e32 v[51:52], 2, v[9:10]
	v_writelane_b32 v255, s5, 16
	scratch_store_b32 off, v0, off offset:40 ; 4-byte Folded Spill
	v_add_co_u32 v0, vcc_lo, s10, v43
	s_wait_alu 0xfffe
	s_add_co_i32 s60, s1, s0
	s_mul_f32 s0, s4, 0x4f7ffffe
	s_cvt_u32_f32 s1, s3
	scratch_store_b32 off, v0, off offset:44 ; 4-byte Folded Spill
	s_wait_alu 0xfffd
	v_add_co_ci_u32_e64 v0, null, s11, v44, vcc_lo
	s_ashr_i32 s3, s96, 31
	v_mad_u32_u24 v131, 0x90, v85, 0
	s_wait_alu 0xfffe
	v_writelane_b32 v255, s3, 17
	scratch_store_b32 off, v0, off offset:48 ; 4-byte Folded Spill
	v_add_co_u32 v0, vcc_lo, s10, v45
	s_sub_co_i32 s3, 0, s103
	s_cvt_u32_f32 s0, s0
	s_wait_alu 0xfffe
	s_mul_i32 s3, s3, s1
	scratch_store_b32 off, v0, off offset:52 ; 4-byte Folded Spill
	s_wait_alu 0xfffd
	v_add_co_ci_u32_e64 v0, null, s11, v46, vcc_lo
	s_sub_co_i32 s4, 0, s104
	v_mad_co_u64_u32 v[53:54], null, v32, s6, v[48:49]
	scratch_store_b32 off, v0, off offset:56 ; 4-byte Folded Spill
	v_add_co_u32 v0, vcc_lo, s10, v49
	s_wait_alu 0xfffe
	s_mul_hi_u32 s3, s1, s3
	s_mul_i32 s4, s4, s0
	v_mad_u32_u24 v91, 0x900, v85, v89
	scratch_store_b32 off, v0, off offset:60 ; 4-byte Folded Spill
	s_wait_alu 0xfffd
	v_add_co_ci_u32_e64 v0, null, s11, v50, vcc_lo
	v_lshlrev_b32_e32 v92, 1, v48
	v_mul_u32_u24_e32 v94, 0x90, v85
	v_mul_u32_u24_e32 v98, 0x90, v26
	scratch_store_b32 off, v0, off offset:64 ; 4-byte Folded Spill
	v_add_co_u32 v0, vcc_lo, s10, v51
	v_add_nc_u32_e32 v100, 0x900, v96
	v_add_nc_u32_e32 v101, 0x1200, v96
	;; [unrolled: 1-line block ×9, first 2 shown]
	v_mad_u32_u24 v113, 0x90, v26, v106
	v_cmp_gt_u32_e64 s2, 16, v48
	v_bfe_u32 v115, v33, 1, 9
	v_lshrrev_b32_e32 v116, 1, v87
	v_lshrrev_b32_e32 v117, 1, v86
	;; [unrolled: 1-line block ×8, first 2 shown]
	v_mul_u32_u24_e32 v124, 0x90, v248
	v_lshrrev_b32_e32 v125, 1, v247
	v_lshrrev_b32_e32 v126, 1, v246
	;; [unrolled: 1-line block ×4, first 2 shown]
	v_lshlrev_b32_e32 v136, 2, v19
	v_lshrrev_b32_e32 v141, 1, v243
	v_lshrrev_b32_e32 v142, 1, v242
	v_add_nc_u32_e32 v34, 0x240, v131
	v_lshrrev_b32_e32 v145, 1, v241
	scratch_store_b32 off, v0, off offset:68 ; 4-byte Folded Spill
	s_wait_alu 0xfffd
	v_add_co_ci_u32_e64 v0, null, s11, v52, vcc_lo
	v_mbcnt_lo_u32_b32 v172, -1, 0
	s_ashr_i32 s39, s38, 31
	s_ashr_i32 s27, s26, 31
	;; [unrolled: 1-line block ×3, first 2 shown]
	s_wait_alu 0xfffe
	s_add_co_i32 s62, s1, s3
	s_mul_hi_u32 s1, s0, s4
	s_mul_i32 s100, s100, 0x10001
	s_mov_b32 s61, s57
	s_mov_b32 s63, s57
	s_wait_alu 0xfffe
	s_add_co_i32 s64, s0, s1
	s_mov_b32 s65, s57
	s_lshl_b64 s[66:67], s[38:39], 1
	s_lshl_b64 s[68:69], s[34:35], 8
	;; [unrolled: 1-line block ×3, first 2 shown]
	scratch_store_b32 off, v0, off offset:72 ; 4-byte Folded Spill
	s_branch .LBB0_9
.LBB0_8:                                ;   in Loop: Header=BB0_9 Depth=1
	s_wait_alu 0xfffe
	s_or_b32 exec_lo, exec_lo, s0
	s_add_co_i32 s3, s48, s99
	s_mov_b32 s95, 0
	s_wait_alu 0xfffe
	s_abs_i32 s56, s3
	s_delay_alu instid0(SALU_CYCLE_1)
	s_mul_u64 s[0:1], s[56:57], s[52:53]
	s_wait_alu 0xfffe
	s_mul_i32 s0, s1, s49
	s_ashr_i32 s1, s3, 31
	s_wait_alu 0xfffe
	s_sub_co_i32 s0, s56, s0
	s_wait_alu 0xfffe
	s_sub_co_i32 s4, s0, s49
	s_cmp_ge_u32 s0, s49
	s_wait_alu 0xfffe
	s_cselect_b32 s0, s4, s0
	s_wait_alu 0xfffe
	s_sub_co_i32 s4, s0, s49
	s_cmp_ge_u32 s0, s49
	s_wait_alu 0xfffe
	s_cselect_b32 s0, s4, s0
	s_wait_alu 0xfffe
	s_xor_b32 s0, s0, s1
	s_wait_alu 0xfffe
	s_sub_co_i32 s0, s1, s0
	s_wait_alu 0xfffe
	s_add_co_i32 s48, s3, s0
	s_delay_alu instid0(SALU_CYCLE_1)
	s_sub_co_i32 s1, s54, s48
	s_wait_alu 0xfffe
	s_min_i32 s33, s99, s1
	s_cmp_gt_i32 s54, s48
	s_cselect_b32 s0, -1, 0
	s_cmp_le_i32 s99, s1
	s_cselect_b32 s1, -1, 0
	s_wait_alu 0xfffe
	s_and_b32 s1, s1, s0
	s_wait_alu 0xfffe
	s_and_b32 vcc_lo, exec_lo, s1
	s_wait_alu 0xfffe
	s_cbranch_vccz .LBB0_354
.LBB0_9:                                ; =>This Loop Header: Depth=1
                                        ;     Child Loop BB0_80 Depth 2
                                        ;     Child Loop BB0_249 Depth 2
	v_readlane_b32 s0, v255, 14
	v_readlane_b32 s1, v255, 15
	s_abs_i32 s56, s48
	v_readlane_b32 s4, v255, 13
	v_readlane_b32 s6, v255, 16
	s_mul_u64 s[0:1], s[56:57], s[0:1]
	s_ashr_i32 s0, s48, 31
	s_wait_alu 0xfffe
	s_mul_i32 s3, s1, s101
	s_xor_b32 s0, s0, s4
	s_wait_alu 0xfffe
	s_sub_co_i32 s3, s56, s3
	s_add_co_i32 s4, s1, 1
	s_wait_alu 0xfffe
	s_sub_co_i32 s5, s3, s101
	s_cmp_ge_u32 s3, s101
	s_cselect_b32 s1, s4, s1
	s_wait_alu 0xfffe
	s_cselect_b32 s3, s5, s3
	s_add_co_i32 s4, s1, 1
	s_wait_alu 0xfffe
	s_cmp_ge_u32 s3, s101
	s_cselect_b32 s1, s4, s1
	s_wait_alu 0xfffe
	s_xor_b32 s1, s1, s0
	s_wait_alu 0xfffe
	s_sub_co_i32 s4, s1, s0
	s_wait_alu 0xfffe
	s_mul_i32 s0, s4, s98
	s_wait_alu 0xfffe
	s_sub_co_i32 s3, s48, s0
	s_wait_alu 0xfffe
	s_abs_i32 s56, s3
	s_delay_alu instid0(SALU_CYCLE_1)
	s_mul_u64 s[0:1], s[56:57], s[60:61]
	s_ashr_i32 s0, s3, 31
	s_wait_alu 0xfffe
	s_mul_i32 s5, s1, s102
	s_xor_b32 s0, s0, s6
	s_wait_alu 0xfffe
	s_sub_co_i32 s5, s56, s5
	s_add_co_i32 s6, s1, 1
	s_wait_alu 0xfffe
	s_sub_co_i32 s30, s5, s102
	s_cmp_ge_u32 s5, s102
	s_cselect_b32 s1, s6, s1
	s_wait_alu 0xfffe
	s_cselect_b32 s5, s30, s5
	s_add_co_i32 s6, s1, 1
	s_wait_alu 0xfffe
	s_cmp_ge_u32 s5, s102
	s_cselect_b32 s1, s6, s1
	v_readlane_b32 s6, v255, 17
	s_wait_alu 0xfffe
	s_xor_b32 s1, s1, s0
	s_wait_alu 0xfffe
	s_sub_co_i32 s0, s1, s0
	s_wait_alu 0xfffe
	s_mul_i32 s1, s0, s97
	s_wait_alu 0xfffe
	s_sub_co_i32 s3, s3, s1
	s_wait_alu 0xfffe
	s_abs_i32 s56, s3
	s_ashr_i32 s1, s3, 31
	s_mul_u64 s[40:41], s[56:57], s[62:63]
	s_wait_alu 0xfffe
	s_xor_b32 s1, s1, s6
	s_mul_i32 s5, s41, s103
	s_add_co_i32 s6, s41, 1
	s_wait_alu 0xfffe
	s_sub_co_i32 s5, s56, s5
	s_wait_alu 0xfffe
	s_sub_co_i32 s30, s5, s103
	s_cmp_ge_u32 s5, s103
	s_cselect_b32 s6, s6, s41
	s_wait_alu 0xfffe
	s_cselect_b32 s5, s30, s5
	s_add_co_i32 s30, s6, 1
	s_wait_alu 0xfffe
	s_cmp_ge_u32 s5, s103
	s_cselect_b32 s5, s30, s6
	s_wait_alu 0xfffe
	s_xor_b32 s5, s5, s1
	s_wait_alu 0xfffe
	s_sub_co_i32 s1, s5, s1
	s_wait_alu 0xfffe
	s_mul_i32 s5, s1, s96
	s_wait_alu 0xfffe
	s_sub_co_i32 s3, s3, s5
	s_wait_alu 0xfffe
	s_abs_i32 s56, s3
	s_ashr_i32 s3, s3, 31
	s_mul_u64 s[40:41], s[56:57], s[52:53]
	s_wait_alu 0xfffe
	s_xor_b32 s3, s3, s55
	s_mul_i32 s5, s41, s49
	s_add_co_i32 s6, s41, 1
	s_wait_alu 0xfffe
	s_sub_co_i32 s5, s56, s5
	s_wait_alu 0xfffe
	s_sub_co_i32 s30, s5, s49
	s_cmp_ge_u32 s5, s49
	s_cselect_b32 s6, s6, s41
	s_wait_alu 0xfffe
	s_cselect_b32 s5, s30, s5
	s_add_co_i32 s30, s6, 1
	s_wait_alu 0xfffe
	s_cmp_ge_u32 s5, s49
	s_cselect_b32 s5, s30, s6
	v_readlane_b32 s6, v255, 12
	s_wait_alu 0xfffe
	s_xor_b32 s5, s5, s3
	s_wait_alu 0xfffe
	s_sub_co_i32 s67, s5, s3
	s_and_not1_b32 vcc_lo, exec_lo, s6
	s_wait_alu 0xfffe
	s_cbranch_vccnz .LBB0_11
; %bb.10:                               ;   in Loop: Header=BB0_9 Depth=1
	v_readlane_b32 s3, v255, 0
	s_mul_i32 s3, s4, s3
	s_wait_alu 0xfffe
	s_add_co_i32 s40, s67, s3
	s_wait_alu 0xfffe
	s_ashr_i32 s41, s40, 31
	s_wait_alu 0xfffe
	s_lshl_b64 s[40:41], s[40:41], 2
	s_wait_alu 0xfffe
	s_add_nc_u64 s[40:41], s[18:19], s[40:41]
	global_load_b32 v0, v93, s[40:41]
	s_wait_loadcnt 0x0
	v_readfirstlane_b32 s3, v0
	s_ashr_i32 s5, s3, 31
	s_wait_alu 0xfffe
	s_lshr_b32 s5, s5, 26
	s_wait_alu 0xfffe
	s_add_co_i32 s3, s3, s5
	s_wait_alu 0xfffe
	s_ashr_i32 s3, s3, 6
	s_wait_alu 0xfffe
	s_min_i32 s33, s33, s3
.LBB0_11:                               ;   in Loop: Header=BB0_9 Depth=1
	s_abs_i32 s56, s4
	s_mul_i32 s3, s0, s94
	s_lshl_b32 s6, s1, 1
	s_mul_u64 s[50:51], s[56:57], s[64:65]
	s_wait_alu 0xfffe
	s_add_co_i32 s40, s6, s3
	s_mul_i32 s1, s51, s104
	s_load_b64 s[50:51], s[58:59], 0xc8
	s_mul_i32 s42, s4, s47
	s_mul_i32 s72, s40, s46
	;; [unrolled: 1-line block ×3, first 2 shown]
	s_sub_co_i32 s1, s56, s1
	s_ashr_i32 s43, s42, 31
	s_wait_alu 0xfffe
	s_ashr_i32 s73, s72, 31
	s_ashr_i32 s5, s4, 31
	;; [unrolled: 1-line block ×3, first 2 shown]
	s_sub_co_i32 s3, s1, s104
	s_cmp_ge_u32 s1, s104
	s_add_nc_u64 s[42:43], s[8:9], s[42:43]
	s_wait_alu 0xfffe
	s_cselect_b32 s1, s3, s1
	s_mul_u64 s[84:85], s[28:29], s[4:5]
	s_wait_alu 0xfffe
	s_sub_co_i32 s3, s1, s104
	s_cmp_ge_u32 s1, s104
	s_add_nc_u64 s[90:91], s[42:43], s[72:73]
	s_wait_alu 0xfffe
	s_cselect_b32 s1, s3, s1
	s_add_nc_u64 s[42:43], s[10:11], s[84:85]
	s_wait_alu 0xfffe
	s_xor_b32 s1, s1, s5
	s_add_nc_u64 s[78:79], s[42:43], s[82:83]
	s_wait_alu 0xfffe
	s_sub_co_i32 s42, s1, s5
	s_mul_i32 s3, s24, s25
	s_ashr_i32 s43, s42, 31
	s_wait_alu 0xfffe
	s_mul_i32 s3, s3, s4
	s_wait_kmcnt 0x0
	s_mul_u64 s[42:43], s[50:51], s[42:43]
	s_load_b64 s[50:51], s[58:59], 0xa8
	s_add_co_i32 s1, s40, s3
	s_ashr_i32 s41, s40, 31
	v_readlane_b32 s3, v255, 11
	s_wait_alu 0xfffe
	s_lshl_b32 s56, s1, 5
	s_mul_i32 s88, s0, s31
	s_lshl_b64 s[0:1], s[40:41], 2
	v_or_b32_e32 v174, s6, v32
	s_add_nc_u64 s[80:81], s[14:15], s[42:43]
	s_lshl_b64 s[42:43], s[56:57], 3
	s_ashr_i32 s89, s88, 31
	s_wait_alu 0xfffe
	s_add_nc_u64 s[0:1], s[16:17], s[0:1]
	s_and_b32 s3, s3, exec_lo
	s_add_nc_u64 s[72:73], s[20:21], s[42:43]
	s_wait_alu 0xfffe
	s_cselect_b32 s75, 0, s1
	s_cselect_b32 s74, 0, s0
	s_cmp_lg_u32 s95, 0
	s_wait_kmcnt 0x0
	s_mul_u64 s[86:87], s[50:51], s[4:5]
	s_delay_alu instid0(SALU_CYCLE_1)
	s_add_nc_u64 s[4:5], s[12:13], s[86:87]
	s_wait_alu 0xfffe
	s_add_nc_u64 s[76:77], s[4:5], s[88:89]
	s_cbranch_scc0 .LBB0_81
; %bb.12:                               ;   in Loop: Header=BB0_9 Depth=1
	s_lshl_b32 s0, s67, 5
	v_cmp_le_i32_e64 s4, s94, v174
	s_wait_alu 0xfffe
	v_add_nc_u32_e32 v189, s0, v115
	v_cmp_gt_i32_e32 vcc_lo, s94, v174
	s_delay_alu instid0(VALU_DEP_2)
	v_cmp_le_i32_e64 s3, s24, v189
	s_or_b32 s1, s3, s4
	s_wait_alu 0xfffe
	s_and_saveexec_b32 s3, s1
	s_wait_alu 0xfffe
	s_xor_b32 s1, exec_lo, s3
; %bb.13:                               ;   in Loop: Header=BB0_9 Depth=1
	v_add_nc_u32_e32 v0, v90, v94
	ds_store_b32 v0, v93
; %bb.14:                               ;   in Loop: Header=BB0_9 Depth=1
	s_wait_alu 0xfffe
	s_and_not1_saveexec_b32 s1, s1
	s_cbranch_execz .LBB0_16
; %bb.15:                               ;   in Loop: Header=BB0_9 Depth=1
	v_mad_co_u64_u32 v[0:1], null, v189, s7, v[53:54]
	s_delay_alu instid0(VALU_DEP_1) | instskip(NEXT) | instid1(VALU_DEP_1)
	v_ashrrev_i32_e32 v1, 31, v0
	v_lshlrev_b64_e32 v[0:1], 3, v[0:1]
	s_delay_alu instid0(VALU_DEP_1) | instskip(SKIP_1) | instid1(VALU_DEP_2)
	v_add_co_u32 v0, s3, s90, v0
	s_wait_alu 0xf1ff
	v_add_co_ci_u32_e64 v1, null, s91, v1, s3
	global_load_b64 v[0:1], v[0:1], off
	s_wait_loadcnt 0x0
	v_cvt_f16_f32_e32 v0, v0
	v_cvt_f16_f32_e32 v1, v1
	s_delay_alu instid0(VALU_DEP_1) | instskip(SKIP_1) | instid1(VALU_DEP_2)
	v_pack_b32_f16 v0, v0, v1
	v_add_nc_u32_e32 v1, v90, v94
	v_pk_mul_f16 v0, v0, s100
	ds_store_b32 v1, v0
.LBB0_16:                               ;   in Loop: Header=BB0_9 Depth=1
	s_wait_alu 0xfffe
	s_or_b32 exec_lo, exec_lo, s1
	v_add_nc_u32_e32 v188, s0, v116
	s_xor_b32 s1, vcc_lo, -1
	s_delay_alu instid0(VALU_DEP_1)
	v_cmp_le_i32_e64 s3, s24, v188
	s_wait_alu 0xfffe
	s_or_b32 s3, s3, s1
	s_wait_alu 0xfffe
	s_and_saveexec_b32 s4, s3
	s_wait_alu 0xfffe
	s_xor_b32 s3, exec_lo, s4
; %bb.17:                               ;   in Loop: Header=BB0_9 Depth=1
	v_add_nc_u32_e32 v0, v90, v95
	ds_store_b32 v0, v93
; %bb.18:                               ;   in Loop: Header=BB0_9 Depth=1
	s_wait_alu 0xfffe
	s_and_not1_saveexec_b32 s3, s3
	s_cbranch_execz .LBB0_20
; %bb.19:                               ;   in Loop: Header=BB0_9 Depth=1
	v_mad_co_u64_u32 v[0:1], null, v188, s7, v[53:54]
	s_delay_alu instid0(VALU_DEP_1) | instskip(NEXT) | instid1(VALU_DEP_1)
	v_ashrrev_i32_e32 v1, 31, v0
	v_lshlrev_b64_e32 v[0:1], 3, v[0:1]
	s_delay_alu instid0(VALU_DEP_1) | instskip(SKIP_1) | instid1(VALU_DEP_2)
	v_add_co_u32 v0, vcc_lo, s90, v0
	s_wait_alu 0xfffd
	v_add_co_ci_u32_e64 v1, null, s91, v1, vcc_lo
	global_load_b64 v[0:1], v[0:1], off
	s_wait_loadcnt 0x0
	v_cvt_f16_f32_e32 v0, v0
	v_cvt_f16_f32_e32 v1, v1
	s_delay_alu instid0(VALU_DEP_1) | instskip(SKIP_1) | instid1(VALU_DEP_2)
	v_pack_b32_f16 v0, v0, v1
	v_add_nc_u32_e32 v1, v90, v95
	v_pk_mul_f16 v0, v0, s100
	ds_store_b32 v1, v0
.LBB0_20:                               ;   in Loop: Header=BB0_9 Depth=1
	s_wait_alu 0xfffe
	s_or_b32 exec_lo, exec_lo, s3
	v_add_nc_u32_e32 v187, s0, v117
	s_delay_alu instid0(VALU_DEP_1)
	v_cmp_le_i32_e32 vcc_lo, s24, v187
	s_or_b32 s3, vcc_lo, s1
	s_wait_alu 0xfffe
	s_and_saveexec_b32 s4, s3
	s_wait_alu 0xfffe
	s_xor_b32 s3, exec_lo, s4
; %bb.21:                               ;   in Loop: Header=BB0_9 Depth=1
	v_add_nc_u32_e32 v0, v90, v95
	ds_store_b32 v0, v93 offset:576
; %bb.22:                               ;   in Loop: Header=BB0_9 Depth=1
	s_wait_alu 0xfffe
	s_and_not1_saveexec_b32 s3, s3
	s_cbranch_execz .LBB0_24
; %bb.23:                               ;   in Loop: Header=BB0_9 Depth=1
	v_mad_co_u64_u32 v[0:1], null, v187, s7, v[53:54]
	s_delay_alu instid0(VALU_DEP_1) | instskip(NEXT) | instid1(VALU_DEP_1)
	v_ashrrev_i32_e32 v1, 31, v0
	v_lshlrev_b64_e32 v[0:1], 3, v[0:1]
	s_delay_alu instid0(VALU_DEP_1) | instskip(SKIP_1) | instid1(VALU_DEP_2)
	v_add_co_u32 v0, vcc_lo, s90, v0
	s_wait_alu 0xfffd
	v_add_co_ci_u32_e64 v1, null, s91, v1, vcc_lo
	global_load_b64 v[0:1], v[0:1], off
	s_wait_loadcnt 0x0
	v_cvt_f16_f32_e32 v0, v0
	v_cvt_f16_f32_e32 v1, v1
	s_delay_alu instid0(VALU_DEP_1) | instskip(SKIP_1) | instid1(VALU_DEP_2)
	v_pack_b32_f16 v0, v0, v1
	v_add_nc_u32_e32 v1, v90, v95
	v_pk_mul_f16 v0, v0, s100
	ds_store_b32 v1, v0 offset:576
.LBB0_24:                               ;   in Loop: Header=BB0_9 Depth=1
	s_wait_alu 0xfffe
	s_or_b32 exec_lo, exec_lo, s3
	v_add_nc_u32_e32 v186, s0, v118
	s_delay_alu instid0(VALU_DEP_1)
	v_cmp_le_i32_e32 vcc_lo, s24, v186
	s_or_b32 s3, vcc_lo, s1
	s_wait_alu 0xfffe
	s_and_saveexec_b32 s4, s3
	s_wait_alu 0xfffe
	s_xor_b32 s3, exec_lo, s4
; %bb.25:                               ;   in Loop: Header=BB0_9 Depth=1
	v_add_nc_u32_e32 v0, v90, v95
	ds_store_b32 v0, v93 offset:1152
; %bb.26:                               ;   in Loop: Header=BB0_9 Depth=1
	s_wait_alu 0xfffe
	s_and_not1_saveexec_b32 s3, s3
	s_cbranch_execz .LBB0_28
; %bb.27:                               ;   in Loop: Header=BB0_9 Depth=1
	v_mad_co_u64_u32 v[0:1], null, v186, s7, v[53:54]
	s_delay_alu instid0(VALU_DEP_1) | instskip(NEXT) | instid1(VALU_DEP_1)
	v_ashrrev_i32_e32 v1, 31, v0
	v_lshlrev_b64_e32 v[0:1], 3, v[0:1]
	s_delay_alu instid0(VALU_DEP_1) | instskip(SKIP_1) | instid1(VALU_DEP_2)
	v_add_co_u32 v0, vcc_lo, s90, v0
	s_wait_alu 0xfffd
	v_add_co_ci_u32_e64 v1, null, s91, v1, vcc_lo
	global_load_b64 v[0:1], v[0:1], off
	s_wait_loadcnt 0x0
	v_cvt_f16_f32_e32 v0, v0
	v_cvt_f16_f32_e32 v1, v1
	s_delay_alu instid0(VALU_DEP_1) | instskip(SKIP_1) | instid1(VALU_DEP_2)
	v_pack_b32_f16 v0, v0, v1
	v_add_nc_u32_e32 v1, v90, v95
	v_pk_mul_f16 v0, v0, s100
	ds_store_b32 v1, v0 offset:1152
.LBB0_28:                               ;   in Loop: Header=BB0_9 Depth=1
	;; [unrolled: 36-line block ×6, first 2 shown]
	s_wait_alu 0xfffe
	s_or_b32 exec_lo, exec_lo, s3
	v_add_nc_u32_e32 v181, s0, v123
	s_delay_alu instid0(VALU_DEP_1)
	v_cmp_le_i32_e32 vcc_lo, s24, v181
	s_or_b32 s3, vcc_lo, s1
	s_wait_alu 0xfffe
	s_and_saveexec_b32 s4, s3
	s_wait_alu 0xfffe
	s_xor_b32 s3, exec_lo, s4
; %bb.45:                               ;   in Loop: Header=BB0_9 Depth=1
	v_add_nc_u32_e32 v0, v90, v124
	ds_store_b32 v0, v93
; %bb.46:                               ;   in Loop: Header=BB0_9 Depth=1
	s_wait_alu 0xfffe
	s_and_not1_saveexec_b32 s3, s3
	s_cbranch_execz .LBB0_48
; %bb.47:                               ;   in Loop: Header=BB0_9 Depth=1
	v_mad_co_u64_u32 v[0:1], null, v181, s7, v[53:54]
	s_delay_alu instid0(VALU_DEP_1) | instskip(NEXT) | instid1(VALU_DEP_1)
	v_ashrrev_i32_e32 v1, 31, v0
	v_lshlrev_b64_e32 v[0:1], 3, v[0:1]
	s_delay_alu instid0(VALU_DEP_1) | instskip(SKIP_1) | instid1(VALU_DEP_2)
	v_add_co_u32 v0, vcc_lo, s90, v0
	s_wait_alu 0xfffd
	v_add_co_ci_u32_e64 v1, null, s91, v1, vcc_lo
	global_load_b64 v[0:1], v[0:1], off
	s_wait_loadcnt 0x0
	v_cvt_f16_f32_e32 v0, v0
	v_cvt_f16_f32_e32 v1, v1
	s_delay_alu instid0(VALU_DEP_1) | instskip(SKIP_1) | instid1(VALU_DEP_2)
	v_pack_b32_f16 v0, v0, v1
	v_add_nc_u32_e32 v1, v90, v124
	v_pk_mul_f16 v0, v0, s100
	ds_store_b32 v1, v0
.LBB0_48:                               ;   in Loop: Header=BB0_9 Depth=1
	s_wait_alu 0xfffe
	s_or_b32 exec_lo, exec_lo, s3
	v_add_nc_u32_e32 v180, s0, v125
	s_delay_alu instid0(VALU_DEP_1)
	v_cmp_le_i32_e32 vcc_lo, s24, v180
	s_or_b32 s3, vcc_lo, s1
	s_wait_alu 0xfffe
	s_and_saveexec_b32 s4, s3
	s_wait_alu 0xfffe
	s_xor_b32 s3, exec_lo, s4
; %bb.49:                               ;   in Loop: Header=BB0_9 Depth=1
	v_add_nc_u32_e32 v0, v90, v124
	ds_store_b32 v0, v93 offset:576
; %bb.50:                               ;   in Loop: Header=BB0_9 Depth=1
	s_wait_alu 0xfffe
	s_and_not1_saveexec_b32 s3, s3
	s_cbranch_execz .LBB0_52
; %bb.51:                               ;   in Loop: Header=BB0_9 Depth=1
	v_mad_co_u64_u32 v[0:1], null, v180, s7, v[53:54]
	s_delay_alu instid0(VALU_DEP_1) | instskip(NEXT) | instid1(VALU_DEP_1)
	v_ashrrev_i32_e32 v1, 31, v0
	v_lshlrev_b64_e32 v[0:1], 3, v[0:1]
	s_delay_alu instid0(VALU_DEP_1) | instskip(SKIP_1) | instid1(VALU_DEP_2)
	v_add_co_u32 v0, vcc_lo, s90, v0
	s_wait_alu 0xfffd
	v_add_co_ci_u32_e64 v1, null, s91, v1, vcc_lo
	global_load_b64 v[0:1], v[0:1], off
	s_wait_loadcnt 0x0
	v_cvt_f16_f32_e32 v0, v0
	v_cvt_f16_f32_e32 v1, v1
	s_delay_alu instid0(VALU_DEP_1) | instskip(SKIP_1) | instid1(VALU_DEP_2)
	v_pack_b32_f16 v0, v0, v1
	v_add_nc_u32_e32 v1, v90, v124
	v_pk_mul_f16 v0, v0, s100
	ds_store_b32 v1, v0 offset:576
.LBB0_52:                               ;   in Loop: Header=BB0_9 Depth=1
	s_wait_alu 0xfffe
	s_or_b32 exec_lo, exec_lo, s3
	v_add_nc_u32_e32 v179, s0, v126
	s_delay_alu instid0(VALU_DEP_1)
	v_cmp_le_i32_e32 vcc_lo, s24, v179
	s_or_b32 s3, vcc_lo, s1
	s_wait_alu 0xfffe
	s_and_saveexec_b32 s4, s3
	s_wait_alu 0xfffe
	s_xor_b32 s3, exec_lo, s4
; %bb.53:                               ;   in Loop: Header=BB0_9 Depth=1
	v_add_nc_u32_e32 v0, v90, v124
	ds_store_b32 v0, v93 offset:1152
; %bb.54:                               ;   in Loop: Header=BB0_9 Depth=1
	s_wait_alu 0xfffe
	s_and_not1_saveexec_b32 s3, s3
	s_cbranch_execz .LBB0_56
; %bb.55:                               ;   in Loop: Header=BB0_9 Depth=1
	v_mad_co_u64_u32 v[0:1], null, v179, s7, v[53:54]
	s_delay_alu instid0(VALU_DEP_1) | instskip(NEXT) | instid1(VALU_DEP_1)
	v_ashrrev_i32_e32 v1, 31, v0
	v_lshlrev_b64_e32 v[0:1], 3, v[0:1]
	s_delay_alu instid0(VALU_DEP_1) | instskip(SKIP_1) | instid1(VALU_DEP_2)
	v_add_co_u32 v0, vcc_lo, s90, v0
	s_wait_alu 0xfffd
	v_add_co_ci_u32_e64 v1, null, s91, v1, vcc_lo
	global_load_b64 v[0:1], v[0:1], off
	s_wait_loadcnt 0x0
	v_cvt_f16_f32_e32 v0, v0
	v_cvt_f16_f32_e32 v1, v1
	s_delay_alu instid0(VALU_DEP_1) | instskip(SKIP_1) | instid1(VALU_DEP_2)
	v_pack_b32_f16 v0, v0, v1
	v_add_nc_u32_e32 v1, v90, v124
	v_pk_mul_f16 v0, v0, s100
	ds_store_b32 v1, v0 offset:1152
.LBB0_56:                               ;   in Loop: Header=BB0_9 Depth=1
	;; [unrolled: 36-line block ×7, first 2 shown]
	s_wait_alu 0xfffe
	s_or_b32 exec_lo, exec_lo, s1
	s_wait_storecnt_dscnt 0x0
	s_barrier_signal -1
	s_barrier_wait -1
	global_inv scope:SCOPE_SE
	ds_load_b128 v[24:27], v91
	ds_load_b128 v[28:31], v91 offset:32
	ds_load_b128 v[20:23], v91 offset:64
	;; [unrolled: 1-line block ×3, first 2 shown]
	v_add_nc_u32_e32 v9, s0, v85
	v_add_nc_u32_e32 v8, s0, v87
	;; [unrolled: 1-line block ×8, first 2 shown]
	v_mul_hi_u32 v15, s36, v9
	v_mul_hi_u32 v14, s36, v8
	;; [unrolled: 1-line block ×8, first 2 shown]
	s_add_co_i32 s0, s33, -1
	s_mov_b32 s1, -1
	s_wait_alu 0xfffe
	s_cmp_lt_i32 s95, s0
	s_wait_loadcnt_dscnt 0x0
	s_barrier_signal -1
	s_barrier_wait -1
	global_inv scope:SCOPE_SE
                                        ; implicit-def: $vgpr58_vgpr59
                                        ; implicit-def: $vgpr54_vgpr55
                                        ; implicit-def: $vgpr64_vgpr65
                                        ; implicit-def: $vgpr68_vgpr69
                                        ; implicit-def: $vgpr62_vgpr63
                                        ; implicit-def: $vgpr66_vgpr67
                                        ; implicit-def: $vgpr60_vgpr61
                                        ; implicit-def: $vgpr56_vgpr57
                                        ; implicit-def: $vgpr192
                                        ; implicit-def: $vgpr193
	s_cbranch_scc1 .LBB0_78
; %bb.77:                               ;   in Loop: Header=BB0_9 Depth=1
	v_add_nc_u32_e32 v56, v5, v13
	v_add_nc_u32_e32 v57, v4, v12
	v_dual_mov_b32 v193, 32 :: v_dual_add_nc_u32 v54, v9, v15
	v_add_nc_u32_e32 v55, v8, v14
	s_delay_alu instid0(VALU_DEP_4) | instskip(NEXT) | instid1(VALU_DEP_4)
	v_lshrrev_b32_e32 v56, s37, v56
	v_lshrrev_b32_e32 v57, s37, v57
	v_add_nc_u32_e32 v58, v3, v11
	v_add_nc_u32_e32 v59, v2, v10
	;; [unrolled: 1-line block ×3, first 2 shown]
	v_mul_lo_u32 v56, v56, s24
	v_add_nc_u32_e32 v61, v0, v6
	v_mul_lo_u32 v57, v57, s24
	v_lshrrev_b32_e32 v54, s37, v54
	v_lshrrev_b32_e32 v55, s37, v55
	;; [unrolled: 1-line block ×5, first 2 shown]
	v_sub_nc_u32_e32 v56, v5, v56
	v_lshrrev_b32_e32 v61, s37, v61
	v_mul_lo_u32 v54, v54, s24
	v_mul_lo_u32 v55, v55, s24
	;; [unrolled: 1-line block ×4, first 2 shown]
	v_mad_co_i64_i32 v[64:65], null, v56, s38, 0
	v_sub_nc_u32_e32 v56, v4, v57
	v_mul_lo_u32 v57, v60, s24
	v_mul_lo_u32 v60, v61, s24
	v_sub_nc_u32_e32 v54, v9, v54
	v_sub_nc_u32_e32 v55, v8, v55
	;; [unrolled: 1-line block ×3, first 2 shown]
	v_mad_co_i64_i32 v[68:69], null, v56, s38, 0
	v_sub_nc_u32_e32 v56, v2, v63
	v_sub_nc_u32_e32 v57, v1, v57
	;; [unrolled: 1-line block ×3, first 2 shown]
	v_mad_co_i64_i32 v[58:59], null, v54, s38, 0
	v_mad_co_i64_i32 v[54:55], null, v55, s38, 0
	;; [unrolled: 1-line block ×6, first 2 shown]
	v_xor_b32_e32 v192, 16, v172
	s_mov_b32 s1, 0
.LBB0_78:                               ;   in Loop: Header=BB0_9 Depth=1
	s_wait_alu 0xfffe
	s_and_not1_b32 vcc_lo, exec_lo, s1
	s_wait_alu 0xfffe
	s_cbranch_vccnz .LBB0_82
; %bb.79:                               ;   in Loop: Header=BB0_9 Depth=1
	v_dual_mov_b32 v193, 32 :: v_dual_add_nc_u32 v14, v8, v14
	v_add_nc_u32_e32 v7, v1, v7
	v_dual_mov_b32 v190, 0 :: v_dual_add_nc_u32 v13, v5, v13
	s_delay_alu instid0(VALU_DEP_3) | instskip(SKIP_1) | instid1(VALU_DEP_4)
	v_lshrrev_b32_e32 v14, s37, v14
	v_dual_mov_b32 v191, 0xfeffffff :: v_dual_lshlrev_b32 v54, 1, v92
	v_lshrrev_b32_e32 v7, s37, v7
	s_delay_alu instid0(VALU_DEP_4) | instskip(NEXT) | instid1(VALU_DEP_4)
	v_lshrrev_b32_e32 v13, s37, v13
	v_mul_lo_u32 v14, v14, s24
	v_xor_b32_e32 v192, 16, v172
	v_add_co_u32 v194, s1, s80, v54
	v_mul_lo_u32 v7, v7, s24
	v_mul_lo_u32 v13, v13, s24
	s_delay_alu instid0(VALU_DEP_4)
	v_cmp_gt_i32_e32 vcc_lo, 32, v192
	v_add_nc_u32_e32 v15, v9, v15
	v_sub_nc_u32_e32 v8, v8, v14
	v_add_nc_u32_e32 v12, v4, v12
	v_add_nc_u32_e32 v6, v0, v6
	s_wait_alu 0xf1ff
	v_add_co_ci_u32_e64 v195, null, s81, 0, s1
	v_mad_co_i64_i32 v[54:55], null, v8, s38, 0
	v_add_nc_u32_e32 v8, v2, v10
	v_sub_nc_u32_e32 v1, v1, v7
	v_sub_nc_u32_e32 v5, v5, v13
	v_mov_b32_e32 v13, v190
	v_lshrrev_b32_e32 v12, s37, v12
	s_lshl_b32 s92, s95, 6
	v_mad_co_i64_i32 v[60:61], null, v1, s38, 0
	s_wait_alu 0xfffd
	v_cndmask_b32_e32 v1, v172, v192, vcc_lo
	v_lshrrev_b32_e32 v8, s37, v8
	v_mad_co_i64_i32 v[64:65], null, v5, s38, 0
	v_mov_b32_e32 v14, v190
	s_delay_alu instid0(VALU_DEP_3) | instskip(SKIP_4) | instid1(VALU_DEP_4)
	v_mul_lo_u32 v5, v8, s24
	v_mov_b32_e32 v8, 0
	v_lshrrev_b32_e32 v15, s37, v15
	v_add_nc_u32_e32 v11, v3, v11
	v_dual_mov_b32 v1, v190 :: v_dual_lshlrev_b32 v196, 2, v1
	v_mov_b32_e32 v7, v8
	s_delay_alu instid0(VALU_DEP_4) | instskip(NEXT) | instid1(VALU_DEP_4)
	v_mul_lo_u32 v15, v15, s24
	v_lshrrev_b32_e32 v11, s37, v11
	v_sub_nc_u32_e32 v2, v2, v5
	v_mov_b32_e32 v5, v8
	s_delay_alu instid0(VALU_DEP_3) | instskip(NEXT) | instid1(VALU_DEP_3)
	v_mul_lo_u32 v10, v11, s24
	v_mad_co_i64_i32 v[66:67], null, v2, s38, 0
	v_sub_nc_u32_e32 v9, v9, v15
	v_mov_b32_e32 v15, v190
	v_lshrrev_b32_e32 v6, s37, v6
	v_dual_mov_b32 v11, v8 :: v_dual_mov_b32 v2, v190
	s_delay_alu instid0(VALU_DEP_4) | instskip(SKIP_4) | instid1(VALU_DEP_3)
	v_mad_co_i64_i32 v[58:59], null, v9, s38, 0
	v_mul_lo_u32 v9, v12, s24
	v_sub_nc_u32_e32 v3, v3, v10
	v_mov_b32_e32 v10, v8
	v_mov_b32_e32 v12, 0
	v_mad_co_i64_i32 v[62:63], null, v3, s38, 0
	v_sub_nc_u32_e32 v4, v4, v9
	v_mov_b32_e32 v9, v8
	v_mov_b32_e32 v3, v190
	s_delay_alu instid0(VALU_DEP_3) | instskip(SKIP_2) | instid1(VALU_DEP_2)
	v_mad_co_i64_i32 v[68:69], null, v4, s38, 0
	v_mul_lo_u32 v4, v6, s24
	v_mov_b32_e32 v6, v8
	v_sub_nc_u32_e32 v0, v0, v4
	v_mov_b32_e32 v4, v8
	s_delay_alu instid0(VALU_DEP_2)
	v_mad_co_i64_i32 v[56:57], null, v0, s38, 0
	v_mov_b32_e32 v0, 0
.LBB0_80:                               ;   Parent Loop BB0_9 Depth=1
                                        ; =>  This Inner Loop Header: Depth=2
	s_ashr_i32 s93, s92, 31
	v_lshlrev_b64_e32 v[70:71], 1, v[58:59]
	s_lshl_b64 s[4:5], s[92:93], 1
	v_lshlrev_b64_e32 v[72:73], 1, v[54:55]
	s_wait_alu 0xfffe
	v_add_co_u32 v150, vcc_lo, v194, s4
	s_wait_alu 0xfffd
	v_add_co_ci_u32_e64 v151, null, s5, v195, vcc_lo
	v_lshlrev_b64_e32 v[74:75], 1, v[64:65]
	s_delay_alu instid0(VALU_DEP_3)
	v_add_co_u32 v70, vcc_lo, v150, v70
	v_lshlrev_b64_e32 v[76:77], 1, v[68:69]
	s_wait_alu 0xfffd
	v_add_co_ci_u32_e64 v71, null, v151, v71, vcc_lo
	v_add_co_u32 v72, vcc_lo, v150, v72
	v_lshlrev_b64_e32 v[78:79], 1, v[62:63]
	s_wait_alu 0xfffd
	v_add_co_ci_u32_e64 v73, null, v151, v73, vcc_lo
	;; [unrolled: 4-line block ×5, first 2 shown]
	v_add_co_u32 v137, vcc_lo, v150, v137
	s_wait_alu 0xfffd
	v_add_co_ci_u32_e64 v138, null, v151, v138, vcc_lo
	v_add_co_u32 v139, vcc_lo, v150, v139
	s_wait_alu 0xfffd
	v_add_co_ci_u32_e64 v140, null, v151, v140, vcc_lo
	;; [unrolled: 3-line block ×3, first 2 shown]
	s_clause 0x7
	global_load_b32 v70, v[70:71], off
	global_load_b32 v71, v[72:73], off
	;; [unrolled: 1-line block ×8, first 2 shown]
	v_add_nc_u32_e32 v78, v90, v94
	s_mul_u64 s[4:5], s[92:93], s[26:27]
	s_add_co_i32 s95, s95, 1
	s_wait_alu 0xfffe
	s_lshl_b64 s[4:5], s[4:5], 2
	v_add_nc_u32_e32 v79, 0x2400, v78
	s_wait_alu 0xfffe
	s_add_nc_u64 s[4:5], s[78:79], s[4:5]
	s_wait_loadcnt 0x6
	ds_store_2addr_b32 v79, v70, v71 offset1:144
	v_add_nc_u32_e32 v70, 0x2800, v78
	s_wait_loadcnt 0x4
	ds_store_2addr_b32 v70, v72, v73 offset0:32 offset1:176
	v_add_nc_u32_e32 v70, 0x2c00, v78
	s_wait_loadcnt 0x2
	ds_store_2addr_b32 v70, v74, v75 offset0:64 offset1:208
	;; [unrolled: 3-line block ×3, first 2 shown]
	s_wait_alu 0xfffe
	v_add_co_u32 v70, vcc_lo, s4, v43
	s_wait_alu 0xfffd
	v_add_co_ci_u32_e64 v71, null, s5, v44, vcc_lo
	s_delay_alu instid0(VALU_DEP_2) | instskip(SKIP_1) | instid1(VALU_DEP_2)
	v_add_co_u32 v70, vcc_lo, v70, v136
	s_wait_alu 0xfffd
	v_add_co_ci_u32_e64 v71, null, 0, v71, vcc_lo
	v_add_co_u32 v72, vcc_lo, s4, v45
	s_wait_alu 0xfffd
	v_add_co_ci_u32_e64 v73, null, s5, v46, vcc_lo
	s_delay_alu instid0(VALU_DEP_2) | instskip(SKIP_1) | instid1(VALU_DEP_2)
	v_add_co_u32 v74, vcc_lo, v72, v136
	s_wait_alu 0xfffd
	v_add_co_ci_u32_e64 v75, null, 0, v73, vcc_lo
	s_clause 0x1
	global_load_b128 v[70:73], v[70:71], off
	global_load_b128 v[74:77], v[74:75], off
	s_wait_loadcnt 0x1
	ds_store_b128 v96, v[70:73]
	s_wait_loadcnt 0x0
	ds_store_b128 v100, v[74:77]
	v_add_co_u32 v70, vcc_lo, s4, v49
	s_wait_alu 0xfffd
	v_add_co_ci_u32_e64 v71, null, s5, v50, vcc_lo
	s_delay_alu instid0(VALU_DEP_2) | instskip(SKIP_1) | instid1(VALU_DEP_2)
	v_add_co_u32 v70, vcc_lo, v70, v136
	s_wait_alu 0xfffd
	v_add_co_ci_u32_e64 v71, null, 0, v71, vcc_lo
	v_add_co_u32 v72, vcc_lo, s4, v51
	s_wait_alu 0xfffd
	v_add_co_ci_u32_e64 v73, null, s5, v52, vcc_lo
	s_mul_u64 s[4:5], s[92:93], s[34:35]
	v_add_co_u32 v74, vcc_lo, v72, v136
	s_wait_alu 0xfffd
	v_add_co_ci_u32_e64 v75, null, 0, v73, vcc_lo
	s_clause 0x1
	global_load_b128 v[70:73], v[70:71], off
	global_load_b128 v[74:77], v[74:75], off
	s_wait_alu 0xfffe
	s_lshl_b64 s[4:5], s[4:5], 2
	s_add_co_i32 s92, s92, 64
	s_wait_alu 0xfffe
	s_add_nc_u64 s[4:5], s[76:77], s[4:5]
	s_cmp_lt_i32 s95, s0
	s_wait_loadcnt 0x1
	ds_store_b128 v101, v[70:73]
	s_wait_loadcnt 0x0
	ds_store_b128 v102, v[74:77]
	s_wait_dscnt 0x0
	s_barrier_signal -1
	s_barrier_wait -1
	global_inv scope:SCOPE_SE
	ds_load_b128 v[70:73], v89
	ds_load_b128 v[74:77], v89 offset:32
	s_wait_dscnt 0x1
	v_wmma_f32_16x16x16_f16 v[148:155], v[70:73], v[24:27], 0
	s_wait_dscnt 0x0
	s_delay_alu instid0(VALU_DEP_1)
	v_wmma_f32_16x16x16_f16 v[148:155], v[74:77], v[28:31], v[148:155]
	ds_load_b128 v[70:73], v89 offset:64
	ds_load_b128 v[74:77], v89 offset:96
	s_wait_dscnt 0x1
	v_wmma_f32_16x16x16_f16 v[148:155], v[70:73], v[20:23], v[148:155]
	s_wait_dscnt 0x0
	s_delay_alu instid0(VALU_DEP_1)
	v_wmma_f32_16x16x16_f16 v[148:155], v[74:77], v[16:19], v[148:155]
	v_add_nc_u32_e32 v78, 0x2400, v99
	v_add_nc_u32_e32 v205, 0x2400, v104
	ds_load_b128 v[70:73], v89 offset:2304
	ds_load_b128 v[74:77], v89 offset:2336
	;; [unrolled: 1-line block ×12, first 2 shown]
	s_wait_loadcnt_dscnt 0x0
	s_barrier_signal -1
	s_barrier_wait -1
	global_inv scope:SCOPE_SE
	ds_load_2addr_b32 v[78:79], v78 offset1:1
	ds_load_2addr_b32 v[205:206], v205 offset1:1
	ds_load_b32 v207, v103 offset:9216
	ds_load_b32 v210, v99 offset:9224
	s_wait_dscnt 0x3
	v_cvt_f32_f16_e64 v208, v78
	v_lshrrev_b32_e32 v78, 16, v78
	v_cvt_f32_f16_e64 v209, v79
	v_lshrrev_b32_e32 v79, 16, v79
	s_wait_dscnt 0x0
	v_cvt_f32_f16_e64 v211, v210
	v_lshrrev_b32_e32 v210, 16, v210
	v_lshrrev_b32_e32 v212, 16, v207
	v_cvt_f32_f16_e64 v207, v207
	v_cvt_f32_f16_e32 v78, v78
	v_cvt_f32_f16_e32 v79, v79
	v_cvt_f32_f16_e64 v210, v210
	v_cvt_f32_f16_e64 v212, v212
	s_delay_alu instid0(VALU_DEP_4) | instskip(SKIP_1) | instid1(VALU_DEP_4)
	v_dual_add_f32 v221, v148, v208 :: v_dual_add_f32 v222, v149, v78
	v_dual_add_f32 v223, v150, v209 :: v_dual_add_f32 v228, v152, v211
	;; [unrolled: 1-line block ×3, first 2 shown]
	s_delay_alu instid0(VALU_DEP_4)
	v_add_f32_e32 v225, v155, v212
	v_cvt_f32_f16_e64 v78, v205
	v_add_f32_e32 v224, v151, v79
	v_wmma_f32_16x16x16_f16 v[148:155], v[70:73], v[24:27], 0
	v_add_nc_u32_e32 v72, 0x2400, v107
	v_lshrrev_b32_e32 v79, 16, v205
	s_delay_alu instid0(VALU_DEP_3) | instskip(SKIP_2) | instid1(VALU_DEP_4)
	v_wmma_f32_16x16x16_f16 v[148:155], v[74:77], v[28:31], v[148:155]
	v_add_nc_u32_e32 v74, 0x2400, v108
	v_add_nc_u32_e32 v76, 0x2400, v109
	v_cvt_f32_f16_e32 v79, v79
	s_delay_alu instid0(VALU_DEP_4) | instskip(SKIP_2) | instid1(VALU_DEP_3)
	v_wmma_f32_16x16x16_f16 v[148:155], v[137:140], v[20:23], v[148:155]
	v_lshrrev_b32_e32 v138, 16, v206
	v_cvt_f32_f16_e64 v137, v206
	v_wmma_f32_16x16x16_f16 v[148:155], v[156:159], v[16:19], v[148:155]
	v_add_nc_u32_e32 v70, 0x2400, v105
	ds_load_2addr_b32 v[70:71], v70 offset1:1
	ds_load_2addr_b32 v[72:73], v72 offset1:1
	;; [unrolled: 1-line block ×4, first 2 shown]
	v_cvt_f32_f16_e64 v138, v138
	v_dual_add_f32 v213, v148, v78 :: v_dual_add_f32 v214, v149, v79
	s_delay_alu instid0(VALU_DEP_2)
	v_dual_add_f32 v215, v150, v137 :: v_dual_add_f32 v216, v151, v138
	s_wait_dscnt 0x3
	v_cvt_f32_f16_e64 v139, v70
	v_lshrrev_b32_e32 v70, 16, v70
	v_lshrrev_b32_e32 v140, 16, v71
	v_cvt_f32_f16_e32 v71, v71
	s_wait_dscnt 0x1
	v_cvt_f32_f16_e32 v78, v74
	v_lshrrev_b32_e32 v74, 16, v74
	v_cvt_f32_f16_e32 v70, v70
	v_cvt_f32_f16_e64 v140, v140
	v_add_f32_e32 v218, v154, v71
	v_lshrrev_b32_e32 v71, 16, v72
	v_cvt_f32_f16_e32 v74, v74
	v_dual_add_f32 v220, v152, v139 :: v_dual_add_f32 v219, v153, v70
	v_add_f32_e32 v217, v155, v140
	v_wmma_f32_16x16x16_f16 v[148:155], v[160:163], v[24:27], 0
	v_cvt_f32_f16_e32 v70, v72
	v_cvt_f32_f16_e32 v71, v71
	;; [unrolled: 1-line block ×3, first 2 shown]
	s_delay_alu instid0(VALU_DEP_4) | instskip(SKIP_3) | instid1(VALU_DEP_4)
	v_wmma_f32_16x16x16_f16 v[148:155], v[164:167], v[28:31], v[148:155]
	v_lshrrev_b32_e32 v73, 16, v73
	v_lshrrev_b32_e32 v79, 16, v75
	v_cvt_f32_f16_e32 v75, v75
	v_wmma_f32_16x16x16_f16 v[148:155], v[168:171], v[20:23], v[148:155]
	s_delay_alu instid0(VALU_DEP_4) | instskip(NEXT) | instid1(VALU_DEP_4)
	v_cvt_f32_f16_e32 v73, v73
	v_cvt_f32_f16_e32 v79, v79
	s_delay_alu instid0(VALU_DEP_3) | instskip(NEXT) | instid1(VALU_DEP_1)
	v_wmma_f32_16x16x16_f16 v[148:155], v[197:200], v[16:19], v[148:155]
	v_add_f32_e32 v205, v148, v70
	v_add_nc_u32_e32 v70, 0x2400, v110
	s_delay_alu instid0(VALU_DEP_3)
	v_add_f32_e32 v211, v153, v74
	s_wait_dscnt 0x0
	v_cvt_f32_f16_e32 v74, v77
	v_add_f32_e32 v206, v149, v71
	v_add_f32_e32 v210, v154, v75
	ds_load_2addr_b32 v[70:71], v70 offset1:1
	v_lshrrev_b32_e32 v75, 16, v77
	v_dual_add_f32 v207, v150, v72 :: v_dual_add_f32 v208, v151, v73
	v_add_f32_e32 v209, v155, v79
	v_cvt_f32_f16_e32 v72, v76
	v_lshrrev_b32_e32 v73, 16, v76
	v_cvt_f32_f16_e32 v75, v75
	s_delay_alu instid0(VALU_DEP_2)
	v_cvt_f32_f16_e32 v73, v73
	s_wait_dscnt 0x0
	v_lshrrev_b32_e32 v77, 16, v71
	v_cvt_f32_f16_e32 v76, v70
	v_lshrrev_b32_e32 v70, 16, v70
	v_cvt_f32_f16_e32 v71, v71
	s_delay_alu instid0(VALU_DEP_4) | instskip(SKIP_3) | instid1(VALU_DEP_2)
	v_cvt_f32_f16_e32 v77, v77
	v_add_f32_e32 v212, v152, v78
	v_wmma_f32_16x16x16_f16 v[148:155], v[201:204], v[24:27], 0
	v_cvt_f32_f16_e32 v70, v70
	v_wmma_f32_16x16x16_f16 v[148:155], v[229:232], v[28:31], v[148:155]
	s_delay_alu instid0(VALU_DEP_1) | instskip(NEXT) | instid1(VALU_DEP_1)
	v_wmma_f32_16x16x16_f16 v[148:155], v[233:236], v[20:23], v[148:155]
	v_wmma_f32_16x16x16_f16 v[148:155], v[237:240], v[16:19], v[148:155]
	s_delay_alu instid0(VALU_DEP_1) | instskip(SKIP_2) | instid1(VALU_DEP_3)
	v_add_f32_e32 v203, v153, v70
	s_wait_alu 0xfffe
	v_add_co_u32 v70, vcc_lo, s4, v35
	v_add_f32_e32 v202, v154, v71
	s_wait_alu 0xfffd
	v_add_co_ci_u32_e64 v71, null, s5, v36, vcc_lo
	s_delay_alu instid0(VALU_DEP_3) | instskip(SKIP_2) | instid1(VALU_DEP_3)
	v_add_co_u32 v70, vcc_lo, v70, v136
	v_add_f32_e32 v197, v148, v72
	s_wait_alu 0xfffd
	v_add_co_ci_u32_e64 v71, null, 0, v71, vcc_lo
	v_add_co_u32 v72, vcc_lo, s4, v37
	v_add_f32_e32 v198, v149, v73
	s_wait_alu 0xfffd
	v_add_co_ci_u32_e64 v73, null, s5, v38, vcc_lo
	v_add_f32_e32 v199, v150, v74
	v_add_co_u32 v74, vcc_lo, v72, v136
	v_add_f32_e32 v200, v151, v75
	s_wait_alu 0xfffd
	v_add_co_ci_u32_e64 v75, null, 0, v73, vcc_lo
	v_dual_add_f32 v204, v152, v76 :: v_dual_add_f32 v201, v155, v77
	s_clause 0x1
	global_load_b128 v[70:73], v[70:71], off
	global_load_b128 v[74:77], v[74:75], off
	s_wait_loadcnt 0x1
	ds_store_b128 v96, v[70:73]
	s_wait_loadcnt 0x0
	ds_store_b128 v100, v[74:77]
	v_add_co_u32 v70, vcc_lo, s4, v39
	s_wait_alu 0xfffd
	v_add_co_ci_u32_e64 v71, null, s5, v40, vcc_lo
	s_delay_alu instid0(VALU_DEP_2) | instskip(SKIP_1) | instid1(VALU_DEP_2)
	v_add_co_u32 v70, vcc_lo, v70, v136
	s_wait_alu 0xfffd
	v_add_co_ci_u32_e64 v71, null, 0, v71, vcc_lo
	v_add_co_u32 v72, vcc_lo, s4, v41
	s_wait_alu 0xfffd
	v_add_co_ci_u32_e64 v73, null, s5, v42, vcc_lo
	s_delay_alu instid0(VALU_DEP_2) | instskip(SKIP_1) | instid1(VALU_DEP_2)
	v_add_co_u32 v74, vcc_lo, v72, v136
	s_wait_alu 0xfffd
	v_add_co_ci_u32_e64 v75, null, 0, v73, vcc_lo
	s_clause 0x1
	global_load_b128 v[70:73], v[70:71], off
	global_load_b128 v[74:77], v[74:75], off
	s_wait_loadcnt 0x1
	ds_store_b128 v101, v[70:73]
	s_wait_loadcnt 0x0
	ds_store_b128 v102, v[74:77]
	s_wait_dscnt 0x0
	s_barrier_signal -1
	s_barrier_wait -1
	global_inv scope:SCOPE_SE
	ds_load_2addr_b32 v[70:71], v111 offset0:144 offset1:160
	ds_load_2addr_b32 v[72:73], v111 offset0:180 offset1:196
	ds_load_2addr_b32 v[76:77], v112 offset1:16
	ds_load_2addr_b32 v[78:79], v113 offset1:16
	s_wait_dscnt 0x2
	v_perm_b32 v74, v72, v70, 0x7060302
	v_perm_b32 v139, v72, v70, 0x5040100
	s_wait_dscnt 0x0
	v_perm_b32 v75, v78, v76, 0x7060302
	v_perm_b32 v140, v78, v76, 0x5040100
	;; [unrolled: 1-line block ×6, first 2 shown]
	ds_load_2addr_b32 v[70:71], v111 offset0:72 offset1:88
	ds_load_2addr_b32 v[76:77], v111 offset0:108 offset1:124
	s_wait_dscnt 0x0
	v_perm_b32 v73, v76, v70, 0x7060302
	v_perm_b32 v138, v76, v70, 0x5040100
	;; [unrolled: 1-line block ×4, first 2 shown]
	ds_load_2addr_b32 v[70:71], v111 offset1:16
	ds_load_2addr_b32 v[76:77], v111 offset0:36 offset1:52
	s_wait_dscnt 0x0
	v_perm_b32 v72, v76, v70, 0x7060302
	v_perm_b32 v137, v76, v70, 0x5040100
	;; [unrolled: 1-line block ×4, first 2 shown]
	v_mov_b32_e32 v76, v191
	v_dual_add_f32 v70, 0x40051340, v221 :: v_dual_add_f32 v71, 0x40051340, v222
	v_add_f32_e32 v77, 0x40051340, v224
	s_delay_alu instid0(VALU_DEP_2) | instskip(SKIP_1) | instid1(VALU_DEP_1)
	v_max3_num_f32 v70, v76, v70, v71
	v_add_f32_e32 v71, 0x40051340, v223
	v_max3_num_f32 v70, v70, v71, v77
	v_add_f32_e32 v71, 0x40051340, v228
	v_add_f32_e32 v77, 0x40051340, v227
	s_delay_alu instid0(VALU_DEP_1) | instskip(SKIP_2) | instid1(VALU_DEP_1)
	v_max3_num_f32 v70, v70, v71, v77
	v_add_f32_e32 v71, 0x40051340, v226
	v_add_f32_e32 v77, 0x40051340, v225
	v_max3_num_f32 v70, v70, v71, v77
	v_add_f32_e32 v71, 0x40051340, v213
	v_add_f32_e32 v77, 0x40051340, v214
	s_delay_alu instid0(VALU_DEP_1) | instskip(SKIP_2) | instid1(VALU_DEP_1)
	v_max3_num_f32 v70, v70, v71, v77
	v_add_f32_e32 v71, 0x40051340, v215
	;; [unrolled: 7-line block ×7, first 2 shown]
	v_add_f32_e32 v77, 0x40051340, v201
	v_max3_num_f32 v70, v70, v71, v77
	ds_bpermute_b32 v71, v196, v70
	s_wait_dscnt 0x0
	v_max_num_f32_e32 v71, v71, v71
	s_delay_alu instid0(VALU_DEP_1) | instskip(NEXT) | instid1(VALU_DEP_1)
	v_max_num_f32_e32 v191, v70, v71
	v_sub_f32_e32 v70, v228, v191
	s_delay_alu instid0(VALU_DEP_1) | instskip(SKIP_1) | instid1(VALU_DEP_2)
	v_mul_f32_e32 v71, 0x3fb8aa3b, v70
	v_cmp_ngt_f32_e64 s5, 0xc2ce8ed0, v70
	v_fma_f32 v77, 0x3fb8aa3b, v70, -v71
	v_rndne_f32_e32 v78, v71
	s_delay_alu instid0(VALU_DEP_2) | instskip(NEXT) | instid1(VALU_DEP_2)
	v_fmac_f32_e32 v77, 0x32a5705f, v70
	v_sub_f32_e32 v71, v71, v78
	v_cvt_i32_f32_e32 v78, v78
	s_delay_alu instid0(VALU_DEP_2) | instskip(SKIP_1) | instid1(VALU_DEP_2)
	v_add_f32_e32 v71, v71, v77
	v_sub_f32_e32 v77, v227, v191
	v_exp_f32_e32 v71, v71
	s_delay_alu instid0(VALU_DEP_1) | instskip(SKIP_1) | instid1(VALU_DEP_2)
	v_mul_f32_e32 v79, 0x3fb8aa3b, v77
	v_cmp_ngt_f32_e32 vcc_lo, 0xc2ce8ed0, v77
	v_fma_f32 v156, 0x3fb8aa3b, v77, -v79
	v_rndne_f32_e32 v157, v79
	s_delay_alu instid0(TRANS32_DEP_1) | instskip(NEXT) | instid1(VALU_DEP_3)
	v_ldexp_f32 v71, v71, v78
	v_fmac_f32_e32 v156, 0x32a5705f, v77
	s_delay_alu instid0(VALU_DEP_3)
	v_dual_sub_f32 v76, v76, v191 :: v_dual_sub_f32 v79, v79, v157
	v_cvt_i32_f32_e32 v157, v157
	s_wait_alu 0xf1ff
	v_cndmask_b32_e64 v71, 0, v71, s5
	v_cmp_nlt_f32_e64 s5, 0x42b17218, v70
	v_sub_f32_e32 v201, v201, v191
	v_dual_add_f32 v79, v79, v156 :: v_dual_sub_f32 v156, v226, v191
	s_delay_alu instid0(VALU_DEP_1) | instskip(NEXT) | instid1(VALU_DEP_1)
	v_exp_f32_e32 v79, v79
	v_mul_f32_e32 v158, 0x3fb8aa3b, v156
	v_cmp_ngt_f32_e64 s3, 0xc2ce8ed0, v156
	s_delay_alu instid0(VALU_DEP_2) | instskip(SKIP_1) | instid1(TRANS32_DEP_1)
	v_fma_f32 v159, 0x3fb8aa3b, v156, -v158
	v_rndne_f32_e32 v160, v158
	v_ldexp_f32 v79, v79, v157
	s_delay_alu instid0(VALU_DEP_3) | instskip(NEXT) | instid1(VALU_DEP_3)
	v_fmac_f32_e32 v159, 0x32a5705f, v156
	v_sub_f32_e32 v158, v158, v160
	v_cvt_i32_f32_e32 v78, v160
	s_wait_alu 0xfffd
	v_cndmask_b32_e32 v79, 0, v79, vcc_lo
	v_cmp_nlt_f32_e32 vcc_lo, 0x42b17218, v77
	v_add_f32_e32 v158, v158, v159
	v_sub_f32_e32 v159, v225, v191
	s_wait_alu 0xf1ff
	v_cndmask_b32_e64 v225, 0x7f800000, v71, s5
	s_wait_alu 0xfffd
	v_cndmask_b32_e32 v226, 0x7f800000, v79, vcc_lo
	v_exp_f32_e32 v158, v158
	v_mul_f32_e32 v161, 0x3fb8aa3b, v159
	v_cmp_ngt_f32_e64 s4, 0xc2ce8ed0, v159
	v_sub_f32_e32 v197, v197, v191
	s_delay_alu instid0(VALU_DEP_3) | instskip(SKIP_1) | instid1(TRANS32_DEP_1)
	v_fma_f32 v162, 0x3fb8aa3b, v159, -v161
	v_rndne_f32_e32 v163, v161
	v_ldexp_f32 v78, v158, v78
	s_delay_alu instid0(VALU_DEP_3) | instskip(NEXT) | instid1(VALU_DEP_3)
	v_fmac_f32_e32 v162, 0x32a5705f, v159
	v_sub_f32_e32 v161, v161, v163
	v_cvt_i32_f32_e32 v157, v163
	s_delay_alu instid0(VALU_DEP_4) | instskip(SKIP_1) | instid1(VALU_DEP_4)
	v_cndmask_b32_e64 v77, 0, v78, s3
	v_cmp_nlt_f32_e64 s3, 0x42b17218, v156
	v_add_f32_e32 v161, v161, v162
	v_cvt_f16_f32_e64 v156, v226
	s_wait_alu 0xf1ff
	s_delay_alu instid0(VALU_DEP_3) | instskip(NEXT) | instid1(VALU_DEP_3)
	v_cndmask_b32_e64 v70, 0x7f800000, v77, s3
	v_exp_f32_e32 v158, v161
	v_cvt_f16_f32_e64 v77, v225
	s_delay_alu instid0(TRANS32_DEP_1) | instskip(NEXT) | instid1(VALU_DEP_2)
	v_ldexp_f32 v157, v158, v157
	v_pack_b32_f16 v158, v77, v156
	v_sub_f32_e32 v77, v224, v191
	s_delay_alu instid0(VALU_DEP_3) | instskip(SKIP_1) | instid1(VALU_DEP_3)
	v_cndmask_b32_e64 v78, 0, v157, s4
	v_cmp_nlt_f32_e64 s4, 0x42b17218, v159
	v_cmp_ngt_f32_e32 vcc_lo, 0xc2ce8ed0, v77
	s_wait_alu 0xf1ff
	s_delay_alu instid0(VALU_DEP_2) | instskip(SKIP_1) | instid1(VALU_DEP_2)
	v_cndmask_b32_e64 v71, 0x7f800000, v78, s4
	v_cvt_f16_f32_e32 v78, v70
	v_cvt_f16_f32_e32 v79, v71
	s_delay_alu instid0(VALU_DEP_1) | instskip(SKIP_1) | instid1(VALU_DEP_1)
	v_pack_b32_f16 v159, v78, v79
	v_mul_f32_e32 v78, 0x3fb8aa3b, v77
	v_fma_f32 v79, 0x3fb8aa3b, v77, -v78
	v_rndne_f32_e32 v156, v78
	s_delay_alu instid0(VALU_DEP_1) | instskip(SKIP_1) | instid1(VALU_DEP_2)
	v_dual_fmac_f32 v79, 0x32a5705f, v77 :: v_dual_sub_f32 v78, v78, v156
	v_cvt_i32_f32_e32 v156, v156
	v_add_f32_e32 v78, v78, v79
	v_sub_f32_e32 v79, v223, v191
	s_delay_alu instid0(VALU_DEP_2) | instskip(NEXT) | instid1(VALU_DEP_1)
	v_exp_f32_e32 v78, v78
	v_mul_f32_e32 v157, 0x3fb8aa3b, v79
	v_cmp_ngt_f32_e64 s3, 0xc2ce8ed0, v79
	s_delay_alu instid0(VALU_DEP_2) | instskip(SKIP_1) | instid1(TRANS32_DEP_1)
	v_fma_f32 v160, 0x3fb8aa3b, v79, -v157
	v_rndne_f32_e32 v161, v157
	v_ldexp_f32 v78, v78, v156
	s_delay_alu instid0(VALU_DEP_2) | instskip(SKIP_2) | instid1(VALU_DEP_3)
	v_dual_fmac_f32 v160, 0x32a5705f, v79 :: v_dual_sub_f32 v157, v157, v161
	v_cvt_i32_f32_e32 v156, v161
	s_wait_alu 0xfffd
	v_cndmask_b32_e32 v78, 0, v78, vcc_lo
	v_cmp_nlt_f32_e32 vcc_lo, 0x42b17218, v77
	s_wait_alu 0xfffd
	s_delay_alu instid0(VALU_DEP_2) | instskip(NEXT) | instid1(VALU_DEP_1)
	v_dual_add_f32 v157, v157, v160 :: v_dual_cndmask_b32 v224, 0x7f800000, v78
	v_exp_f32_e32 v157, v157
	v_sub_f32_e32 v199, v199, v191
	s_delay_alu instid0(VALU_DEP_2) | instskip(NEXT) | instid1(TRANS32_DEP_1)
	v_cvt_f16_f32_e64 v78, v224
	v_ldexp_f32 v156, v157, v156
	s_wait_alu 0xf1ff
	s_delay_alu instid0(VALU_DEP_1) | instskip(SKIP_2) | instid1(VALU_DEP_1)
	v_cndmask_b32_e64 v77, 0, v156, s3
	v_cmp_nlt_f32_e64 s3, 0x42b17218, v79
	s_wait_alu 0xf1ff
	v_cndmask_b32_e64 v223, 0x7f800000, v77, s3
	s_delay_alu instid0(VALU_DEP_1) | instskip(NEXT) | instid1(VALU_DEP_1)
	v_cvt_f16_f32_e64 v77, v223
	v_pack_b32_f16 v157, v77, v78
	v_sub_f32_e32 v77, v222, v191
	s_delay_alu instid0(VALU_DEP_1) | instskip(SKIP_1) | instid1(VALU_DEP_2)
	v_mul_f32_e32 v78, 0x3fb8aa3b, v77
	v_cmp_ngt_f32_e32 vcc_lo, 0xc2ce8ed0, v77
	v_fma_f32 v79, 0x3fb8aa3b, v77, -v78
	v_rndne_f32_e32 v156, v78
	s_delay_alu instid0(VALU_DEP_1) | instskip(SKIP_1) | instid1(VALU_DEP_2)
	v_dual_fmac_f32 v79, 0x32a5705f, v77 :: v_dual_sub_f32 v78, v78, v156
	v_cvt_i32_f32_e32 v156, v156
	v_add_f32_e32 v78, v78, v79
	v_sub_f32_e32 v79, v221, v191
	s_delay_alu instid0(VALU_DEP_2) | instskip(NEXT) | instid1(VALU_DEP_1)
	v_exp_f32_e32 v78, v78
	v_mul_f32_e32 v160, 0x3fb8aa3b, v79
	v_cmp_ngt_f32_e64 s3, 0xc2ce8ed0, v79
	s_delay_alu instid0(VALU_DEP_2) | instskip(SKIP_1) | instid1(TRANS32_DEP_1)
	v_fma_f32 v161, 0x3fb8aa3b, v79, -v160
	v_rndne_f32_e32 v162, v160
	v_ldexp_f32 v78, v78, v156
	s_delay_alu instid0(VALU_DEP_2) | instskip(SKIP_2) | instid1(VALU_DEP_3)
	v_dual_fmac_f32 v161, 0x32a5705f, v79 :: v_dual_sub_f32 v160, v160, v162
	v_cvt_i32_f32_e32 v156, v162
	s_wait_alu 0xfffd
	v_cndmask_b32_e32 v78, 0, v78, vcc_lo
	v_cmp_nlt_f32_e32 vcc_lo, 0x42b17218, v77
	s_wait_alu 0xfffd
	s_delay_alu instid0(VALU_DEP_2) | instskip(NEXT) | instid1(VALU_DEP_1)
	v_dual_add_f32 v160, v160, v161 :: v_dual_cndmask_b32 v227, 0x7f800000, v78
	v_exp_f32_e32 v160, v160
	v_cmp_ngt_f32_e32 vcc_lo, 0xc2ce8ed0, v76
	s_delay_alu instid0(VALU_DEP_2) | instskip(NEXT) | instid1(TRANS32_DEP_1)
	v_cvt_f16_f32_e64 v78, v227
	v_ldexp_f32 v156, v160, v156
	s_wait_alu 0xf1ff
	s_delay_alu instid0(VALU_DEP_1) | instskip(SKIP_2) | instid1(VALU_DEP_1)
	v_cndmask_b32_e64 v77, 0, v156, s3
	v_cmp_nlt_f32_e64 s3, 0x42b17218, v79
	s_wait_alu 0xf1ff
	v_cndmask_b32_e64 v222, 0x7f800000, v77, s3
	s_delay_alu instid0(VALU_DEP_1) | instskip(NEXT) | instid1(VALU_DEP_1)
	v_cvt_f16_f32_e64 v77, v222
	v_pack_b32_f16 v156, v77, v78
	v_mul_f32_e32 v77, 0x3fb8aa3b, v76
	s_delay_alu instid0(VALU_DEP_1) | instskip(SKIP_1) | instid1(VALU_DEP_1)
	v_fma_f32 v78, 0x3fb8aa3b, v76, -v77
	v_rndne_f32_e32 v79, v77
	v_dual_fmac_f32 v78, 0x32a5705f, v76 :: v_dual_sub_f32 v77, v77, v79
	s_delay_alu instid0(VALU_DEP_1) | instskip(SKIP_1) | instid1(VALU_DEP_2)
	v_add_f32_e32 v77, v77, v78
	v_cvt_i32_f32_e32 v78, v79
	v_exp_f32_e32 v77, v77
	s_delay_alu instid0(TRANS32_DEP_1) | instskip(SKIP_1) | instid1(VALU_DEP_1)
	v_ldexp_f32 v77, v77, v78
	s_wait_alu 0xfffd
	v_cndmask_b32_e32 v77, 0, v77, vcc_lo
	v_cmp_nlt_f32_e32 vcc_lo, 0x42b17218, v76
	s_wait_alu 0xfffd
	s_delay_alu instid0(VALU_DEP_2) | instskip(SKIP_2) | instid1(VALU_DEP_2)
	v_cndmask_b32_e32 v77, 0x7f800000, v77, vcc_lo
	v_cmp_le_f32_e32 vcc_lo, 0xc1a00000, v76
	s_wait_alu 0xfffd
	v_cndmask_b32_e32 v221, 0, v77, vcc_lo
	s_delay_alu instid0(VALU_DEP_1) | instskip(NEXT) | instid1(VALU_DEP_1)
	v_cvt_f16_f32_e64 v76, v221
	v_and_b32_e32 v76, 0xffff, v76
	s_delay_alu instid0(VALU_DEP_1) | instskip(NEXT) | instid1(VALU_DEP_1)
	v_mul_u32_u24_e32 v76, 0x10001, v76
	v_pk_mul_f16 v12, v12, v76
	v_pk_mul_f16 v13, v13, v76
	v_pk_mul_f16 v14, v14, v76
	v_pk_mul_f16 v15, v15, v76
	v_pk_mul_f16 v0, v0, v76
	v_pk_mul_f16 v1, v1, v76
	v_pk_mul_f16 v2, v2, v76
	v_pk_mul_f16 v3, v3, v76
	v_pk_mul_f16 v8, v8, v76
	v_pk_mul_f16 v9, v9, v76
	v_pk_mul_f16 v10, v10, v76
	v_pk_mul_f16 v11, v11, v76
	v_wmma_f16_16x16x16_f16 v[12:15], v[72:75], v[156:159], v[12:15]
	v_add_nc_u32_e32 v72, 0xa00, v111
	v_add_nc_u32_e32 v74, 0x800, v112
	;; [unrolled: 1-line block ×3, first 2 shown]
	v_wmma_f16_16x16x16_f16 v[0:3], v[148:151], v[156:159], v[0:3]
	v_add_nc_u32_e32 v148, 0x800, v111
	v_wmma_f16_16x16x16_f16 v[8:11], v[137:140], v[156:159], v[8:11]
	v_pk_mul_f16 v4, v4, v76
	v_pk_mul_f16 v5, v5, v76
	;; [unrolled: 1-line block ×4, first 2 shown]
	ds_load_2addr_b32 v[72:73], v72 offset0:116 offset1:132
	ds_load_2addr_b32 v[76:77], v74 offset0:64 offset1:80
	;; [unrolled: 1-line block ×4, first 2 shown]
	v_wmma_f16_16x16x16_f16 v[4:7], v[152:155], v[156:159], v[4:7]
	s_wait_dscnt 0x1
	v_perm_b32 v75, v78, v76, 0x7060302
	v_perm_b32 v140, v78, v76, 0x5040100
	;; [unrolled: 1-line block ×4, first 2 shown]
	ds_load_2addr_b32 v[76:77], v148 offset0:136 offset1:152
	ds_load_2addr_b32 v[78:79], v148 offset0:172 offset1:188
	s_wait_dscnt 0x2
	v_perm_b32 v150, v73, v138, 0x7060302
	v_perm_b32 v154, v73, v138, 0x5040100
	;; [unrolled: 1-line block ×4, first 2 shown]
	s_wait_dscnt 0x0
	v_perm_b32 v73, v78, v76, 0x7060302
	v_perm_b32 v138, v78, v76, 0x5040100
	;; [unrolled: 1-line block ×4, first 2 shown]
	ds_load_2addr_b32 v[76:77], v148 offset0:64 offset1:80
	ds_load_2addr_b32 v[78:79], v148 offset0:100 offset1:116
	s_wait_dscnt 0x0
	v_perm_b32 v72, v78, v76, 0x7060302
	v_perm_b32 v137, v78, v76, 0x5040100
	v_sub_f32_e32 v76, v220, v191
	v_perm_b32 v148, v79, v77, 0x7060302
	v_perm_b32 v152, v79, v77, 0x5040100
	s_delay_alu instid0(VALU_DEP_3) | instskip(SKIP_1) | instid1(VALU_DEP_2)
	v_mul_f32_e32 v77, 0x3fb8aa3b, v76
	v_cmp_ngt_f32_e64 s5, 0xc2ce8ed0, v76
	v_fma_f32 v78, 0x3fb8aa3b, v76, -v77
	v_rndne_f32_e32 v79, v77
	s_delay_alu instid0(VALU_DEP_1) | instskip(SKIP_1) | instid1(VALU_DEP_2)
	v_dual_fmac_f32 v78, 0x32a5705f, v76 :: v_dual_sub_f32 v77, v77, v79
	v_cvt_i32_f32_e32 v79, v79
	v_dual_add_f32 v77, v77, v78 :: v_dual_sub_f32 v78, v219, v191
	s_delay_alu instid0(VALU_DEP_1) | instskip(NEXT) | instid1(VALU_DEP_1)
	v_exp_f32_e32 v77, v77
	v_mul_f32_e32 v156, 0x3fb8aa3b, v78
	v_cmp_ngt_f32_e32 vcc_lo, 0xc2ce8ed0, v78
	s_delay_alu instid0(VALU_DEP_2) | instskip(SKIP_1) | instid1(TRANS32_DEP_1)
	v_fma_f32 v157, 0x3fb8aa3b, v78, -v156
	v_rndne_f32_e32 v158, v156
	v_ldexp_f32 v77, v77, v79
	s_delay_alu instid0(VALU_DEP_3) | instskip(NEXT) | instid1(VALU_DEP_3)
	v_fmac_f32_e32 v157, 0x32a5705f, v78
	v_sub_f32_e32 v156, v156, v158
	v_cvt_i32_f32_e32 v158, v158
	s_wait_alu 0xf1ff
	v_cndmask_b32_e64 v77, 0, v77, s5
	v_cmp_nlt_f32_e64 s5, 0x42b17218, v76
	v_dual_add_f32 v156, v156, v157 :: v_dual_sub_f32 v157, v218, v191
	s_wait_alu 0xf1ff
	s_delay_alu instid0(VALU_DEP_2) | instskip(NEXT) | instid1(VALU_DEP_2)
	v_cndmask_b32_e64 v219, 0x7f800000, v77, s5
	v_exp_f32_e32 v156, v156
	s_delay_alu instid0(VALU_DEP_2) | instskip(SKIP_1) | instid1(VALU_DEP_3)
	v_mul_f32_e32 v159, 0x3fb8aa3b, v157
	v_cmp_ngt_f32_e64 s3, 0xc2ce8ed0, v157
	v_cvt_f16_f32_e64 v76, v219
	s_delay_alu instid0(VALU_DEP_3) | instskip(SKIP_1) | instid1(TRANS32_DEP_1)
	v_fma_f32 v160, 0x3fb8aa3b, v157, -v159
	v_rndne_f32_e32 v161, v159
	v_ldexp_f32 v156, v156, v158
	s_delay_alu instid0(VALU_DEP_3) | instskip(NEXT) | instid1(VALU_DEP_3)
	v_fmac_f32_e32 v160, 0x32a5705f, v157
	v_sub_f32_e32 v159, v159, v161
	v_cvt_i32_f32_e32 v79, v161
	s_wait_alu 0xfffd
	v_cndmask_b32_e32 v156, 0, v156, vcc_lo
	v_cmp_nlt_f32_e32 vcc_lo, 0x42b17218, v78
	v_dual_add_f32 v159, v159, v160 :: v_dual_sub_f32 v160, v217, v191
	s_wait_alu 0xfffd
	s_delay_alu instid0(VALU_DEP_3) | instskip(NEXT) | instid1(VALU_DEP_2)
	v_cndmask_b32_e32 v220, 0x7f800000, v156, vcc_lo
	v_exp_f32_e32 v159, v159
	s_delay_alu instid0(VALU_DEP_2) | instskip(SKIP_1) | instid1(VALU_DEP_2)
	v_mul_f32_e32 v162, 0x3fb8aa3b, v160
	v_cmp_ngt_f32_e64 s4, 0xc2ce8ed0, v160
	v_fma_f32 v163, 0x3fb8aa3b, v160, -v162
	v_rndne_f32_e32 v164, v162
	s_delay_alu instid0(TRANS32_DEP_1) | instskip(NEXT) | instid1(VALU_DEP_3)
	v_ldexp_f32 v79, v159, v79
	v_fmac_f32_e32 v163, 0x32a5705f, v160
	s_delay_alu instid0(VALU_DEP_3)
	v_sub_f32_e32 v162, v162, v164
	v_cvt_i32_f32_e32 v158, v164
	s_wait_alu 0xf1ff
	v_cndmask_b32_e64 v78, 0, v79, s3
	v_cmp_nlt_f32_e64 s3, 0x42b17218, v157
	v_add_f32_e32 v162, v162, v163
	s_wait_alu 0xf1ff
	s_delay_alu instid0(VALU_DEP_2) | instskip(NEXT) | instid1(VALU_DEP_2)
	v_cndmask_b32_e64 v217, 0x7f800000, v78, s3
	v_exp_f32_e32 v159, v162
	s_delay_alu instid0(VALU_DEP_1) | instskip(NEXT) | instid1(TRANS32_DEP_1)
	v_cvt_f16_f32_e64 v77, v217
	v_ldexp_f32 v158, v159, v158
	s_delay_alu instid0(VALU_DEP_1) | instskip(SKIP_2) | instid1(VALU_DEP_1)
	v_cndmask_b32_e64 v79, 0, v158, s4
	v_cmp_nlt_f32_e64 s4, 0x42b17218, v160
	s_wait_alu 0xf1ff
	v_cndmask_b32_e64 v218, 0x7f800000, v79, s4
	v_cvt_f16_f32_e64 v79, v220
	s_delay_alu instid0(VALU_DEP_2) | instskip(NEXT) | instid1(VALU_DEP_2)
	v_cvt_f16_f32_e64 v78, v218
	v_pack_b32_f16 v158, v76, v79
	v_sub_f32_e32 v76, v216, v191
	s_delay_alu instid0(VALU_DEP_3) | instskip(NEXT) | instid1(VALU_DEP_2)
	v_pack_b32_f16 v159, v77, v78
	v_mul_f32_e32 v77, 0x3fb8aa3b, v76
	v_cmp_ngt_f32_e32 vcc_lo, 0xc2ce8ed0, v76
	s_delay_alu instid0(VALU_DEP_2) | instskip(SKIP_1) | instid1(VALU_DEP_1)
	v_fma_f32 v78, 0x3fb8aa3b, v76, -v77
	v_rndne_f32_e32 v79, v77
	v_dual_fmac_f32 v78, 0x32a5705f, v76 :: v_dual_sub_f32 v77, v77, v79
	v_cvt_i32_f32_e32 v79, v79
	s_delay_alu instid0(VALU_DEP_2) | instskip(NEXT) | instid1(VALU_DEP_1)
	v_dual_add_f32 v77, v77, v78 :: v_dual_sub_f32 v78, v215, v191
	v_exp_f32_e32 v77, v77
	s_delay_alu instid0(VALU_DEP_1) | instskip(SKIP_1) | instid1(VALU_DEP_2)
	v_mul_f32_e32 v156, 0x3fb8aa3b, v78
	v_cmp_ngt_f32_e64 s3, 0xc2ce8ed0, v78
	v_fma_f32 v157, 0x3fb8aa3b, v78, -v156
	v_rndne_f32_e32 v160, v156
	s_delay_alu instid0(TRANS32_DEP_1) | instskip(NEXT) | instid1(VALU_DEP_2)
	v_ldexp_f32 v77, v77, v79
	v_dual_fmac_f32 v157, 0x32a5705f, v78 :: v_dual_sub_f32 v156, v156, v160
	v_cvt_i32_f32_e32 v79, v160
	s_wait_alu 0xfffd
	s_delay_alu instid0(VALU_DEP_3) | instskip(SKIP_3) | instid1(VALU_DEP_3)
	v_cndmask_b32_e32 v77, 0, v77, vcc_lo
	v_cmp_nlt_f32_e32 vcc_lo, 0x42b17218, v76
	v_add_f32_e32 v156, v156, v157
	s_wait_alu 0xfffd
	v_cndmask_b32_e32 v161, 0x7f800000, v77, vcc_lo
	s_delay_alu instid0(VALU_DEP_2) | instskip(NEXT) | instid1(VALU_DEP_1)
	v_exp_f32_e32 v156, v156
	v_cvt_f16_f32_e64 v77, v161
	s_delay_alu instid0(TRANS32_DEP_1) | instskip(SKIP_1) | instid1(VALU_DEP_1)
	v_ldexp_f32 v79, v156, v79
	s_wait_alu 0xf1ff
	v_cndmask_b32_e64 v76, 0, v79, s3
	v_cmp_nlt_f32_e64 s3, 0x42b17218, v78
	s_wait_alu 0xf1ff
	s_delay_alu instid0(VALU_DEP_1) | instskip(NEXT) | instid1(VALU_DEP_1)
	v_cndmask_b32_e64 v160, 0x7f800000, v76, s3
	v_cvt_f16_f32_e64 v76, v160
	s_delay_alu instid0(VALU_DEP_1) | instskip(SKIP_1) | instid1(VALU_DEP_1)
	v_pack_b32_f16 v157, v76, v77
	v_sub_f32_e32 v76, v214, v191
	v_mul_f32_e32 v77, 0x3fb8aa3b, v76
	v_cmp_ngt_f32_e32 vcc_lo, 0xc2ce8ed0, v76
	s_delay_alu instid0(VALU_DEP_2) | instskip(SKIP_1) | instid1(VALU_DEP_1)
	v_fma_f32 v78, 0x3fb8aa3b, v76, -v77
	v_rndne_f32_e32 v79, v77
	v_dual_fmac_f32 v78, 0x32a5705f, v76 :: v_dual_sub_f32 v77, v77, v79
	v_cvt_i32_f32_e32 v79, v79
	s_delay_alu instid0(VALU_DEP_2) | instskip(SKIP_1) | instid1(VALU_DEP_2)
	v_add_f32_e32 v77, v77, v78
	v_sub_f32_e32 v78, v213, v191
	v_exp_f32_e32 v77, v77
	s_delay_alu instid0(VALU_DEP_1) | instskip(SKIP_1) | instid1(VALU_DEP_2)
	v_mul_f32_e32 v156, 0x3fb8aa3b, v78
	v_cmp_ngt_f32_e64 s3, 0xc2ce8ed0, v78
	v_fma_f32 v162, 0x3fb8aa3b, v78, -v156
	v_rndne_f32_e32 v163, v156
	s_delay_alu instid0(TRANS32_DEP_1) | instskip(NEXT) | instid1(VALU_DEP_3)
	v_ldexp_f32 v77, v77, v79
	v_fmac_f32_e32 v162, 0x32a5705f, v78
	s_delay_alu instid0(VALU_DEP_3)
	v_sub_f32_e32 v156, v156, v163
	v_cvt_i32_f32_e32 v79, v163
	s_wait_alu 0xfffd
	v_cndmask_b32_e32 v77, 0, v77, vcc_lo
	v_cmp_nlt_f32_e32 vcc_lo, 0x42b17218, v76
	s_wait_alu 0xfffd
	s_delay_alu instid0(VALU_DEP_2) | instskip(NEXT) | instid1(VALU_DEP_1)
	v_dual_add_f32 v156, v156, v162 :: v_dual_cndmask_b32 v163, 0x7f800000, v77
	v_exp_f32_e32 v156, v156
	s_delay_alu instid0(VALU_DEP_1) | instskip(NEXT) | instid1(TRANS32_DEP_1)
	v_cvt_f16_f32_e64 v77, v163
	v_ldexp_f32 v79, v156, v79
	s_wait_alu 0xf1ff
	s_delay_alu instid0(VALU_DEP_1) | instskip(SKIP_2) | instid1(VALU_DEP_1)
	v_cndmask_b32_e64 v76, 0, v79, s3
	v_cmp_nlt_f32_e64 s3, 0x42b17218, v78
	s_wait_alu 0xf1ff
	v_cndmask_b32_e64 v162, 0x7f800000, v76, s3
	s_delay_alu instid0(VALU_DEP_1) | instskip(NEXT) | instid1(VALU_DEP_1)
	v_cvt_f16_f32_e64 v76, v162
	v_pack_b32_f16 v156, v76, v77
	s_delay_alu instid0(VALU_DEP_1)
	v_wmma_f16_16x16x16_f16 v[12:15], v[72:75], v[156:159], v[12:15]
	v_add_nc_u32_e32 v74, 0x1400, v111
	v_add_nc_u32_e32 v75, 0x1000, v112
	v_wmma_f16_16x16x16_f16 v[8:11], v[137:140], v[156:159], v[8:11]
	v_add_nc_u32_e32 v137, 0x1000, v113
	ds_load_2addr_b32 v[72:73], v74 offset0:16 offset1:32
	ds_load_2addr_b32 v[76:77], v74 offset0:52 offset1:68
	;; [unrolled: 1-line block ×4, first 2 shown]
	v_wmma_f16_16x16x16_f16 v[4:7], v[152:155], v[156:159], v[4:7]
	v_wmma_f16_16x16x16_f16 v[0:3], v[148:151], v[156:159], v[0:3]
	s_wait_dscnt 0x2
	v_perm_b32 v74, v76, v72, 0x7060302
	v_perm_b32 v139, v76, v72, 0x5040100
	v_add_nc_u32_e32 v72, 0x1000, v111
	s_wait_dscnt 0x0
	v_perm_b32 v75, v137, v78, 0x7060302
	v_perm_b32 v140, v137, v78, 0x5040100
	;; [unrolled: 1-line block ×6, first 2 shown]
	ds_load_2addr_b32 v[76:77], v72 offset0:200 offset1:216
	ds_load_2addr_b32 v[78:79], v72 offset0:236 offset1:252
	s_wait_dscnt 0x0
	v_perm_b32 v73, v78, v76, 0x7060302
	v_perm_b32 v138, v78, v76, 0x5040100
	;; [unrolled: 1-line block ×4, first 2 shown]
	ds_load_2addr_b32 v[76:77], v72 offset0:128 offset1:144
	ds_load_2addr_b32 v[78:79], v72 offset0:164 offset1:180
	s_wait_dscnt 0x0
	v_perm_b32 v72, v78, v76, 0x7060302
	v_perm_b32 v137, v78, v76, 0x5040100
	v_sub_f32_e32 v76, v212, v191
	v_perm_b32 v148, v79, v77, 0x7060302
	v_perm_b32 v152, v79, v77, 0x5040100
	s_delay_alu instid0(VALU_DEP_3) | instskip(SKIP_1) | instid1(VALU_DEP_2)
	v_mul_f32_e32 v77, 0x3fb8aa3b, v76
	v_cmp_ngt_f32_e64 s5, 0xc2ce8ed0, v76
	v_fma_f32 v78, 0x3fb8aa3b, v76, -v77
	v_rndne_f32_e32 v79, v77
	s_delay_alu instid0(VALU_DEP_1) | instskip(SKIP_1) | instid1(VALU_DEP_2)
	v_dual_fmac_f32 v78, 0x32a5705f, v76 :: v_dual_sub_f32 v77, v77, v79
	v_cvt_i32_f32_e32 v79, v79
	v_dual_add_f32 v77, v77, v78 :: v_dual_sub_f32 v78, v211, v191
	s_delay_alu instid0(VALU_DEP_1) | instskip(NEXT) | instid1(VALU_DEP_1)
	v_exp_f32_e32 v77, v77
	v_mul_f32_e32 v156, 0x3fb8aa3b, v78
	v_cmp_ngt_f32_e32 vcc_lo, 0xc2ce8ed0, v78
	s_delay_alu instid0(VALU_DEP_2) | instskip(SKIP_1) | instid1(TRANS32_DEP_1)
	v_fma_f32 v157, 0x3fb8aa3b, v78, -v156
	v_rndne_f32_e32 v158, v156
	v_ldexp_f32 v77, v77, v79
	s_delay_alu instid0(VALU_DEP_3) | instskip(NEXT) | instid1(VALU_DEP_3)
	v_fmac_f32_e32 v157, 0x32a5705f, v78
	v_sub_f32_e32 v156, v156, v158
	v_cvt_i32_f32_e32 v158, v158
	s_wait_alu 0xf1ff
	v_cndmask_b32_e64 v77, 0, v77, s5
	v_cmp_nlt_f32_e64 s5, 0x42b17218, v76
	v_dual_add_f32 v156, v156, v157 :: v_dual_sub_f32 v157, v210, v191
	s_delay_alu instid0(VALU_DEP_1) | instskip(NEXT) | instid1(VALU_DEP_1)
	v_exp_f32_e32 v156, v156
	v_mul_f32_e32 v159, 0x3fb8aa3b, v157
	v_cmp_ngt_f32_e64 s3, 0xc2ce8ed0, v157
	s_delay_alu instid0(VALU_DEP_2) | instskip(SKIP_1) | instid1(TRANS32_DEP_1)
	v_fma_f32 v164, 0x3fb8aa3b, v157, -v159
	v_rndne_f32_e32 v165, v159
	v_ldexp_f32 v156, v156, v158
	s_delay_alu instid0(VALU_DEP_3) | instskip(NEXT) | instid1(VALU_DEP_3)
	v_fmac_f32_e32 v164, 0x32a5705f, v157
	v_sub_f32_e32 v159, v159, v165
	v_cvt_i32_f32_e32 v79, v165
	s_wait_alu 0xfffd
	v_cndmask_b32_e32 v156, 0, v156, vcc_lo
	v_cmp_nlt_f32_e32 vcc_lo, 0x42b17218, v78
	v_dual_add_f32 v159, v159, v164 :: v_dual_sub_f32 v164, v209, v191
	s_delay_alu instid0(VALU_DEP_1) | instskip(NEXT) | instid1(VALU_DEP_1)
	v_exp_f32_e32 v159, v159
	v_mul_f32_e32 v166, 0x3fb8aa3b, v164
	v_cmp_ngt_f32_e64 s4, 0xc2ce8ed0, v164
	s_delay_alu instid0(VALU_DEP_2) | instskip(SKIP_1) | instid1(TRANS32_DEP_1)
	v_fma_f32 v167, 0x3fb8aa3b, v164, -v166
	v_rndne_f32_e32 v168, v166
	v_ldexp_f32 v79, v159, v79
	s_delay_alu instid0(VALU_DEP_3) | instskip(NEXT) | instid1(VALU_DEP_3)
	v_fmac_f32_e32 v167, 0x32a5705f, v164
	v_sub_f32_e32 v166, v166, v168
	v_cvt_i32_f32_e32 v158, v168
	s_wait_alu 0xf1ff
	v_cndmask_b32_e64 v78, 0, v79, s3
	v_cmp_nlt_f32_e64 s3, 0x42b17218, v157
	s_wait_alu 0xfffd
	v_dual_add_f32 v166, v166, v167 :: v_dual_cndmask_b32 v167, 0x7f800000, v156
	s_wait_alu 0xf1ff
	s_delay_alu instid0(VALU_DEP_2) | instskip(NEXT) | instid1(VALU_DEP_2)
	v_cndmask_b32_e64 v165, 0x7f800000, v78, s3
	v_exp_f32_e32 v159, v166
	s_delay_alu instid0(TRANS32_DEP_1) | instskip(NEXT) | instid1(VALU_DEP_1)
	v_ldexp_f32 v158, v159, v158
	v_cndmask_b32_e64 v79, 0, v158, s4
	v_cmp_nlt_f32_e64 s4, 0x42b17218, v164
	v_cndmask_b32_e64 v164, 0x7f800000, v77, s5
	v_cvt_f16_f32_e64 v77, v165
	s_wait_alu 0xf1ff
	s_delay_alu instid0(VALU_DEP_3) | instskip(NEXT) | instid1(VALU_DEP_3)
	v_cndmask_b32_e64 v166, 0x7f800000, v79, s4
	v_cvt_f16_f32_e64 v76, v164
	v_cvt_f16_f32_e64 v79, v167
	v_cmp_ngt_f32_e64 s4, 0xc2ce8ed0, v201
	s_delay_alu instid0(VALU_DEP_4) | instskip(NEXT) | instid1(VALU_DEP_3)
	v_cvt_f16_f32_e64 v78, v166
	v_pack_b32_f16 v158, v76, v79
	v_sub_f32_e32 v76, v208, v191
	s_delay_alu instid0(VALU_DEP_3) | instskip(NEXT) | instid1(VALU_DEP_2)
	v_pack_b32_f16 v159, v77, v78
	v_mul_f32_e32 v77, 0x3fb8aa3b, v76
	v_cmp_ngt_f32_e32 vcc_lo, 0xc2ce8ed0, v76
	s_delay_alu instid0(VALU_DEP_2) | instskip(SKIP_1) | instid1(VALU_DEP_1)
	v_fma_f32 v78, 0x3fb8aa3b, v76, -v77
	v_rndne_f32_e32 v79, v77
	v_dual_fmac_f32 v78, 0x32a5705f, v76 :: v_dual_sub_f32 v77, v77, v79
	v_cvt_i32_f32_e32 v79, v79
	s_delay_alu instid0(VALU_DEP_2) | instskip(NEXT) | instid1(VALU_DEP_1)
	v_dual_add_f32 v77, v77, v78 :: v_dual_sub_f32 v78, v207, v191
	v_exp_f32_e32 v77, v77
	s_delay_alu instid0(VALU_DEP_1) | instskip(SKIP_1) | instid1(VALU_DEP_2)
	v_mul_f32_e32 v156, 0x3fb8aa3b, v78
	v_cmp_ngt_f32_e64 s3, 0xc2ce8ed0, v78
	v_fma_f32 v157, 0x3fb8aa3b, v78, -v156
	v_rndne_f32_e32 v168, v156
	s_delay_alu instid0(TRANS32_DEP_1) | instskip(NEXT) | instid1(VALU_DEP_2)
	v_ldexp_f32 v77, v77, v79
	v_dual_fmac_f32 v157, 0x32a5705f, v78 :: v_dual_sub_f32 v156, v156, v168
	v_cvt_i32_f32_e32 v79, v168
	s_wait_alu 0xfffd
	s_delay_alu instid0(VALU_DEP_3) | instskip(SKIP_3) | instid1(VALU_DEP_3)
	v_cndmask_b32_e32 v77, 0, v77, vcc_lo
	v_cmp_nlt_f32_e32 vcc_lo, 0x42b17218, v76
	v_add_f32_e32 v156, v156, v157
	s_wait_alu 0xfffd
	v_cndmask_b32_e32 v169, 0x7f800000, v77, vcc_lo
	s_delay_alu instid0(VALU_DEP_2) | instskip(NEXT) | instid1(VALU_DEP_1)
	v_exp_f32_e32 v156, v156
	v_cvt_f16_f32_e64 v77, v169
	s_delay_alu instid0(TRANS32_DEP_1) | instskip(SKIP_1) | instid1(VALU_DEP_1)
	v_ldexp_f32 v79, v156, v79
	s_wait_alu 0xf1ff
	v_cndmask_b32_e64 v76, 0, v79, s3
	v_cmp_nlt_f32_e64 s3, 0x42b17218, v78
	s_wait_alu 0xf1ff
	s_delay_alu instid0(VALU_DEP_1) | instskip(NEXT) | instid1(VALU_DEP_1)
	v_cndmask_b32_e64 v168, 0x7f800000, v76, s3
	v_cvt_f16_f32_e64 v76, v168
	s_delay_alu instid0(VALU_DEP_1) | instskip(SKIP_1) | instid1(VALU_DEP_1)
	v_pack_b32_f16 v157, v76, v77
	v_sub_f32_e32 v76, v206, v191
	v_mul_f32_e32 v77, 0x3fb8aa3b, v76
	v_cmp_ngt_f32_e32 vcc_lo, 0xc2ce8ed0, v76
	s_delay_alu instid0(VALU_DEP_2) | instskip(SKIP_1) | instid1(VALU_DEP_1)
	v_fma_f32 v78, 0x3fb8aa3b, v76, -v77
	v_rndne_f32_e32 v79, v77
	v_dual_fmac_f32 v78, 0x32a5705f, v76 :: v_dual_sub_f32 v77, v77, v79
	v_cvt_i32_f32_e32 v79, v79
	s_delay_alu instid0(VALU_DEP_2) | instskip(SKIP_1) | instid1(VALU_DEP_2)
	v_add_f32_e32 v77, v77, v78
	v_sub_f32_e32 v78, v205, v191
	v_exp_f32_e32 v77, v77
	s_delay_alu instid0(VALU_DEP_1) | instskip(SKIP_1) | instid1(VALU_DEP_2)
	v_mul_f32_e32 v156, 0x3fb8aa3b, v78
	v_cmp_ngt_f32_e64 s3, 0xc2ce8ed0, v78
	v_fma_f32 v170, 0x3fb8aa3b, v78, -v156
	v_rndne_f32_e32 v171, v156
	s_delay_alu instid0(TRANS32_DEP_1) | instskip(NEXT) | instid1(VALU_DEP_3)
	v_ldexp_f32 v77, v77, v79
	v_fmac_f32_e32 v170, 0x32a5705f, v78
	s_delay_alu instid0(VALU_DEP_3)
	v_sub_f32_e32 v156, v156, v171
	v_cvt_i32_f32_e32 v79, v171
	s_wait_alu 0xfffd
	v_cndmask_b32_e32 v77, 0, v77, vcc_lo
	v_cmp_nlt_f32_e32 vcc_lo, 0x42b17218, v76
	s_wait_alu 0xfffd
	s_delay_alu instid0(VALU_DEP_2) | instskip(NEXT) | instid1(VALU_DEP_1)
	v_dual_add_f32 v156, v156, v170 :: v_dual_cndmask_b32 v171, 0x7f800000, v77
	v_exp_f32_e32 v156, v156
	s_delay_alu instid0(VALU_DEP_1) | instskip(NEXT) | instid1(TRANS32_DEP_1)
	v_cvt_f16_f32_e64 v77, v171
	v_ldexp_f32 v79, v156, v79
	s_wait_alu 0xf1ff
	s_delay_alu instid0(VALU_DEP_1) | instskip(SKIP_2) | instid1(VALU_DEP_1)
	v_cndmask_b32_e64 v76, 0, v79, s3
	v_cmp_nlt_f32_e64 s3, 0x42b17218, v78
	s_wait_alu 0xf1ff
	v_cndmask_b32_e64 v170, 0x7f800000, v76, s3
	s_delay_alu instid0(VALU_DEP_1) | instskip(NEXT) | instid1(VALU_DEP_1)
	v_cvt_f16_f32_e64 v76, v170
	v_pack_b32_f16 v156, v76, v77
	s_delay_alu instid0(VALU_DEP_1)
	v_wmma_f16_16x16x16_f16 v[12:15], v[72:75], v[156:159], v[12:15]
	v_add_nc_u32_e32 v72, 0x1800, v112
	v_add_nc_u32_e32 v74, 0x1800, v113
	v_wmma_f16_16x16x16_f16 v[0:3], v[148:151], v[156:159], v[0:3]
	v_add_nc_u32_e32 v148, 0x1c00, v111
	v_wmma_f16_16x16x16_f16 v[8:11], v[137:140], v[156:159], v[8:11]
	ds_load_2addr_b32 v[72:73], v72 offset0:192 offset1:208
	ds_load_2addr_b32 v[76:77], v74 offset0:192 offset1:208
	;; [unrolled: 1-line block ×4, first 2 shown]
	v_wmma_f16_16x16x16_f16 v[4:7], v[152:155], v[156:159], v[4:7]
	s_wait_dscnt 0x2
	v_perm_b32 v75, v76, v72, 0x7060302
	v_perm_b32 v140, v76, v72, 0x5040100
	s_wait_dscnt 0x0
	v_perm_b32 v74, v137, v78, 0x7060302
	v_perm_b32 v139, v137, v78, 0x5040100
	;; [unrolled: 1-line block ×6, first 2 shown]
	ds_load_2addr_b32 v[76:77], v148 offset0:8 offset1:24
	ds_load_2addr_b32 v[78:79], v148 offset0:44 offset1:60
	v_add_nc_u32_e32 v72, 0x1800, v111
	s_wait_dscnt 0x0
	v_perm_b32 v73, v78, v76, 0x7060302
	v_perm_b32 v138, v78, v76, 0x5040100
	;; [unrolled: 1-line block ×4, first 2 shown]
	ds_load_2addr_b32 v[76:77], v72 offset0:192 offset1:208
	ds_load_2addr_b32 v[78:79], v72 offset0:228 offset1:244
	s_wait_loadcnt_dscnt 0x0
	s_barrier_signal -1
	s_barrier_wait -1
	global_inv scope:SCOPE_SE
	v_perm_b32 v72, v78, v76, 0x7060302
	v_perm_b32 v137, v78, v76, 0x5040100
	v_sub_f32_e32 v76, v204, v191
	v_perm_b32 v148, v79, v77, 0x7060302
	v_perm_b32 v152, v79, v77, 0x5040100
	s_delay_alu instid0(VALU_DEP_3) | instskip(SKIP_1) | instid1(VALU_DEP_2)
	v_mul_f32_e32 v77, 0x3fb8aa3b, v76
	v_cmp_ngt_f32_e64 s5, 0xc2ce8ed0, v76
	v_fma_f32 v78, 0x3fb8aa3b, v76, -v77
	v_rndne_f32_e32 v79, v77
	s_delay_alu instid0(VALU_DEP_1) | instskip(SKIP_1) | instid1(VALU_DEP_2)
	v_dual_fmac_f32 v78, 0x32a5705f, v76 :: v_dual_sub_f32 v77, v77, v79
	v_cvt_i32_f32_e32 v79, v79
	v_dual_add_f32 v77, v77, v78 :: v_dual_sub_f32 v78, v203, v191
	s_delay_alu instid0(VALU_DEP_1) | instskip(NEXT) | instid1(VALU_DEP_1)
	v_exp_f32_e32 v77, v77
	v_mul_f32_e32 v156, 0x3fb8aa3b, v78
	v_cmp_ngt_f32_e32 vcc_lo, 0xc2ce8ed0, v78
	s_delay_alu instid0(VALU_DEP_2) | instskip(SKIP_1) | instid1(TRANS32_DEP_1)
	v_fma_f32 v157, 0x3fb8aa3b, v78, -v156
	v_rndne_f32_e32 v158, v156
	v_ldexp_f32 v77, v77, v79
	s_delay_alu instid0(VALU_DEP_3) | instskip(NEXT) | instid1(VALU_DEP_3)
	v_fmac_f32_e32 v157, 0x32a5705f, v78
	v_sub_f32_e32 v156, v156, v158
	v_cvt_i32_f32_e32 v158, v158
	s_wait_alu 0xf1ff
	v_cndmask_b32_e64 v77, 0, v77, s5
	v_cmp_nlt_f32_e64 s5, 0x42b17218, v76
	v_dual_add_f32 v156, v156, v157 :: v_dual_sub_f32 v157, v202, v191
	s_wait_alu 0xf1ff
	s_delay_alu instid0(VALU_DEP_2) | instskip(NEXT) | instid1(VALU_DEP_2)
	v_cndmask_b32_e64 v76, 0x7f800000, v77, s5
	v_exp_f32_e32 v156, v156
	s_delay_alu instid0(VALU_DEP_2) | instskip(SKIP_1) | instid1(VALU_DEP_2)
	v_mul_f32_e32 v159, 0x3fb8aa3b, v157
	v_cmp_ngt_f32_e64 s3, 0xc2ce8ed0, v157
	v_fma_f32 v202, 0x3fb8aa3b, v157, -v159
	v_rndne_f32_e32 v203, v159
	s_delay_alu instid0(TRANS32_DEP_1) | instskip(NEXT) | instid1(VALU_DEP_2)
	v_ldexp_f32 v156, v156, v158
	v_dual_fmac_f32 v202, 0x32a5705f, v157 :: v_dual_sub_f32 v159, v159, v203
	v_cvt_i32_f32_e32 v79, v203
	s_wait_alu 0xfffd
	s_delay_alu instid0(VALU_DEP_3) | instskip(SKIP_2) | instid1(VALU_DEP_1)
	v_cndmask_b32_e32 v156, 0, v156, vcc_lo
	v_cmp_nlt_f32_e32 vcc_lo, 0x42b17218, v78
	v_dual_add_f32 v159, v159, v202 :: v_dual_mul_f32 v202, 0x3fb8aa3b, v201
	v_exp_f32_e32 v159, v159
	s_delay_alu instid0(VALU_DEP_1) | instskip(SKIP_1) | instid1(VALU_DEP_2)
	v_fma_f32 v204, 0x3fb8aa3b, v201, -v202
	v_rndne_f32_e32 v205, v202
	v_fmac_f32_e32 v204, 0x32a5705f, v201
	s_delay_alu instid0(VALU_DEP_2) | instskip(SKIP_1) | instid1(TRANS32_DEP_1)
	v_sub_f32_e32 v202, v202, v205
	v_cvt_i32_f32_e32 v158, v205
	v_ldexp_f32 v79, v159, v79
	s_delay_alu instid0(VALU_DEP_3) | instskip(SKIP_1) | instid1(VALU_DEP_2)
	v_add_f32_e32 v202, v202, v204
	s_wait_alu 0xf1ff
	v_cndmask_b32_e64 v78, 0, v79, s3
	v_cmp_nlt_f32_e64 s3, 0x42b17218, v157
	s_delay_alu instid0(VALU_DEP_3) | instskip(SKIP_1) | instid1(VALU_DEP_1)
	v_exp_f32_e32 v159, v202
	s_wait_alu 0xf1ff
	v_cndmask_b32_e64 v77, 0x7f800000, v78, s3
	v_cmp_ngt_f32_e64 s3, 0xc2ce8ed0, v199
	s_delay_alu instid0(VALU_DEP_2) | instskip(NEXT) | instid1(TRANS32_DEP_1)
	v_cvt_f16_f32_e64 v157, v77
	v_ldexp_f32 v158, v159, v158
	s_delay_alu instid0(VALU_DEP_1) | instskip(SKIP_2) | instid1(VALU_DEP_1)
	v_cndmask_b32_e64 v79, 0, v158, s4
	v_cmp_nlt_f32_e64 s4, 0x42b17218, v201
	s_wait_alu 0xf1ff
	v_cndmask_b32_e64 v78, 0x7f800000, v79, s4
	s_wait_alu 0xfffd
	v_cndmask_b32_e32 v79, 0x7f800000, v156, vcc_lo
	v_cvt_f16_f32_e64 v156, v76
	s_delay_alu instid0(VALU_DEP_3) | instskip(NEXT) | instid1(VALU_DEP_3)
	v_cvt_f16_f32_e64 v158, v78
	v_cvt_f16_f32_e64 v201, v79
	s_delay_alu instid0(VALU_DEP_2) | instskip(NEXT) | instid1(VALU_DEP_2)
	v_pack_b32_f16 v159, v157, v158
	v_pack_b32_f16 v158, v156, v201
	v_sub_f32_e32 v156, v200, v191
	s_delay_alu instid0(VALU_DEP_1) | instskip(SKIP_1) | instid1(VALU_DEP_2)
	v_mul_f32_e32 v157, 0x3fb8aa3b, v156
	v_cmp_ngt_f32_e32 vcc_lo, 0xc2ce8ed0, v156
	v_fma_f32 v200, 0x3fb8aa3b, v156, -v157
	v_rndne_f32_e32 v201, v157
	s_delay_alu instid0(VALU_DEP_1) | instskip(SKIP_1) | instid1(VALU_DEP_2)
	v_dual_fmac_f32 v200, 0x32a5705f, v156 :: v_dual_sub_f32 v157, v157, v201
	v_cvt_i32_f32_e32 v201, v201
	v_dual_add_f32 v157, v157, v200 :: v_dual_mul_f32 v200, 0x3fb8aa3b, v199
	s_delay_alu instid0(VALU_DEP_1) | instskip(NEXT) | instid1(VALU_DEP_1)
	v_exp_f32_e32 v157, v157
	v_fma_f32 v202, 0x3fb8aa3b, v199, -v200
	v_rndne_f32_e32 v203, v200
	s_delay_alu instid0(VALU_DEP_2) | instskip(NEXT) | instid1(VALU_DEP_2)
	v_fmac_f32_e32 v202, 0x32a5705f, v199
	v_sub_f32_e32 v200, v200, v203
	s_delay_alu instid0(TRANS32_DEP_1) | instskip(SKIP_2) | instid1(VALU_DEP_2)
	v_ldexp_f32 v157, v157, v201
	v_cvt_i32_f32_e32 v201, v203
	s_wait_alu 0xfffd
	v_dual_add_f32 v200, v200, v202 :: v_dual_cndmask_b32 v157, 0, v157
	v_cmp_nlt_f32_e32 vcc_lo, 0x42b17218, v156
	s_delay_alu instid0(VALU_DEP_2) | instskip(NEXT) | instid1(TRANS32_DEP_1)
	v_exp_f32_e32 v200, v200
	v_ldexp_f32 v200, v200, v201
	s_delay_alu instid0(VALU_DEP_1) | instskip(SKIP_4) | instid1(VALU_DEP_2)
	v_cndmask_b32_e64 v156, 0, v200, s3
	v_cmp_nlt_f32_e64 s3, 0x42b17218, v199
	s_wait_alu 0xfffd
	v_cndmask_b32_e32 v200, 0x7f800000, v157, vcc_lo
	s_wait_alu 0xf1ff
	v_cndmask_b32_e64 v199, 0x7f800000, v156, s3
	s_delay_alu instid0(VALU_DEP_2) | instskip(SKIP_1) | instid1(VALU_DEP_3)
	v_cvt_f16_f32_e64 v157, v200
	v_cmp_ngt_f32_e64 s3, 0xc2ce8ed0, v197
	v_cvt_f16_f32_e64 v156, v199
	s_delay_alu instid0(VALU_DEP_1) | instskip(SKIP_1) | instid1(VALU_DEP_1)
	v_pack_b32_f16 v157, v156, v157
	v_sub_f32_e32 v156, v198, v191
	v_mul_f32_e32 v198, 0x3fb8aa3b, v156
	v_cmp_ngt_f32_e32 vcc_lo, 0xc2ce8ed0, v156
	s_delay_alu instid0(VALU_DEP_2) | instskip(SKIP_1) | instid1(VALU_DEP_1)
	v_fma_f32 v201, 0x3fb8aa3b, v156, -v198
	v_rndne_f32_e32 v202, v198
	v_dual_fmac_f32 v201, 0x32a5705f, v156 :: v_dual_sub_f32 v198, v198, v202
	v_cvt_i32_f32_e32 v202, v202
	s_delay_alu instid0(VALU_DEP_2) | instskip(SKIP_1) | instid1(VALU_DEP_2)
	v_add_f32_e32 v198, v198, v201
	v_mul_f32_e32 v201, 0x3fb8aa3b, v197
	v_exp_f32_e32 v198, v198
	s_delay_alu instid0(VALU_DEP_1) | instskip(SKIP_1) | instid1(VALU_DEP_2)
	v_fma_f32 v203, 0x3fb8aa3b, v197, -v201
	v_rndne_f32_e32 v204, v201
	v_fmac_f32_e32 v203, 0x32a5705f, v197
	s_delay_alu instid0(VALU_DEP_2) | instskip(NEXT) | instid1(TRANS32_DEP_1)
	v_sub_f32_e32 v201, v201, v204
	v_ldexp_f32 v198, v198, v202
	v_cvt_i32_f32_e32 v202, v204
	s_wait_alu 0xfffd
	s_delay_alu instid0(VALU_DEP_2) | instskip(SKIP_1) | instid1(VALU_DEP_2)
	v_dual_add_f32 v201, v201, v203 :: v_dual_cndmask_b32 v198, 0, v198
	v_cmp_nlt_f32_e32 vcc_lo, 0x42b17218, v156
	v_exp_f32_e32 v201, v201
	s_wait_alu 0xfffd
	s_delay_alu instid0(VALU_DEP_2) | instskip(NEXT) | instid1(TRANS32_DEP_1)
	v_cndmask_b32_e32 v198, 0x7f800000, v198, vcc_lo
	v_ldexp_f32 v201, v201, v202
	s_wait_alu 0xf1ff
	s_delay_alu instid0(VALU_DEP_1) | instskip(SKIP_3) | instid1(VALU_DEP_2)
	v_cndmask_b32_e64 v156, 0, v201, s3
	v_cmp_nlt_f32_e64 s3, 0x42b17218, v197
	v_cvt_f16_f32_e64 v201, v198
	s_wait_alu 0xf1ff
	v_cndmask_b32_e64 v197, 0x7f800000, v156, s3
	s_delay_alu instid0(VALU_DEP_1) | instskip(NEXT) | instid1(VALU_DEP_1)
	v_cvt_f16_f32_e64 v156, v197
	v_pack_b32_f16 v156, v156, v201
	s_delay_alu instid0(VALU_DEP_1) | instskip(SKIP_4) | instid1(VALU_DEP_4)
	v_wmma_f16_16x16x16_f16 v[12:15], v[72:75], v[156:159], v[12:15]
	v_add_f32_e32 v72, v222, v227
	v_wmma_f16_16x16x16_f16 v[8:11], v[137:140], v[156:159], v[8:11]
	v_wmma_f16_16x16x16_f16 v[4:7], v[152:155], v[156:159], v[4:7]
	;; [unrolled: 1-line block ×3, first 2 shown]
	v_add_f32_e32 v72, v223, v72
	s_delay_alu instid0(VALU_DEP_1) | instskip(NEXT) | instid1(VALU_DEP_1)
	v_add_f32_e32 v72, v224, v72
	v_add_f32_e32 v72, v225, v72
	s_delay_alu instid0(VALU_DEP_1) | instskip(NEXT) | instid1(VALU_DEP_1)
	v_add_f32_e32 v72, v226, v72
	v_add_f32_e32 v70, v70, v72
	s_delay_alu instid0(VALU_DEP_1) | instskip(NEXT) | instid1(VALU_DEP_1)
	v_dual_add_f32 v70, v71, v70 :: v_dual_mov_b32 v71, v190
	v_add_f32_e32 v70, v162, v70
	s_delay_alu instid0(VALU_DEP_1) | instskip(NEXT) | instid1(VALU_DEP_1)
	v_add_f32_e32 v70, v163, v70
	v_add_f32_e32 v70, v160, v70
	s_delay_alu instid0(VALU_DEP_1) | instskip(NEXT) | instid1(VALU_DEP_1)
	v_add_f32_e32 v70, v161, v70
	;; [unrolled: 3-line block ×12, first 2 shown]
	v_fmac_f32_e32 v190, v71, v221
	s_cbranch_scc1 .LBB0_80
	s_branch .LBB0_83
.LBB0_81:                               ;   in Loop: Header=BB0_9 Depth=1
	s_mov_b32 s39, 0
                                        ; implicit-def: $vgpr1
                                        ; implicit-def: $vgpr173
	s_cbranch_execnz .LBB0_181
	s_branch .LBB0_350
.LBB0_82:                               ;   in Loop: Header=BB0_9 Depth=1
	v_dual_mov_b32 v3, 0 :: v_dual_mov_b32 v190, 0
	v_mov_b32_e32 v7, 0
	s_delay_alu instid0(VALU_DEP_2) | instskip(SKIP_1) | instid1(VALU_DEP_3)
	v_dual_mov_b32 v191, 0xfeffffff :: v_dual_mov_b32 v2, v3
	v_dual_mov_b32 v0, v3 :: v_dual_mov_b32 v1, v3
	;; [unrolled: 1-line block ×7, first 2 shown]
	v_mov_b32_e32 v8, v7
.LBB0_83:                               ;   in Loop: Header=BB0_9 Depth=1
	s_lshl_b32 s4, s95, 6
	v_lshlrev_b32_e32 v70, 1, v92
	s_wait_alu 0xfffe
	s_ashr_i32 s5, s4, 31
	v_lshlrev_b64_e32 v[58:59], 1, v[58:59]
	s_wait_alu 0xfffe
	s_lshl_b64 s[0:1], s[4:5], 1
	v_lshlrev_b64_e32 v[54:55], 1, v[54:55]
	s_wait_alu 0xfffe
	s_add_nc_u64 s[0:1], s[80:81], s[0:1]
	v_lshlrev_b64_e32 v[62:63], 1, v[62:63]
	s_wait_alu 0xfffe
	v_add_co_u32 v74, s0, s0, v70
	s_wait_alu 0xf1ff
	v_add_co_ci_u32_e64 v75, null, s1, 0, s0
	v_lshlrev_b64_e32 v[60:61], 1, v[60:61]
	s_delay_alu instid0(VALU_DEP_3) | instskip(SKIP_1) | instid1(VALU_DEP_3)
	v_add_co_u32 v70, vcc_lo, v74, v58
	s_wait_alu 0xfffd
	v_add_co_ci_u32_e64 v71, null, v75, v59, vcc_lo
	v_add_co_u32 v72, vcc_lo, v74, v54
	s_wait_alu 0xfffd
	v_add_co_ci_u32_e64 v73, null, v75, v55, vcc_lo
	v_lshlrev_b64_e32 v[54:55], 1, v[64:65]
	v_lshlrev_b64_e32 v[58:59], 1, v[68:69]
	;; [unrolled: 1-line block ×4, first 2 shown]
	s_mul_u64 s[0:1], s[26:27], s[4:5]
	s_delay_alu instid0(VALU_DEP_4)
	v_add_co_u32 v54, vcc_lo, v74, v54
	s_wait_alu 0xfffd
	v_add_co_ci_u32_e64 v55, null, v75, v55, vcc_lo
	v_add_co_u32 v58, vcc_lo, v74, v58
	s_wait_alu 0xfffd
	v_add_co_ci_u32_e64 v59, null, v75, v59, vcc_lo
	;; [unrolled: 3-line block ×6, first 2 shown]
	s_clause 0x7
	global_load_b32 v66, v[70:71], off
	global_load_b32 v67, v[72:73], off
	;; [unrolled: 1-line block ×8, first 2 shown]
	v_add_nc_u32_e32 v54, v90, v94
	s_wait_alu 0xfffe
	s_lshl_b64 s[0:1], s[0:1], 2
	s_wait_alu 0xfffe
	s_add_nc_u64 s[0:1], s[78:79], s[0:1]
	v_add_nc_u32_e32 v57, 0x2400, v54
	s_wait_loadcnt 0x6
	ds_store_2addr_b32 v57, v66, v67 offset1:144
	v_add_nc_u32_e32 v57, 0x2800, v54
	s_wait_loadcnt 0x4
	ds_store_2addr_b32 v57, v55, v58 offset0:32 offset1:176
	v_add_nc_u32_e32 v55, 0x2c00, v54
	s_wait_loadcnt 0x2
	ds_store_2addr_b32 v55, v59, v62 offset0:64 offset1:208
	;; [unrolled: 3-line block ×3, first 2 shown]
	s_wait_alu 0xfffe
	v_add_co_u32 v55, vcc_lo, s0, v43
	s_wait_alu 0xfffd
	v_add_co_ci_u32_e64 v56, null, s1, v44, vcc_lo
	s_delay_alu instid0(VALU_DEP_2) | instskip(SKIP_1) | instid1(VALU_DEP_2)
	v_add_co_u32 v55, vcc_lo, v55, v136
	s_wait_alu 0xfffd
	v_add_co_ci_u32_e64 v56, null, 0, v56, vcc_lo
	v_add_co_u32 v57, vcc_lo, s0, v45
	s_wait_alu 0xfffd
	v_add_co_ci_u32_e64 v58, null, s1, v46, vcc_lo
	s_delay_alu instid0(VALU_DEP_2) | instskip(SKIP_1) | instid1(VALU_DEP_2)
	v_add_co_u32 v59, vcc_lo, v57, v136
	s_wait_alu 0xfffd
	v_add_co_ci_u32_e64 v60, null, 0, v58, vcc_lo
	s_clause 0x1
	global_load_b128 v[55:58], v[55:56], off
	global_load_b128 v[59:62], v[59:60], off
	s_wait_loadcnt 0x1
	ds_store_b128 v96, v[55:58]
	s_wait_loadcnt 0x0
	ds_store_b128 v100, v[59:62]
	v_add_co_u32 v55, vcc_lo, s0, v49
	s_wait_alu 0xfffd
	v_add_co_ci_u32_e64 v56, null, s1, v50, vcc_lo
	s_delay_alu instid0(VALU_DEP_2) | instskip(SKIP_1) | instid1(VALU_DEP_2)
	v_add_co_u32 v55, vcc_lo, v55, v136
	s_wait_alu 0xfffd
	v_add_co_ci_u32_e64 v56, null, 0, v56, vcc_lo
	v_add_co_u32 v57, vcc_lo, s0, v51
	s_wait_alu 0xfffd
	v_add_co_ci_u32_e64 v58, null, s1, v52, vcc_lo
	s_mul_u64 s[0:1], s[34:35], s[4:5]
	v_add_co_u32 v59, vcc_lo, v57, v136
	s_wait_alu 0xfffd
	v_add_co_ci_u32_e64 v60, null, 0, v58, vcc_lo
	s_clause 0x1
	global_load_b128 v[55:58], v[55:56], off
	global_load_b128 v[59:62], v[59:60], off
	v_cmp_lt_i32_e32 vcc_lo, v192, v193
	s_wait_alu 0xfffe
	s_lshl_b64 s[0:1], s[0:1], 2
	s_cmp_lg_u64 s[74:75], 0
	s_wait_alu 0xfffe
	s_add_nc_u64 s[0:1], s[76:77], s[0:1]
	s_wait_loadcnt 0x1
	ds_store_b128 v101, v[55:58]
	s_wait_loadcnt 0x0
	ds_store_b128 v102, v[59:62]
	s_wait_dscnt 0x0
	s_barrier_signal -1
	s_barrier_wait -1
	global_inv scope:SCOPE_SE
	ds_load_b128 v[63:66], v89
	ds_load_b128 v[67:70], v89 offset:32
	v_add_nc_u32_e32 v193, v106, v97
	s_wait_dscnt 0x1
	v_wmma_f32_16x16x16_f16 v[55:62], v[63:66], v[24:27], 0
	s_wait_dscnt 0x0
	s_delay_alu instid0(VALU_DEP_1)
	v_wmma_f32_16x16x16_f16 v[55:62], v[67:70], v[28:31], v[55:62]
	ds_load_b128 v[63:66], v89 offset:2304
	ds_load_b128 v[67:70], v89 offset:2336
	s_wait_dscnt 0x1
	v_wmma_f32_16x16x16_f16 v[148:155], v[63:66], v[24:27], 0
	s_wait_dscnt 0x0
	s_delay_alu instid0(VALU_DEP_1)
	v_wmma_f32_16x16x16_f16 v[148:155], v[67:70], v[28:31], v[148:155]
	ds_load_b128 v[63:66], v89 offset:4608
	ds_load_b128 v[67:70], v89 offset:4640
	;; [unrolled: 7-line block ×4, first 2 shown]
	s_wait_dscnt 0x1
	v_wmma_f32_16x16x16_f16 v[55:62], v[24:27], v[20:23], v[55:62]
	ds_load_b128 v[24:27], v89 offset:2368
	ds_load_b128 v[63:66], v89 offset:2400
	s_wait_dscnt 0x2
	v_wmma_f32_16x16x16_f16 v[55:62], v[28:31], v[16:19], v[55:62]
	s_wait_dscnt 0x1
	v_wmma_f32_16x16x16_f16 v[148:155], v[24:27], v[20:23], v[148:155]
	ds_load_b128 v[24:27], v89 offset:4672
	ds_load_b128 v[67:70], v89 offset:4704
	s_wait_dscnt 0x2
	v_wmma_f32_16x16x16_f16 v[148:155], v[63:66], v[16:19], v[148:155]
	s_wait_dscnt 0x1
	v_wmma_f32_16x16x16_f16 v[196:203], v[24:27], v[20:23], v[196:203]
	ds_load_b128 v[24:27], v89 offset:6976
	ds_load_b128 v[71:74], v89 offset:7008
	s_wait_loadcnt_dscnt 0x0
	s_barrier_signal -1
	s_barrier_wait -1
	v_wmma_f32_16x16x16_f16 v[196:203], v[67:70], v[16:19], v[196:203]
	global_inv scope:SCOPE_SE
	v_wmma_f32_16x16x16_f16 v[204:211], v[24:27], v[20:23], v[204:211]
	s_delay_alu instid0(VALU_DEP_1)
	v_wmma_f32_16x16x16_f16 v[204:211], v[71:74], v[16:19], v[204:211]
	v_add_nc_u32_e32 v16, 0x2400, v99
	v_add_nc_u32_e32 v18, 0x2400, v104
	ds_load_2addr_b32 v[16:17], v16 offset1:1
	ds_load_2addr_b32 v[18:19], v18 offset1:1
	ds_load_b32 v20, v103 offset:9216
	ds_load_b32 v23, v99 offset:9224
	s_wait_dscnt 0x3
	v_cvt_f32_f16_e32 v21, v16
	v_lshrrev_b32_e32 v16, 16, v16
	v_cvt_f32_f16_e32 v22, v17
	v_lshrrev_b32_e32 v17, 16, v17
	s_wait_dscnt 0x1
	v_lshrrev_b32_e32 v25, 16, v20
	v_cvt_f32_f16_e32 v20, v20
	v_cvt_f32_f16_e32 v16, v16
	v_add_f32_e32 v65, v55, v21
	v_cvt_f32_f16_e32 v17, v17
	v_cvt_f32_f16_e32 v25, v25
	v_add_f32_e32 v71, v61, v20
	v_add_f32_e32 v66, v56, v16
	v_add_nc_u32_e32 v16, 0x2400, v105
	v_add_f32_e32 v69, v58, v17
	v_add_f32_e32 v70, v62, v25
	v_lshrrev_b32_e32 v25, 16, v18
	v_cvt_f32_f16_e32 v26, v19
	ds_load_2addr_b32 v[16:17], v16 offset1:1
	s_wait_dscnt 0x1
	v_cvt_f32_f16_e32 v24, v23
	v_lshrrev_b32_e32 v23, 16, v23
	v_lshrrev_b32_e32 v27, 16, v19
	v_cvt_f32_f16_e32 v25, v25
	s_delay_alu instid0(VALU_DEP_4) | instskip(NEXT) | instid1(VALU_DEP_4)
	v_add_f32_e32 v195, v59, v24
	v_cvt_f32_f16_e32 v23, v23
	v_cvt_f32_f16_e32 v24, v18
	v_add_f32_e32 v68, v57, v22
	v_cvt_f32_f16_e32 v27, v27
	v_add_f32_e32 v58, v149, v25
	v_dual_add_f32 v194, v60, v23 :: v_dual_add_f32 v59, v150, v26
	v_add_f32_e32 v57, v148, v24
	s_wait_dscnt 0x0
	v_cvt_f32_f16_e32 v28, v16
	v_lshrrev_b32_e32 v16, 16, v16
	v_lshrrev_b32_e32 v29, 16, v17
	v_add_nc_u32_e32 v18, 0x2400, v107
	v_cvt_f32_f16_e32 v17, v17
	v_add_f32_e32 v67, v152, v28
	v_cvt_f32_f16_e32 v16, v16
	v_cvt_f32_f16_e32 v29, v29
	v_add_nc_u32_e32 v20, 0x2400, v108
	v_add_nc_u32_e32 v22, 0x2400, v109
	s_delay_alu instid0(VALU_DEP_4) | instskip(NEXT) | instid1(VALU_DEP_4)
	v_dual_add_f32 v62, v154, v17 :: v_dual_add_f32 v63, v153, v16
	v_add_f32_e32 v61, v155, v29
	ds_load_2addr_b32 v[18:19], v18 offset1:1
	ds_load_2addr_b32 v[20:21], v20 offset1:1
	;; [unrolled: 1-line block ×3, first 2 shown]
	s_wait_dscnt 0x2
	v_cvt_f32_f16_e32 v16, v18
	v_lshrrev_b32_e32 v17, 16, v18
	s_wait_dscnt 0x1
	v_lshrrev_b32_e32 v25, 16, v21
	v_add_f32_e32 v60, v151, v27
	v_cvt_f32_f16_e32 v18, v19
	v_lshrrev_b32_e32 v19, 16, v19
	v_cvt_f32_f16_e32 v17, v17
	v_cvt_f32_f16_e32 v26, v25
	v_dual_add_f32 v25, v196, v16 :: v_dual_add_nc_u32 v16, 0x2400, v110
	v_cvt_f32_f16_e32 v24, v20
	s_delay_alu instid0(VALU_DEP_4)
	v_dual_add_f32 v27, v197, v17 :: v_dual_add_f32 v28, v198, v18
	v_lshrrev_b32_e32 v20, 16, v20
	ds_load_2addr_b32 v[16:17], v16 offset1:1
	v_cvt_f32_f16_e32 v21, v21
	v_cvt_f32_f16_e32 v19, v19
	v_add_f32_e32 v56, v200, v24
	v_cvt_f32_f16_e32 v20, v20
	s_delay_alu instid0(VALU_DEP_4) | instskip(NEXT) | instid1(VALU_DEP_4)
	v_dual_add_f32 v30, v203, v26 :: v_dual_add_f32 v31, v202, v21
	v_add_f32_e32 v29, v199, v19
	s_wait_dscnt 0x1
	v_cvt_f32_f16_e32 v18, v22
	v_add_f32_e32 v55, v201, v20
	v_lshrrev_b32_e32 v19, 16, v22
	v_cvt_f32_f16_e32 v20, v23
	v_lshrrev_b32_e32 v21, 16, v23
	v_add_nc_u32_e32 v196, v106, v98
	s_delay_alu instid0(VALU_DEP_2)
	v_cvt_f32_f16_e32 v21, v21
	s_wait_dscnt 0x0
	v_cvt_f32_f16_e32 v22, v16
	v_lshrrev_b32_e32 v16, 16, v16
	v_lshrrev_b32_e32 v23, 16, v17
	v_cvt_f32_f16_e32 v26, v17
	v_cvt_f32_f16_e32 v17, v19
	v_add_f32_e32 v19, v206, v20
	v_cvt_f32_f16_e32 v64, v16
	v_cvt_f32_f16_e32 v72, v23
	v_add_f32_e32 v16, v204, v18
	v_add_f32_e32 v24, v208, v22
	;; [unrolled: 1-line block ×5, first 2 shown]
	v_dual_add_f32 v20, v207, v21 :: v_dual_add_f32 v23, v209, v64
	v_add_f32_e32 v64, 0x40051340, v69
	v_add_f32_e32 v17, v205, v17
	s_delay_alu instid0(VALU_DEP_4) | instskip(SKIP_2) | instid1(VALU_DEP_2)
	v_max3_num_f32 v18, v191, v18, v26
	v_add_f32_e32 v26, 0x40051340, v68
	v_add_f32_e32 v21, v211, v72
	v_max3_num_f32 v18, v18, v26, v64
	v_add_f32_e32 v26, 0x40051340, v195
	v_add_f32_e32 v64, 0x40051340, v194
	s_delay_alu instid0(VALU_DEP_1) | instskip(SKIP_2) | instid1(VALU_DEP_1)
	v_max3_num_f32 v18, v18, v26, v64
	v_add_f32_e32 v26, 0x40051340, v71
	v_add_f32_e32 v64, 0x40051340, v70
	v_max3_num_f32 v18, v18, v26, v64
	v_add_f32_e32 v26, 0x40051340, v57
	v_add_f32_e32 v64, 0x40051340, v58
	s_delay_alu instid0(VALU_DEP_1) | instskip(SKIP_2) | instid1(VALU_DEP_1)
	;; [unrolled: 7-line block ×7, first 2 shown]
	v_max3_num_f32 v18, v18, v26, v64
	v_add_f32_e32 v26, 0x40051340, v22
	v_add_f32_e32 v64, 0x40051340, v21
	v_max3_num_f32 v26, v18, v26, v64
	s_wait_alu 0xfffd
	v_cndmask_b32_e32 v18, v172, v192, vcc_lo
	s_delay_alu instid0(VALU_DEP_1) | instskip(SKIP_3) | instid1(VALU_DEP_1)
	v_lshlrev_b32_e32 v18, 2, v18
	ds_bpermute_b32 v64, v18, v26
	s_wait_dscnt 0x0
	v_max_num_f32_e32 v64, v64, v64
	v_max_num_f32_e32 v26, v26, v64
	s_delay_alu instid0(VALU_DEP_1) | instskip(NEXT) | instid1(VALU_DEP_1)
	v_sub_f32_e32 v64, v191, v26
	v_dual_sub_f32 v71, v71, v26 :: v_dual_mul_f32 v72, 0x3fb8aa3b, v64
	v_cmp_ngt_f32_e32 vcc_lo, 0xc2ce8ed0, v64
	s_delay_alu instid0(VALU_DEP_2) | instskip(NEXT) | instid1(VALU_DEP_3)
	v_cmp_ngt_f32_e64 s3, 0xc2ce8ed0, v71
	v_fma_f32 v73, 0x3fb8aa3b, v64, -v72
	v_rndne_f32_e32 v74, v72
	s_delay_alu instid0(VALU_DEP_1) | instskip(NEXT) | instid1(VALU_DEP_1)
	v_dual_fmac_f32 v73, 0x32a5705f, v64 :: v_dual_sub_f32 v72, v72, v74
	v_add_f32_e32 v72, v72, v73
	v_cvt_i32_f32_e32 v73, v74
	s_delay_alu instid0(VALU_DEP_2) | instskip(NEXT) | instid1(TRANS32_DEP_1)
	v_exp_f32_e32 v72, v72
	v_ldexp_f32 v72, v72, v73
	s_wait_alu 0xfffd
	s_delay_alu instid0(VALU_DEP_1) | instskip(SKIP_2) | instid1(VALU_DEP_2)
	v_cndmask_b32_e32 v72, 0, v72, vcc_lo
	v_cmp_nlt_f32_e32 vcc_lo, 0x42b17218, v64
	s_wait_alu 0xfffd
	v_cndmask_b32_e32 v72, 0x7f800000, v72, vcc_lo
	v_cmp_le_f32_e32 vcc_lo, 0xc1a00000, v64
	s_wait_alu 0xfffd
	s_delay_alu instid0(VALU_DEP_2) | instskip(NEXT) | instid1(VALU_DEP_1)
	v_cndmask_b32_e32 v64, 0, v72, vcc_lo
	v_cvt_f16_f32_e32 v72, v64
	s_delay_alu instid0(VALU_DEP_1) | instskip(NEXT) | instid1(VALU_DEP_1)
	v_and_b32_e32 v72, 0xffff, v72
	v_mul_u32_u24_e32 v72, 0x10001, v72
	s_delay_alu instid0(VALU_DEP_1)
	v_pk_mul_f16 v8, v8, v72
	v_pk_mul_f16 v9, v9, v72
	;; [unrolled: 1-line block ×16, first 2 shown]
	s_wait_alu 0xfffe
	v_add_co_u32 v72, vcc_lo, s0, v35
	s_wait_alu 0xfffd
	v_add_co_ci_u32_e64 v73, null, s1, v36, vcc_lo
	s_delay_alu instid0(VALU_DEP_2) | instskip(SKIP_1) | instid1(VALU_DEP_2)
	v_add_co_u32 v72, vcc_lo, v72, v136
	s_wait_alu 0xfffd
	v_add_co_ci_u32_e64 v73, null, 0, v73, vcc_lo
	v_add_co_u32 v74, vcc_lo, s0, v37
	s_wait_alu 0xfffd
	v_add_co_ci_u32_e64 v75, null, s1, v38, vcc_lo
	s_delay_alu instid0(VALU_DEP_2) | instskip(SKIP_1) | instid1(VALU_DEP_2)
	v_add_co_u32 v76, vcc_lo, v74, v136
	s_wait_alu 0xfffd
	v_add_co_ci_u32_e64 v77, null, 0, v75, vcc_lo
	s_clause 0x1
	global_load_b128 v[72:75], v[72:73], off
	global_load_b128 v[137:140], v[76:77], off
	s_wait_loadcnt 0x1
	ds_store_b128 v96, v[72:75]
	s_wait_loadcnt 0x0
	ds_store_b128 v100, v[137:140]
	v_add_co_u32 v72, vcc_lo, s0, v39
	s_wait_alu 0xfffd
	v_add_co_ci_u32_e64 v73, null, s1, v40, vcc_lo
	s_delay_alu instid0(VALU_DEP_2) | instskip(SKIP_1) | instid1(VALU_DEP_2)
	v_add_co_u32 v72, vcc_lo, v72, v136
	s_wait_alu 0xfffd
	v_add_co_ci_u32_e64 v73, null, 0, v73, vcc_lo
	v_add_co_u32 v74, vcc_lo, s0, v41
	s_wait_alu 0xfffd
	v_add_co_ci_u32_e64 v75, null, s1, v42, vcc_lo
	s_delay_alu instid0(VALU_DEP_2) | instskip(SKIP_1) | instid1(VALU_DEP_2)
	v_add_co_u32 v76, vcc_lo, v74, v136
	s_wait_alu 0xfffd
	v_add_co_ci_u32_e64 v77, null, 0, v75, vcc_lo
	s_clause 0x1
	global_load_b128 v[72:75], v[72:73], off
	global_load_b128 v[137:140], v[76:77], off
	s_wait_loadcnt 0x1
	ds_store_b128 v101, v[72:75]
	s_wait_loadcnt 0x0
	ds_store_b128 v102, v[137:140]
	s_wait_dscnt 0x0
	s_barrier_signal -1
	s_barrier_wait -1
	global_inv scope:SCOPE_SE
	ds_load_2addr_b32 v[75:76], v111 offset0:72 offset1:88
	ds_load_2addr_b32 v[77:78], v111 offset0:108 offset1:124
	;; [unrolled: 1-line block ×4, first 2 shown]
	s_wait_dscnt 0x2
	v_perm_b32 v73, v77, v75, 0x7060302
	v_perm_b32 v138, v77, v75, 0x5040100
	v_perm_b32 v149, v78, v76, 0x7060302
	v_perm_b32 v153, v78, v76, 0x5040100
	ds_load_2addr_b32 v[75:76], v111 offset1:16
	ds_load_2addr_b32 v[77:78], v111 offset0:36 offset1:52
	s_wait_dscnt 0x2
	v_perm_b32 v74, v150, v139, 0x7060302
	v_perm_b32 v139, v150, v139, 0x5040100
	v_perm_b32 v150, v151, v140, 0x7060302
	v_perm_b32 v154, v151, v140, 0x5040100
	s_wait_dscnt 0x0
	v_perm_b32 v72, v77, v75, 0x7060302
	v_perm_b32 v137, v77, v75, 0x5040100
	;; [unrolled: 1-line block ×4, first 2 shown]
	ds_load_2addr_b32 v[76:77], v193 offset1:16
	ds_load_2addr_b32 v[78:79], v196 offset1:16
	s_wait_dscnt 0x0
	v_perm_b32 v75, v78, v76, 0x7060302
	v_perm_b32 v140, v78, v76, 0x5040100
	v_sub_f32_e32 v76, v195, v26
	v_perm_b32 v155, v79, v77, 0x5040100
	v_perm_b32 v151, v79, v77, 0x7060302
	s_delay_alu instid0(VALU_DEP_3) | instskip(SKIP_1) | instid1(VALU_DEP_2)
	v_mul_f32_e32 v77, 0x3fb8aa3b, v76
	v_cmp_ngt_f32_e64 s5, 0xc2ce8ed0, v76
	v_fma_f32 v78, 0x3fb8aa3b, v76, -v77
	v_rndne_f32_e32 v79, v77
	s_delay_alu instid0(VALU_DEP_1) | instskip(SKIP_1) | instid1(VALU_DEP_2)
	v_dual_fmac_f32 v78, 0x32a5705f, v76 :: v_dual_sub_f32 v77, v77, v79
	v_cvt_i32_f32_e32 v79, v79
	v_add_f32_e32 v77, v77, v78
	v_sub_f32_e32 v78, v194, v26
	s_delay_alu instid0(VALU_DEP_2) | instskip(NEXT) | instid1(VALU_DEP_1)
	v_exp_f32_e32 v77, v77
	v_mul_f32_e32 v156, 0x3fb8aa3b, v78
	v_cmp_ngt_f32_e32 vcc_lo, 0xc2ce8ed0, v78
	s_delay_alu instid0(VALU_DEP_2) | instskip(SKIP_1) | instid1(TRANS32_DEP_1)
	v_fma_f32 v157, 0x3fb8aa3b, v78, -v156
	v_rndne_f32_e32 v158, v156
	v_ldexp_f32 v77, v77, v79
	s_delay_alu instid0(VALU_DEP_3) | instskip(NEXT) | instid1(VALU_DEP_3)
	v_fmac_f32_e32 v157, 0x32a5705f, v78
	v_sub_f32_e32 v156, v156, v158
	s_delay_alu instid0(VALU_DEP_1) | instskip(NEXT) | instid1(VALU_DEP_1)
	v_dual_add_f32 v156, v156, v157 :: v_dual_mul_f32 v157, 0x3fb8aa3b, v71
	v_exp_f32_e32 v79, v156
	s_delay_alu instid0(VALU_DEP_1) | instskip(SKIP_2) | instid1(VALU_DEP_3)
	v_fma_f32 v159, 0x3fb8aa3b, v71, -v157
	v_rndne_f32_e32 v160, v157
	v_cvt_i32_f32_e32 v156, v158
	v_fmac_f32_e32 v159, 0x32a5705f, v71
	s_delay_alu instid0(VALU_DEP_3)
	v_dual_sub_f32 v157, v157, v160 :: v_dual_sub_f32 v70, v70, v26
	v_sub_f32_e32 v69, v69, v26
	s_delay_alu instid0(TRANS32_DEP_1) | instid1(VALU_DEP_4)
	v_ldexp_f32 v79, v79, v156
	v_sub_f32_e32 v31, v31, v26
	s_delay_alu instid0(VALU_DEP_4)
	v_add_f32_e32 v157, v157, v159
	v_mul_f32_e32 v159, 0x3fb8aa3b, v70
	v_cmp_ngt_f32_e64 s4, 0xc2ce8ed0, v70
	s_wait_alu 0xfffd
	v_cndmask_b32_e32 v79, 0, v79, vcc_lo
	v_cmp_nlt_f32_e32 vcc_lo, 0x42b17218, v78
	v_exp_f32_e32 v156, v157
	v_fma_f32 v161, 0x3fb8aa3b, v70, -v159
	v_rndne_f32_e32 v162, v159
	v_cvt_i32_f32_e32 v157, v160
	s_wait_alu 0xfffd
	v_cndmask_b32_e32 v192, 0x7f800000, v79, vcc_lo
	v_sub_f32_e32 v62, v62, v26
	v_fmac_f32_e32 v161, 0x32a5705f, v70
	v_sub_f32_e32 v159, v159, v162
	v_cvt_i32_f32_e32 v158, v162
	v_cvt_f16_f32_e64 v79, v192
	v_ldexp_f32 v156, v156, v157
	v_sub_f32_e32 v63, v63, v26
	v_add_f32_e32 v159, v159, v161
	v_sub_f32_e32 v61, v61, v26
	v_sub_f32_e32 v68, v68, v26
	s_wait_alu 0xf1ff
	v_cndmask_b32_e64 v78, 0, v156, s3
	v_cmp_nlt_f32_e64 s3, 0x42b17218, v71
	v_exp_f32_e32 v157, v159
	v_cmp_ngt_f32_e32 vcc_lo, 0xc2ce8ed0, v69
	v_sub_f32_e32 v66, v66, v26
	v_sub_f32_e32 v59, v59, v26
	;; [unrolled: 1-line block ×8, first 2 shown]
	v_ldexp_f32 v157, v157, v158
	v_sub_f32_e32 v30, v30, v26
	v_sub_f32_e32 v55, v55, v26
	;; [unrolled: 1-line block ×4, first 2 shown]
	v_cndmask_b32_e64 v71, 0, v157, s4
	v_cmp_nlt_f32_e64 s4, 0x42b17218, v70
	v_cndmask_b32_e64 v70, 0, v77, s5
	v_cmp_nlt_f32_e64 s5, 0x42b17218, v76
	v_sub_f32_e32 v27, v27, v26
	v_sub_f32_e32 v25, v25, v26
	s_wait_alu 0xf1ff
	v_cndmask_b32_e64 v71, 0x7f800000, v71, s4
	v_cmp_ngt_f32_e64 s4, 0xc2ce8ed0, v61
	v_cndmask_b32_e64 v191, 0x7f800000, v70, s5
	v_cndmask_b32_e64 v70, 0x7f800000, v78, s3
	v_cmp_ngt_f32_e64 s3, 0xc2ce8ed0, v68
	v_cvt_f16_f32_e32 v78, v71
	v_cmp_ngt_f32_e64 s5, 0xc2ce8ed0, v67
	v_cvt_f16_f32_e64 v76, v191
	v_cvt_f16_f32_e32 v77, v70
	v_sub_f32_e32 v23, v23, v26
	v_sub_f32_e32 v21, v21, v26
	;; [unrolled: 1-line block ×3, first 2 shown]
	v_pack_b32_f16 v158, v76, v79
	v_mul_f32_e32 v76, 0x3fb8aa3b, v69
	v_pack_b32_f16 v159, v77, v78
	v_sub_f32_e32 v19, v19, v26
	v_sub_f32_e32 v17, v17, v26
	s_delay_alu instid0(VALU_DEP_4) | instskip(SKIP_1) | instid1(VALU_DEP_1)
	v_fma_f32 v77, 0x3fb8aa3b, v69, -v76
	v_rndne_f32_e32 v78, v76
	v_dual_fmac_f32 v77, 0x32a5705f, v69 :: v_dual_sub_f32 v76, v76, v78
	v_cvt_i32_f32_e32 v78, v78
	s_delay_alu instid0(VALU_DEP_2) | instskip(NEXT) | instid1(VALU_DEP_1)
	v_dual_add_f32 v76, v76, v77 :: v_dual_mul_f32 v77, 0x3fb8aa3b, v68
	v_exp_f32_e32 v76, v76
	s_delay_alu instid0(VALU_DEP_1) | instskip(SKIP_1) | instid1(VALU_DEP_2)
	v_fma_f32 v79, 0x3fb8aa3b, v68, -v77
	v_rndne_f32_e32 v156, v77
	v_fmac_f32_e32 v79, 0x32a5705f, v68
	s_delay_alu instid0(VALU_DEP_2) | instskip(NEXT) | instid1(TRANS32_DEP_1)
	v_sub_f32_e32 v77, v77, v156
	v_ldexp_f32 v76, v76, v78
	v_cvt_i32_f32_e32 v78, v156
	s_wait_alu 0xfffd
	s_delay_alu instid0(VALU_DEP_2) | instskip(SKIP_1) | instid1(VALU_DEP_2)
	v_dual_add_f32 v77, v77, v79 :: v_dual_cndmask_b32 v76, 0, v76
	v_cmp_nlt_f32_e32 vcc_lo, 0x42b17218, v69
	v_exp_f32_e32 v77, v77
	s_delay_alu instid0(TRANS32_DEP_1) | instskip(SKIP_1) | instid1(VALU_DEP_1)
	v_ldexp_f32 v77, v77, v78
	s_wait_alu 0xf1ff
	v_cndmask_b32_e64 v69, 0, v77, s3
	v_cmp_nlt_f32_e64 s3, 0x42b17218, v68
	s_wait_alu 0xf1ff
	s_delay_alu instid0(VALU_DEP_1)
	v_cndmask_b32_e64 v68, 0x7f800000, v69, s3
	s_wait_alu 0xfffd
	v_cndmask_b32_e32 v69, 0x7f800000, v76, vcc_lo
	v_cmp_ngt_f32_e32 vcc_lo, 0xc2ce8ed0, v66
	v_cmp_ngt_f32_e64 s3, 0xc2ce8ed0, v65
	v_sub_f32_e32 v22, v22, v26
	v_cvt_f16_f32_e32 v76, v68
	v_cvt_f16_f32_e32 v77, v69
	s_delay_alu instid0(VALU_DEP_1) | instskip(SKIP_1) | instid1(VALU_DEP_1)
	v_pack_b32_f16 v157, v76, v77
	v_mul_f32_e32 v76, 0x3fb8aa3b, v66
	v_fma_f32 v77, 0x3fb8aa3b, v66, -v76
	v_rndne_f32_e32 v78, v76
	s_delay_alu instid0(VALU_DEP_2) | instskip(NEXT) | instid1(VALU_DEP_2)
	v_fmac_f32_e32 v77, 0x32a5705f, v66
	v_sub_f32_e32 v76, v76, v78
	v_cvt_i32_f32_e32 v78, v78
	s_delay_alu instid0(VALU_DEP_2) | instskip(SKIP_1) | instid1(VALU_DEP_2)
	v_add_f32_e32 v76, v76, v77
	v_mul_f32_e32 v77, 0x3fb8aa3b, v65
	v_exp_f32_e32 v76, v76
	s_delay_alu instid0(VALU_DEP_1) | instskip(SKIP_1) | instid1(VALU_DEP_2)
	v_fma_f32 v79, 0x3fb8aa3b, v65, -v77
	v_rndne_f32_e32 v156, v77
	v_fmac_f32_e32 v79, 0x32a5705f, v65
	s_delay_alu instid0(VALU_DEP_2) | instskip(NEXT) | instid1(TRANS32_DEP_1)
	v_sub_f32_e32 v77, v77, v156
	v_ldexp_f32 v76, v76, v78
	v_cvt_i32_f32_e32 v78, v156
	s_delay_alu instid0(VALU_DEP_3) | instskip(SKIP_1) | instid1(VALU_DEP_3)
	v_add_f32_e32 v77, v77, v79
	s_wait_alu 0xfffd
	v_dual_cndmask_b32 v76, 0, v76 :: v_dual_add_nc_u32 v79, 0x800, v111
	v_cmp_nlt_f32_e32 vcc_lo, 0x42b17218, v66
	s_delay_alu instid0(VALU_DEP_3) | instskip(NEXT) | instid1(TRANS32_DEP_1)
	v_exp_f32_e32 v77, v77
	v_ldexp_f32 v77, v77, v78
	s_wait_alu 0xf1ff
	s_delay_alu instid0(VALU_DEP_1) | instskip(SKIP_2) | instid1(VALU_DEP_1)
	v_cndmask_b32_e64 v66, 0, v77, s3
	v_cmp_nlt_f32_e64 s3, 0x42b17218, v65
	s_wait_alu 0xf1ff
	v_cndmask_b32_e64 v65, 0x7f800000, v66, s3
	s_wait_alu 0xfffd
	v_cndmask_b32_e32 v66, 0x7f800000, v76, vcc_lo
	v_cmp_ngt_f32_e32 vcc_lo, 0xc2ce8ed0, v63
	v_cmp_ngt_f32_e64 s3, 0xc2ce8ed0, v62
	v_cvt_f16_f32_e32 v76, v65
	s_delay_alu instid0(VALU_DEP_4) | instskip(NEXT) | instid1(VALU_DEP_1)
	v_cvt_f16_f32_e32 v77, v66
	v_pack_b32_f16 v156, v76, v77
	s_delay_alu instid0(VALU_DEP_1)
	v_wmma_f16_16x16x16_f16 v[12:15], v[72:75], v[156:159], v[12:15]
	v_add_nc_u32_e32 v72, 0xa00, v111
	v_wmma_f16_16x16x16_f16 v[8:11], v[137:140], v[156:159], v[8:11]
	v_wmma_f16_16x16x16_f16 v[0:3], v[148:151], v[156:159], v[0:3]
	ds_load_2addr_b32 v[75:76], v72 offset0:116 offset1:132
	ds_load_2addr_b32 v[77:78], v79 offset0:136 offset1:152
	;; [unrolled: 1-line block ×4, first 2 shown]
	v_wmma_f16_16x16x16_f16 v[4:7], v[152:155], v[156:159], v[4:7]
	s_wait_dscnt 0x1
	v_perm_b32 v73, v150, v77, 0x7060302
	s_wait_dscnt 0x0
	v_perm_b32 v74, v75, v139, 0x7060302
	v_perm_b32 v139, v75, v139, 0x5040100
	;; [unrolled: 1-line block ×7, first 2 shown]
	ds_load_2addr_b32 v[75:76], v79 offset0:64 offset1:80
	ds_load_2addr_b32 v[77:78], v79 offset0:100 offset1:116
	s_wait_dscnt 0x0
	v_perm_b32 v72, v77, v75, 0x7060302
	v_perm_b32 v137, v77, v75, 0x5040100
	v_add_nc_u32_e32 v75, 0x800, v193
	v_add_nc_u32_e32 v77, 0x800, v196
	v_perm_b32 v148, v78, v76, 0x7060302
	v_perm_b32 v152, v78, v76, 0x5040100
	ds_load_2addr_b32 v[75:76], v75 offset0:64 offset1:80
	ds_load_2addr_b32 v[77:78], v77 offset0:64 offset1:80
	s_wait_dscnt 0x0
	v_perm_b32 v155, v78, v76, 0x5040100
	v_perm_b32 v151, v78, v76, 0x7060302
	v_mul_f32_e32 v76, 0x3fb8aa3b, v67
	v_perm_b32 v140, v77, v75, 0x5040100
	v_perm_b32 v75, v77, v75, 0x7060302
	s_delay_alu instid0(VALU_DEP_3) | instskip(SKIP_1) | instid1(VALU_DEP_1)
	v_fma_f32 v77, 0x3fb8aa3b, v67, -v76
	v_rndne_f32_e32 v78, v76
	v_dual_fmac_f32 v77, 0x32a5705f, v67 :: v_dual_sub_f32 v76, v76, v78
	v_cvt_i32_f32_e32 v78, v78
	s_delay_alu instid0(VALU_DEP_2) | instskip(NEXT) | instid1(VALU_DEP_1)
	v_dual_add_f32 v76, v76, v77 :: v_dual_mul_f32 v77, 0x3fb8aa3b, v63
	v_exp_f32_e32 v76, v76
	s_delay_alu instid0(VALU_DEP_1) | instskip(SKIP_1) | instid1(VALU_DEP_2)
	v_fma_f32 v79, 0x3fb8aa3b, v63, -v77
	v_rndne_f32_e32 v156, v77
	v_fmac_f32_e32 v79, 0x32a5705f, v63
	s_delay_alu instid0(VALU_DEP_2) | instskip(NEXT) | instid1(TRANS32_DEP_1)
	v_sub_f32_e32 v77, v77, v156
	v_ldexp_f32 v76, v76, v78
	v_cvt_i32_f32_e32 v78, v156
	s_delay_alu instid0(VALU_DEP_3) | instskip(SKIP_1) | instid1(VALU_DEP_2)
	v_add_f32_e32 v77, v77, v79
	v_mul_f32_e32 v79, 0x3fb8aa3b, v62
	v_exp_f32_e32 v77, v77
	s_delay_alu instid0(VALU_DEP_1) | instskip(SKIP_1) | instid1(VALU_DEP_2)
	v_fma_f32 v157, 0x3fb8aa3b, v62, -v79
	v_rndne_f32_e32 v158, v79
	v_fmac_f32_e32 v157, 0x32a5705f, v62
	s_delay_alu instid0(VALU_DEP_2) | instskip(NEXT) | instid1(TRANS32_DEP_1)
	v_sub_f32_e32 v79, v79, v158
	v_ldexp_f32 v77, v77, v78
	s_delay_alu instid0(VALU_DEP_2) | instskip(SKIP_2) | instid1(VALU_DEP_3)
	v_add_f32_e32 v79, v79, v157
	v_mul_f32_e32 v157, 0x3fb8aa3b, v61
	s_wait_alu 0xfffd
	v_cndmask_b32_e32 v77, 0, v77, vcc_lo
	v_cmp_nlt_f32_e32 vcc_lo, 0x42b17218, v63
	v_exp_f32_e32 v78, v79
	v_fma_f32 v159, 0x3fb8aa3b, v61, -v157
	v_rndne_f32_e32 v160, v157
	v_cvt_i32_f32_e32 v79, v158
	s_delay_alu instid0(VALU_DEP_3) | instskip(NEXT) | instid1(VALU_DEP_3)
	v_fmac_f32_e32 v159, 0x32a5705f, v61
	v_sub_f32_e32 v157, v157, v160
	v_cvt_i32_f32_e32 v156, v160
	s_delay_alu instid0(TRANS32_DEP_1) | instid1(VALU_DEP_4)
	v_ldexp_f32 v78, v78, v79
	s_delay_alu instid0(VALU_DEP_3) | instskip(SKIP_1) | instid1(VALU_DEP_2)
	v_add_f32_e32 v157, v157, v159
	s_wait_alu 0xf1ff
	v_cndmask_b32_e64 v78, 0, v78, s3
	v_cmp_nlt_f32_e64 s3, 0x42b17218, v62
	s_delay_alu instid0(VALU_DEP_3) | instskip(NEXT) | instid1(TRANS32_DEP_1)
	v_exp_f32_e32 v79, v157
	v_ldexp_f32 v79, v79, v156
	s_delay_alu instid0(VALU_DEP_1)
	v_cndmask_b32_e64 v62, 0, v79, s4
	v_cmp_nlt_f32_e64 s4, 0x42b17218, v61
	v_cndmask_b32_e64 v61, 0, v76, s5
	v_cmp_nlt_f32_e64 s5, 0x42b17218, v67
	s_wait_alu 0xfffd
	v_cndmask_b32_e32 v67, 0x7f800000, v77, vcc_lo
	v_cmp_ngt_f32_e32 vcc_lo, 0xc2ce8ed0, v60
	s_wait_alu 0xf1ff
	v_cndmask_b32_e64 v62, 0x7f800000, v62, s4
	v_cmp_ngt_f32_e64 s4, 0xc2ce8ed0, v30
	v_cndmask_b32_e64 v63, 0x7f800000, v61, s5
	v_cndmask_b32_e64 v61, 0x7f800000, v78, s3
	v_cvt_f16_f32_e32 v79, v67
	v_cvt_f16_f32_e32 v78, v62
	v_cmp_ngt_f32_e64 s3, 0xc2ce8ed0, v59
	v_cvt_f16_f32_e32 v76, v63
	v_cvt_f16_f32_e32 v77, v61
	v_cmp_ngt_f32_e64 s5, 0xc2ce8ed0, v56
	v_sub_f32_e32 v16, v16, v26
	s_delay_alu instid0(VALU_DEP_4) | instskip(SKIP_2) | instid1(VALU_DEP_2)
	v_pack_b32_f16 v158, v76, v79
	v_mul_f32_e32 v76, 0x3fb8aa3b, v60
	v_pack_b32_f16 v159, v77, v78
	v_fma_f32 v77, 0x3fb8aa3b, v60, -v76
	v_rndne_f32_e32 v78, v76
	s_delay_alu instid0(VALU_DEP_1) | instskip(SKIP_1) | instid1(VALU_DEP_2)
	v_dual_fmac_f32 v77, 0x32a5705f, v60 :: v_dual_sub_f32 v76, v76, v78
	v_cvt_i32_f32_e32 v78, v78
	v_dual_add_f32 v76, v76, v77 :: v_dual_mul_f32 v77, 0x3fb8aa3b, v59
	s_delay_alu instid0(VALU_DEP_1) | instskip(NEXT) | instid1(VALU_DEP_1)
	v_exp_f32_e32 v76, v76
	v_fma_f32 v79, 0x3fb8aa3b, v59, -v77
	v_rndne_f32_e32 v156, v77
	s_delay_alu instid0(VALU_DEP_2) | instskip(NEXT) | instid1(VALU_DEP_2)
	v_fmac_f32_e32 v79, 0x32a5705f, v59
	v_sub_f32_e32 v77, v77, v156
	s_delay_alu instid0(TRANS32_DEP_1) | instskip(SKIP_2) | instid1(VALU_DEP_2)
	v_ldexp_f32 v76, v76, v78
	v_cvt_i32_f32_e32 v78, v156
	s_wait_alu 0xfffd
	v_dual_add_f32 v77, v77, v79 :: v_dual_cndmask_b32 v76, 0, v76
	v_cmp_nlt_f32_e32 vcc_lo, 0x42b17218, v60
	s_delay_alu instid0(VALU_DEP_2) | instskip(NEXT) | instid1(TRANS32_DEP_1)
	v_exp_f32_e32 v77, v77
	v_ldexp_f32 v77, v77, v78
	s_wait_alu 0xf1ff
	s_delay_alu instid0(VALU_DEP_1) | instskip(SKIP_2) | instid1(VALU_DEP_1)
	v_cndmask_b32_e64 v60, 0, v77, s3
	v_cmp_nlt_f32_e64 s3, 0x42b17218, v59
	s_wait_alu 0xf1ff
	v_cndmask_b32_e64 v59, 0x7f800000, v60, s3
	s_wait_alu 0xfffd
	v_cndmask_b32_e32 v60, 0x7f800000, v76, vcc_lo
	v_cmp_ngt_f32_e32 vcc_lo, 0xc2ce8ed0, v58
	v_cmp_ngt_f32_e64 s3, 0xc2ce8ed0, v57
	v_cvt_f16_f32_e32 v76, v59
	s_delay_alu instid0(VALU_DEP_4) | instskip(NEXT) | instid1(VALU_DEP_1)
	v_cvt_f16_f32_e32 v77, v60
	v_pack_b32_f16 v157, v76, v77
	v_mul_f32_e32 v76, 0x3fb8aa3b, v58
	s_delay_alu instid0(VALU_DEP_1) | instskip(SKIP_1) | instid1(VALU_DEP_2)
	v_fma_f32 v77, 0x3fb8aa3b, v58, -v76
	v_rndne_f32_e32 v78, v76
	v_fmac_f32_e32 v77, 0x32a5705f, v58
	s_delay_alu instid0(VALU_DEP_2) | instskip(SKIP_1) | instid1(VALU_DEP_2)
	v_sub_f32_e32 v76, v76, v78
	v_cvt_i32_f32_e32 v78, v78
	v_add_f32_e32 v76, v76, v77
	v_mul_f32_e32 v77, 0x3fb8aa3b, v57
	s_delay_alu instid0(VALU_DEP_2) | instskip(NEXT) | instid1(VALU_DEP_1)
	v_exp_f32_e32 v76, v76
	v_fma_f32 v79, 0x3fb8aa3b, v57, -v77
	v_rndne_f32_e32 v156, v77
	s_delay_alu instid0(VALU_DEP_2) | instskip(NEXT) | instid1(VALU_DEP_2)
	v_fmac_f32_e32 v79, 0x32a5705f, v57
	v_sub_f32_e32 v77, v77, v156
	s_delay_alu instid0(TRANS32_DEP_1) | instskip(SKIP_2) | instid1(VALU_DEP_2)
	v_ldexp_f32 v76, v76, v78
	v_cvt_i32_f32_e32 v78, v156
	s_wait_alu 0xfffd
	v_dual_add_f32 v77, v77, v79 :: v_dual_cndmask_b32 v76, 0, v76
	v_cmp_nlt_f32_e32 vcc_lo, 0x42b17218, v58
	s_delay_alu instid0(VALU_DEP_2) | instskip(SKIP_1) | instid1(VALU_DEP_2)
	v_exp_f32_e32 v77, v77
	s_wait_alu 0xfffd
	v_cndmask_b32_e32 v161, 0x7f800000, v76, vcc_lo
	v_cmp_ngt_f32_e32 vcc_lo, 0xc2ce8ed0, v55
	v_sub_f32_e32 v20, v20, v26
	s_delay_alu instid0(TRANS32_DEP_1) | instskip(SKIP_1) | instid1(VALU_DEP_1)
	v_ldexp_f32 v77, v77, v78
	s_wait_alu 0xf1ff
	v_cndmask_b32_e64 v58, 0, v77, s3
	v_cmp_nlt_f32_e64 s3, 0x42b17218, v57
	s_wait_alu 0xf1ff
	s_delay_alu instid0(VALU_DEP_1) | instskip(SKIP_2) | instid1(VALU_DEP_3)
	v_cndmask_b32_e64 v160, 0x7f800000, v58, s3
	v_cvt_f16_f32_e64 v58, v161
	v_cmp_ngt_f32_e64 s3, 0xc2ce8ed0, v31
	v_cvt_f16_f32_e64 v57, v160
	s_delay_alu instid0(VALU_DEP_1) | instskip(SKIP_1) | instid1(VALU_DEP_2)
	v_pack_b32_f16 v156, v57, v58
	v_add_nc_u32_e32 v57, 0x1000, v193
	v_wmma_f16_16x16x16_f16 v[12:15], v[72:75], v[156:159], v[12:15]
	v_add_nc_u32_e32 v72, 0x1000, v196
	v_add_nc_u32_e32 v74, 0x1400, v111
	ds_load_2addr_b32 v[57:58], v57 offset0:128 offset1:144
	ds_load_2addr_b32 v[72:73], v72 offset0:128 offset1:144
	;; [unrolled: 1-line block ×4, first 2 shown]
	v_wmma_f16_16x16x16_f16 v[8:11], v[137:140], v[156:159], v[8:11]
	v_wmma_f16_16x16x16_f16 v[4:7], v[152:155], v[156:159], v[4:7]
	;; [unrolled: 1-line block ×3, first 2 shown]
	s_wait_dscnt 0x2
	v_perm_b32 v75, v72, v57, 0x5040100
	v_perm_b32 v140, v72, v57, 0x7060302
	v_add_nc_u32_e32 v72, 0x1000, v111
	s_wait_dscnt 0x0
	v_perm_b32 v74, v78, v76, 0x5040100
	v_perm_b32 v139, v78, v76, 0x7060302
	;; [unrolled: 1-line block ×6, first 2 shown]
	ds_load_2addr_b32 v[57:58], v72 offset0:200 offset1:216
	ds_load_2addr_b32 v[76:77], v72 offset0:236 offset1:252
	s_wait_dscnt 0x0
	v_perm_b32 v138, v76, v57, 0x7060302
	v_perm_b32 v73, v76, v57, 0x5040100
	v_perm_b32 v149, v77, v58, 0x7060302
	v_perm_b32 v153, v77, v58, 0x5040100
	ds_load_2addr_b32 v[57:58], v72 offset0:128 offset1:144
	ds_load_2addr_b32 v[76:77], v72 offset0:164 offset1:180
	s_wait_dscnt 0x0
	v_perm_b32 v137, v76, v57, 0x7060302
	v_perm_b32 v72, v76, v57, 0x5040100
	v_mul_f32_e32 v57, 0x3fb8aa3b, v56
	v_perm_b32 v148, v77, v58, 0x7060302
	v_perm_b32 v152, v77, v58, 0x5040100
	s_delay_alu instid0(VALU_DEP_3) | instskip(SKIP_1) | instid1(VALU_DEP_2)
	v_fma_f32 v58, 0x3fb8aa3b, v56, -v57
	v_rndne_f32_e32 v76, v57
	v_fmac_f32_e32 v58, 0x32a5705f, v56
	s_delay_alu instid0(VALU_DEP_2) | instskip(SKIP_1) | instid1(VALU_DEP_2)
	v_sub_f32_e32 v57, v57, v76
	v_cvt_i32_f32_e32 v76, v76
	v_dual_add_f32 v57, v57, v58 :: v_dual_mul_f32 v58, 0x3fb8aa3b, v55
	s_delay_alu instid0(VALU_DEP_1) | instskip(NEXT) | instid1(VALU_DEP_1)
	v_exp_f32_e32 v57, v57
	v_fma_f32 v77, 0x3fb8aa3b, v55, -v58
	v_rndne_f32_e32 v78, v58
	s_delay_alu instid0(VALU_DEP_1) | instskip(NEXT) | instid1(TRANS32_DEP_1)
	v_dual_fmac_f32 v77, 0x32a5705f, v55 :: v_dual_sub_f32 v58, v58, v78
	v_ldexp_f32 v57, v57, v76
	v_cvt_i32_f32_e32 v76, v78
	s_delay_alu instid0(VALU_DEP_3) | instskip(NEXT) | instid1(VALU_DEP_1)
	v_add_f32_e32 v58, v58, v77
	v_exp_f32_e32 v58, v58
	s_delay_alu instid0(TRANS32_DEP_1) | instskip(SKIP_2) | instid1(VALU_DEP_2)
	v_ldexp_f32 v58, v58, v76
	v_mul_f32_e32 v76, 0x3fb8aa3b, v31
	s_wait_alu 0xfffd
	v_cndmask_b32_e32 v58, 0, v58, vcc_lo
	s_delay_alu instid0(VALU_DEP_2) | instskip(SKIP_3) | instid1(VALU_DEP_3)
	v_fma_f32 v77, 0x3fb8aa3b, v31, -v76
	v_rndne_f32_e32 v78, v76
	v_cmp_nlt_f32_e32 vcc_lo, 0x42b17218, v55
	v_mul_f32_e32 v55, 0x3fb8aa3b, v30
	v_dual_fmac_f32 v77, 0x32a5705f, v31 :: v_dual_sub_f32 v76, v76, v78
	s_wait_alu 0xfffd
	v_cndmask_b32_e32 v158, 0x7f800000, v58, vcc_lo
	s_delay_alu instid0(VALU_DEP_3) | instskip(SKIP_3) | instid1(VALU_DEP_4)
	v_rndne_f32_e32 v79, v55
	v_cmp_ngt_f32_e32 vcc_lo, 0xc2ce8ed0, v29
	v_add_f32_e32 v76, v76, v77
	v_fma_f32 v77, 0x3fb8aa3b, v30, -v55
	v_sub_f32_e32 v55, v55, v79
	s_delay_alu instid0(VALU_DEP_3) | instskip(NEXT) | instid1(VALU_DEP_2)
	v_exp_f32_e32 v76, v76
	v_fmac_f32_e32 v77, 0x32a5705f, v30
	s_delay_alu instid0(VALU_DEP_1) | instskip(SKIP_1) | instid1(VALU_DEP_2)
	v_add_f32_e32 v55, v55, v77
	v_cvt_i32_f32_e32 v77, v78
	v_exp_f32_e32 v55, v55
	s_delay_alu instid0(TRANS32_DEP_2) | instid1(VALU_DEP_1)
	v_ldexp_f32 v76, v76, v77
	v_cvt_i32_f32_e32 v77, v79
	s_wait_alu 0xf1ff
	s_delay_alu instid0(VALU_DEP_2)
	v_cndmask_b32_e64 v76, 0, v76, s3
	v_cmp_nlt_f32_e64 s3, 0x42b17218, v31
	s_delay_alu instid0(TRANS32_DEP_1) | instid1(VALU_DEP_3)
	v_ldexp_f32 v55, v55, v77
	s_wait_alu 0xf1ff
	s_delay_alu instid0(VALU_DEP_2) | instskip(SKIP_1) | instid1(VALU_DEP_3)
	v_cndmask_b32_e64 v156, 0x7f800000, v76, s3
	v_cmp_ngt_f32_e64 s3, 0xc2ce8ed0, v28
	v_cndmask_b32_e64 v31, 0, v55, s4
	v_cmp_nlt_f32_e64 s4, 0x42b17218, v30
	v_cndmask_b32_e64 v30, 0, v57, s5
	v_cmp_nlt_f32_e64 s5, 0x42b17218, v56
	v_cvt_f16_f32_e64 v56, v158
	s_wait_alu 0xf1ff
	v_cndmask_b32_e64 v157, 0x7f800000, v31, s4
	v_cvt_f16_f32_e64 v31, v156
	v_cndmask_b32_e64 v79, 0x7f800000, v30, s5
	v_cmp_ngt_f32_e64 s4, 0xc2ce8ed0, v21
	v_cmp_ngt_f32_e64 s5, 0xc2ce8ed0, v24
	v_cvt_f16_f32_e64 v55, v157
	s_delay_alu instid0(VALU_DEP_4) | instskip(NEXT) | instid1(VALU_DEP_2)
	v_cvt_f16_f32_e32 v30, v79
	v_pack_b32_f16 v31, v31, v55
	v_mul_f32_e32 v55, 0x3fb8aa3b, v29
	s_delay_alu instid0(VALU_DEP_3) | instskip(NEXT) | instid1(VALU_DEP_2)
	v_pack_b32_f16 v30, v30, v56
	v_fma_f32 v56, 0x3fb8aa3b, v29, -v55
	v_rndne_f32_e32 v57, v55
	s_delay_alu instid0(VALU_DEP_2) | instskip(NEXT) | instid1(VALU_DEP_2)
	v_fmac_f32_e32 v56, 0x32a5705f, v29
	v_sub_f32_e32 v55, v55, v57
	v_cvt_i32_f32_e32 v57, v57
	s_delay_alu instid0(VALU_DEP_2) | instskip(SKIP_1) | instid1(VALU_DEP_2)
	v_add_f32_e32 v55, v55, v56
	v_mul_f32_e32 v56, 0x3fb8aa3b, v28
	v_exp_f32_e32 v55, v55
	s_delay_alu instid0(VALU_DEP_1) | instskip(SKIP_1) | instid1(VALU_DEP_2)
	v_fma_f32 v58, 0x3fb8aa3b, v28, -v56
	v_rndne_f32_e32 v76, v56
	v_fmac_f32_e32 v58, 0x32a5705f, v28
	s_delay_alu instid0(VALU_DEP_2) | instskip(NEXT) | instid1(TRANS32_DEP_1)
	v_sub_f32_e32 v56, v56, v76
	v_ldexp_f32 v55, v55, v57
	v_cvt_i32_f32_e32 v57, v76
	s_wait_alu 0xfffd
	s_delay_alu instid0(VALU_DEP_2) | instskip(SKIP_1) | instid1(VALU_DEP_2)
	v_dual_add_f32 v56, v56, v58 :: v_dual_cndmask_b32 v55, 0, v55
	v_cmp_nlt_f32_e32 vcc_lo, 0x42b17218, v29
	v_exp_f32_e32 v56, v56
	s_wait_alu 0xfffd
	s_delay_alu instid0(VALU_DEP_2) | instskip(SKIP_1) | instid1(TRANS32_DEP_1)
	v_cndmask_b32_e32 v162, 0x7f800000, v55, vcc_lo
	v_cmp_ngt_f32_e32 vcc_lo, 0xc2ce8ed0, v27
	v_ldexp_f32 v56, v56, v57
	s_delay_alu instid0(VALU_DEP_1) | instskip(SKIP_2) | instid1(VALU_DEP_1)
	v_cndmask_b32_e64 v29, 0, v56, s3
	v_cmp_nlt_f32_e64 s3, 0x42b17218, v28
	s_wait_alu 0xf1ff
	v_cndmask_b32_e64 v159, 0x7f800000, v29, s3
	v_cvt_f16_f32_e64 v29, v162
	v_cmp_ngt_f32_e64 s3, 0xc2ce8ed0, v25
	s_delay_alu instid0(VALU_DEP_3) | instskip(NEXT) | instid1(VALU_DEP_1)
	v_cvt_f16_f32_e64 v28, v159
	v_pack_b32_f16 v29, v28, v29
	v_mul_f32_e32 v28, 0x3fb8aa3b, v27
	s_delay_alu instid0(VALU_DEP_1) | instskip(SKIP_1) | instid1(VALU_DEP_1)
	v_fma_f32 v55, 0x3fb8aa3b, v27, -v28
	v_rndne_f32_e32 v56, v28
	v_dual_fmac_f32 v55, 0x32a5705f, v27 :: v_dual_sub_f32 v28, v28, v56
	v_cvt_i32_f32_e32 v56, v56
	s_delay_alu instid0(VALU_DEP_2) | instskip(NEXT) | instid1(VALU_DEP_1)
	v_dual_add_f32 v28, v28, v55 :: v_dual_mul_f32 v55, 0x3fb8aa3b, v25
	v_exp_f32_e32 v28, v28
	s_delay_alu instid0(VALU_DEP_1) | instskip(SKIP_1) | instid1(VALU_DEP_2)
	v_fma_f32 v57, 0x3fb8aa3b, v25, -v55
	v_rndne_f32_e32 v58, v55
	v_fmac_f32_e32 v57, 0x32a5705f, v25
	s_delay_alu instid0(VALU_DEP_2) | instskip(NEXT) | instid1(TRANS32_DEP_1)
	v_sub_f32_e32 v55, v55, v58
	v_ldexp_f32 v28, v28, v56
	v_cvt_i32_f32_e32 v56, v58
	s_wait_alu 0xfffd
	s_delay_alu instid0(VALU_DEP_2) | instskip(SKIP_1) | instid1(VALU_DEP_2)
	v_dual_add_f32 v55, v55, v57 :: v_dual_cndmask_b32 v28, 0, v28
	v_cmp_nlt_f32_e32 vcc_lo, 0x42b17218, v27
	v_exp_f32_e32 v55, v55
	s_wait_alu 0xfffd
	s_delay_alu instid0(VALU_DEP_2) | instskip(SKIP_1) | instid1(VALU_DEP_2)
	v_cndmask_b32_e32 v163, 0x7f800000, v28, vcc_lo
	v_cmp_ngt_f32_e32 vcc_lo, 0xc2ce8ed0, v23
	v_cvt_f16_f32_e64 v28, v163
	s_delay_alu instid0(TRANS32_DEP_1) | instskip(SKIP_1) | instid1(VALU_DEP_1)
	v_ldexp_f32 v55, v55, v56
	s_wait_alu 0xf1ff
	v_cndmask_b32_e64 v27, 0, v55, s3
	v_cmp_nlt_f32_e64 s3, 0x42b17218, v25
	s_wait_alu 0xf1ff
	s_delay_alu instid0(VALU_DEP_1) | instskip(SKIP_1) | instid1(VALU_DEP_2)
	v_cndmask_b32_e64 v25, 0x7f800000, v27, s3
	v_cmp_ngt_f32_e64 s3, 0xc2ce8ed0, v22
	v_cvt_f16_f32_e32 v27, v25
	s_delay_alu instid0(VALU_DEP_1) | instskip(SKIP_1) | instid1(VALU_DEP_2)
	v_pack_b32_f16 v28, v27, v28
	v_add_nc_u32_e32 v27, 0x1c00, v111
	v_wmma_f16_16x16x16_f16 v[8:11], v[72:75], v[28:31], v[8:11]
	v_wmma_f16_16x16x16_f16 v[12:15], v[137:140], v[28:31], v[12:15]
	v_wmma_f16_16x16x16_f16 v[4:7], v[152:155], v[28:31], v[4:7]
	v_wmma_f16_16x16x16_f16 v[0:3], v[148:151], v[28:31], v[0:3]
	ds_load_2addr_b32 v[30:31], v27 offset0:8 offset1:24
	ds_load_2addr_b32 v[74:75], v27 offset0:44 offset1:60
	;; [unrolled: 1-line block ×4, first 2 shown]
	v_add_nc_u32_e32 v27, 0x1800, v111
	s_wait_dscnt 0x2
	v_perm_b32 v28, v74, v30, 0x7060302
	v_perm_b32 v56, v74, v30, 0x5040100
	s_wait_dscnt 0x0
	v_perm_b32 v29, v76, v57, 0x7060302
	v_perm_b32 v57, v76, v57, 0x5040100
	;; [unrolled: 1-line block ×4, first 2 shown]
	ds_load_2addr_b32 v[30:31], v27 offset0:192 offset1:208
	ds_load_2addr_b32 v[75:76], v27 offset0:228 offset1:244
	v_perm_b32 v74, v77, v58, 0x7060302
	v_perm_b32 v139, v77, v58, 0x5040100
	s_wait_dscnt 0x0
	v_perm_b32 v27, v75, v30, 0x7060302
	v_perm_b32 v55, v75, v30, 0x5040100
	v_add_nc_u32_e32 v30, 0x1800, v193
	v_perm_b32 v72, v76, v31, 0x7060302
	v_perm_b32 v137, v76, v31, 0x5040100
	v_add_nc_u32_e32 v31, 0x1800, v196
	ds_load_2addr_b32 v[75:76], v30 offset0:192 offset1:208
	ds_load_2addr_b32 v[77:78], v31 offset0:192 offset1:208
	v_mul_f32_e32 v31, 0x3fb8aa3b, v24
	s_wait_loadcnt_dscnt 0x0
	s_barrier_signal -1
	s_barrier_wait -1
	global_inv scope:SCOPE_SE
	v_perm_b32 v30, v77, v75, 0x7060302
	v_perm_b32 v58, v77, v75, 0x5040100
	;; [unrolled: 1-line block ×4, first 2 shown]
	v_fma_f32 v76, 0x3fb8aa3b, v24, -v31
	v_rndne_f32_e32 v77, v31
	s_delay_alu instid0(VALU_DEP_1) | instskip(SKIP_1) | instid1(VALU_DEP_2)
	v_dual_fmac_f32 v76, 0x32a5705f, v24 :: v_dual_sub_f32 v31, v31, v77
	v_cvt_i32_f32_e32 v77, v77
	v_dual_add_f32 v31, v31, v76 :: v_dual_mul_f32 v76, 0x3fb8aa3b, v23
	s_delay_alu instid0(VALU_DEP_1) | instskip(NEXT) | instid1(VALU_DEP_1)
	v_exp_f32_e32 v31, v31
	v_fma_f32 v78, 0x3fb8aa3b, v23, -v76
	v_rndne_f32_e32 v148, v76
	s_delay_alu instid0(VALU_DEP_2) | instskip(NEXT) | instid1(VALU_DEP_2)
	v_fmac_f32_e32 v78, 0x32a5705f, v23
	v_sub_f32_e32 v76, v76, v148
	s_delay_alu instid0(TRANS32_DEP_1) | instskip(SKIP_1) | instid1(VALU_DEP_3)
	v_ldexp_f32 v31, v31, v77
	v_cvt_i32_f32_e32 v77, v148
	v_add_f32_e32 v76, v76, v78
	s_delay_alu instid0(VALU_DEP_1) | instskip(NEXT) | instid1(TRANS32_DEP_1)
	v_exp_f32_e32 v76, v76
	v_ldexp_f32 v76, v76, v77
	s_wait_alu 0xfffd
	s_delay_alu instid0(VALU_DEP_1) | instskip(NEXT) | instid1(VALU_DEP_1)
	v_dual_mul_f32 v77, 0x3fb8aa3b, v22 :: v_dual_cndmask_b32 v76, 0, v76
	v_fma_f32 v78, 0x3fb8aa3b, v22, -v77
	v_rndne_f32_e32 v148, v77
	v_cmp_nlt_f32_e32 vcc_lo, 0x42b17218, v23
	s_delay_alu instid0(VALU_DEP_2) | instskip(SKIP_3) | instid1(VALU_DEP_3)
	v_dual_fmac_f32 v78, 0x32a5705f, v22 :: v_dual_sub_f32 v77, v77, v148
	s_wait_alu 0xfffd
	v_cndmask_b32_e32 v76, 0x7f800000, v76, vcc_lo
	v_cmp_ngt_f32_e32 vcc_lo, 0xc2ce8ed0, v20
	v_dual_add_f32 v77, v77, v78 :: v_dual_mul_f32 v78, 0x3fb8aa3b, v21
	s_delay_alu instid0(VALU_DEP_1) | instskip(NEXT) | instid1(VALU_DEP_1)
	v_exp_f32_e32 v23, v77
	v_fma_f32 v149, 0x3fb8aa3b, v21, -v78
	v_rndne_f32_e32 v150, v78
	v_cvt_i32_f32_e32 v77, v148
	s_delay_alu instid0(VALU_DEP_2)
	v_dual_fmac_f32 v149, 0x32a5705f, v21 :: v_dual_sub_f32 v78, v78, v150
	s_delay_alu instid0(TRANS32_DEP_1) | instid1(VALU_DEP_2)
	v_ldexp_f32 v23, v23, v77
	s_delay_alu instid0(VALU_DEP_2) | instskip(SKIP_1) | instid1(VALU_DEP_2)
	v_add_f32_e32 v78, v78, v149
	s_wait_alu 0xf1ff
	v_cndmask_b32_e64 v23, 0, v23, s3
	v_cmp_nlt_f32_e64 s3, 0x42b17218, v22
	s_delay_alu instid0(VALU_DEP_3) | instskip(SKIP_2) | instid1(VALU_DEP_2)
	v_exp_f32_e32 v77, v78
	v_cvt_i32_f32_e32 v78, v150
	s_wait_alu 0xf1ff
	v_cndmask_b32_e64 v23, 0x7f800000, v23, s3
	v_cmp_ngt_f32_e64 s3, 0xc2ce8ed0, v19
	s_delay_alu instid0(TRANS32_DEP_1) | instid1(VALU_DEP_3)
	v_ldexp_f32 v77, v77, v78
	v_cvt_f16_f32_e32 v78, v76
	s_delay_alu instid0(VALU_DEP_2) | instskip(SKIP_4) | instid1(VALU_DEP_3)
	v_cndmask_b32_e64 v22, 0, v77, s4
	v_cmp_nlt_f32_e64 s4, 0x42b17218, v21
	v_cndmask_b32_e64 v21, 0, v31, s5
	v_cmp_nlt_f32_e64 s5, 0x42b17218, v24
	s_wait_alu 0xf1ff
	v_cndmask_b32_e64 v31, 0x7f800000, v22, s4
	v_cvt_f16_f32_e32 v22, v23
	s_delay_alu instid0(VALU_DEP_3) | instskip(NEXT) | instid1(VALU_DEP_3)
	v_cndmask_b32_e64 v24, 0x7f800000, v21, s5
	v_cvt_f16_f32_e32 v77, v31
	s_delay_alu instid0(VALU_DEP_2) | instskip(NEXT) | instid1(VALU_DEP_2)
	v_cvt_f16_f32_e32 v21, v24
	v_pack_b32_f16 v22, v22, v77
	v_mul_f32_e32 v77, 0x3fb8aa3b, v20
	s_delay_alu instid0(VALU_DEP_3) | instskip(NEXT) | instid1(VALU_DEP_2)
	v_pack_b32_f16 v21, v21, v78
	v_fma_f32 v78, 0x3fb8aa3b, v20, -v77
	v_rndne_f32_e32 v148, v77
	s_delay_alu instid0(VALU_DEP_2) | instskip(NEXT) | instid1(VALU_DEP_2)
	v_fmac_f32_e32 v78, 0x32a5705f, v20
	v_sub_f32_e32 v77, v77, v148
	v_cvt_i32_f32_e32 v148, v148
	s_delay_alu instid0(VALU_DEP_2) | instskip(NEXT) | instid1(VALU_DEP_1)
	v_dual_add_f32 v77, v77, v78 :: v_dual_mul_f32 v78, 0x3fb8aa3b, v19
	v_exp_f32_e32 v77, v77
	s_delay_alu instid0(VALU_DEP_1) | instskip(SKIP_1) | instid1(VALU_DEP_1)
	v_fma_f32 v149, 0x3fb8aa3b, v19, -v78
	v_rndne_f32_e32 v150, v78
	v_dual_fmac_f32 v149, 0x32a5705f, v19 :: v_dual_sub_f32 v78, v78, v150
	s_delay_alu instid0(TRANS32_DEP_1) | instskip(SKIP_1) | instid1(VALU_DEP_3)
	v_ldexp_f32 v77, v77, v148
	v_cvt_i32_f32_e32 v148, v150
	v_add_f32_e32 v78, v78, v149
	s_wait_alu 0xfffd
	s_delay_alu instid0(VALU_DEP_3) | instskip(SKIP_1) | instid1(VALU_DEP_3)
	v_cndmask_b32_e32 v77, 0, v77, vcc_lo
	v_cmp_nlt_f32_e32 vcc_lo, 0x42b17218, v20
	v_exp_f32_e32 v78, v78
	s_wait_alu 0xfffd
	s_delay_alu instid0(VALU_DEP_2) | instskip(SKIP_1) | instid1(TRANS32_DEP_1)
	v_cndmask_b32_e32 v77, 0x7f800000, v77, vcc_lo
	v_cmp_ngt_f32_e32 vcc_lo, 0xc2ce8ed0, v17
	v_ldexp_f32 v78, v78, v148
	s_delay_alu instid0(VALU_DEP_1) | instskip(SKIP_2) | instid1(VALU_DEP_1)
	v_cndmask_b32_e64 v20, 0, v78, s3
	v_cmp_nlt_f32_e64 s3, 0x42b17218, v19
	s_wait_alu 0xf1ff
	v_cndmask_b32_e64 v78, 0x7f800000, v20, s3
	v_cvt_f16_f32_e32 v20, v77
	v_cmp_ngt_f32_e64 s3, 0xc2ce8ed0, v16
	s_delay_alu instid0(VALU_DEP_3) | instskip(NEXT) | instid1(VALU_DEP_1)
	v_cvt_f16_f32_e32 v19, v78
	v_pack_b32_f16 v20, v19, v20
	v_mul_f32_e32 v19, 0x3fb8aa3b, v17
	s_delay_alu instid0(VALU_DEP_1) | instskip(SKIP_1) | instid1(VALU_DEP_2)
	v_fma_f32 v148, 0x3fb8aa3b, v17, -v19
	v_rndne_f32_e32 v149, v19
	v_fmac_f32_e32 v148, 0x32a5705f, v17
	s_delay_alu instid0(VALU_DEP_2) | instskip(SKIP_1) | instid1(VALU_DEP_2)
	v_sub_f32_e32 v19, v19, v149
	v_cvt_i32_f32_e32 v149, v149
	v_add_f32_e32 v19, v19, v148
	v_mul_f32_e32 v148, 0x3fb8aa3b, v16
	s_delay_alu instid0(VALU_DEP_2) | instskip(NEXT) | instid1(VALU_DEP_1)
	v_exp_f32_e32 v19, v19
	v_fma_f32 v150, 0x3fb8aa3b, v16, -v148
	v_rndne_f32_e32 v151, v148
	s_delay_alu instid0(VALU_DEP_2) | instskip(NEXT) | instid1(VALU_DEP_2)
	v_fmac_f32_e32 v150, 0x32a5705f, v16
	v_sub_f32_e32 v148, v148, v151
	s_delay_alu instid0(TRANS32_DEP_1) | instskip(SKIP_2) | instid1(VALU_DEP_2)
	v_ldexp_f32 v19, v19, v149
	v_cvt_i32_f32_e32 v149, v151
	s_wait_alu 0xfffd
	v_dual_add_f32 v148, v148, v150 :: v_dual_cndmask_b32 v19, 0, v19
	v_cmp_nlt_f32_e32 vcc_lo, 0x42b17218, v17
	s_delay_alu instid0(VALU_DEP_2) | instskip(NEXT) | instid1(TRANS32_DEP_1)
	v_exp_f32_e32 v148, v148
	v_ldexp_f32 v148, v148, v149
	s_wait_alu 0xf1ff
	s_delay_alu instid0(VALU_DEP_1) | instskip(SKIP_2) | instid1(VALU_DEP_1)
	v_cndmask_b32_e64 v17, 0, v148, s3
	v_cmp_nlt_f32_e64 s3, 0x42b17218, v16
	s_wait_alu 0xf1ff
	v_cndmask_b32_e64 v16, 0x7f800000, v17, s3
	s_wait_alu 0xfffd
	v_cndmask_b32_e32 v17, 0x7f800000, v19, vcc_lo
	s_delay_alu instid0(VALU_DEP_2) | instskip(NEXT) | instid1(VALU_DEP_2)
	v_cvt_f16_f32_e32 v19, v16
	v_cvt_f16_f32_e64 v148, v17
	s_delay_alu instid0(VALU_DEP_1) | instskip(NEXT) | instid1(VALU_DEP_1)
	v_pack_b32_f16 v19, v19, v148
	v_wmma_f16_16x16x16_f16 v[8:11], v[55:58], v[19:22], v[8:11]
	v_wmma_f16_16x16x16_f16 v[12:15], v[27:30], v[19:22], v[12:15]
	v_wmma_f16_16x16x16_f16 v[4:7], v[137:140], v[19:22], v[4:7]
	v_wmma_f16_16x16x16_f16 v[0:3], v[72:75], v[19:22], v[0:3]
	v_add_f32_e32 v19, v65, v66
	s_delay_alu instid0(VALU_DEP_1) | instskip(NEXT) | instid1(VALU_DEP_1)
	v_add_f32_e32 v19, v68, v19
	v_add_f32_e32 v19, v69, v19
	s_delay_alu instid0(VALU_DEP_1) | instskip(NEXT) | instid1(VALU_DEP_1)
	v_add_f32_e32 v19, v191, v19
	v_add_f32_e32 v19, v192, v19
	s_delay_alu instid0(VALU_DEP_1) | instskip(NEXT) | instid1(VALU_DEP_1)
	v_add_f32_e32 v19, v70, v19
	v_add_f32_e32 v19, v71, v19
	s_delay_alu instid0(VALU_DEP_1) | instskip(NEXT) | instid1(VALU_DEP_1)
	v_add_f32_e32 v19, v160, v19
	v_add_f32_e32 v19, v161, v19
	s_delay_alu instid0(VALU_DEP_1) | instskip(NEXT) | instid1(VALU_DEP_1)
	v_add_f32_e32 v19, v59, v19
	v_add_f32_e32 v19, v60, v19
	s_delay_alu instid0(VALU_DEP_1) | instskip(NEXT) | instid1(VALU_DEP_1)
	v_add_f32_e32 v19, v63, v19
	v_add_f32_e32 v19, v67, v19
	s_delay_alu instid0(VALU_DEP_1) | instskip(NEXT) | instid1(VALU_DEP_1)
	v_add_f32_e32 v19, v61, v19
	v_add_f32_e32 v19, v62, v19
	s_delay_alu instid0(VALU_DEP_1) | instskip(NEXT) | instid1(VALU_DEP_1)
	v_add_f32_e32 v19, v25, v19
	v_add_f32_e32 v19, v163, v19
	s_delay_alu instid0(VALU_DEP_1) | instskip(NEXT) | instid1(VALU_DEP_1)
	v_add_f32_e32 v19, v159, v19
	v_add_f32_e32 v19, v162, v19
	s_delay_alu instid0(VALU_DEP_1) | instskip(NEXT) | instid1(VALU_DEP_1)
	v_add_f32_e32 v19, v79, v19
	v_add_f32_e32 v19, v158, v19
	s_delay_alu instid0(VALU_DEP_1) | instskip(NEXT) | instid1(VALU_DEP_1)
	v_add_f32_e32 v19, v156, v19
	v_add_f32_e32 v19, v157, v19
	s_delay_alu instid0(VALU_DEP_1) | instskip(NEXT) | instid1(VALU_DEP_1)
	v_add_f32_e32 v16, v16, v19
	v_add_f32_e32 v16, v17, v16
	s_delay_alu instid0(VALU_DEP_1) | instskip(NEXT) | instid1(VALU_DEP_1)
	v_add_f32_e32 v16, v78, v16
	v_add_f32_e32 v16, v77, v16
	s_delay_alu instid0(VALU_DEP_1) | instskip(NEXT) | instid1(VALU_DEP_1)
	v_add_f32_e32 v16, v24, v16
	v_add_f32_e32 v16, v76, v16
	s_delay_alu instid0(VALU_DEP_1) | instskip(NEXT) | instid1(VALU_DEP_1)
	v_add_f32_e32 v16, v23, v16
	v_add_f32_e32 v16, v31, v16
	s_delay_alu instid0(VALU_DEP_1)
	v_fmac_f32_e32 v16, v190, v64
	ds_bpermute_b32 v17, v18, v16
	s_wait_dscnt 0x0
	v_add_f32_e32 v27, v16, v17
	s_cbranch_scc0 .LBB0_352
; %bb.84:                               ;   in Loop: Header=BB0_9 Depth=1
	v_lshlrev_b32_e32 v16, 2, v114
	global_load_b32 v16, v16, s[74:75]
	s_wait_loadcnt 0x0
	v_dual_max_num_f32 v17, v26, v26 :: v_dual_max_num_f32 v18, v16, v16
	s_delay_alu instid0(VALU_DEP_1) | instskip(NEXT) | instid1(VALU_DEP_1)
	v_max_num_f32_e32 v24, v17, v18
	v_sub_f32_e32 v17, v26, v24
	s_delay_alu instid0(VALU_DEP_1) | instskip(SKIP_1) | instid1(VALU_DEP_2)
	v_mul_f32_e32 v18, 0x3fb8aa3b, v17
	v_cmp_ngt_f32_e32 vcc_lo, 0xc2ce8ed0, v17
	v_fma_f32 v19, 0x3fb8aa3b, v17, -v18
	v_rndne_f32_e32 v20, v18
	s_delay_alu instid0(VALU_DEP_1) | instskip(SKIP_2) | instid1(VALU_DEP_2)
	v_dual_fmac_f32 v19, 0x32a5705f, v17 :: v_dual_sub_f32 v18, v18, v20
	v_sub_f32_e32 v16, v16, v24
	v_cvt_i32_f32_e32 v20, v20
	v_dual_add_f32 v18, v18, v19 :: v_dual_mul_f32 v19, 0x3fb8aa3b, v16
	s_delay_alu instid0(VALU_DEP_1) | instskip(SKIP_1) | instid1(VALU_DEP_2)
	v_fma_f32 v21, 0x3fb8aa3b, v16, -v19
	v_rndne_f32_e32 v22, v19
	v_fmac_f32_e32 v21, 0x32a5705f, v16
	s_delay_alu instid0(VALU_DEP_4) | instskip(NEXT) | instid1(VALU_DEP_2)
	v_exp_f32_e32 v18, v18
	v_sub_f32_e32 v19, v19, v22
	s_delay_alu instid0(VALU_DEP_1) | instskip(NEXT) | instid1(TRANS32_DEP_1)
	v_add_f32_e32 v19, v19, v21
	v_ldexp_f32 v18, v18, v20
	s_delay_alu instid0(VALU_DEP_2) | instskip(SKIP_1) | instid1(VALU_DEP_1)
	v_exp_f32_e32 v19, v19
	s_wait_alu 0xfffd
	v_cndmask_b32_e32 v18, 0, v18, vcc_lo
	v_cmp_nlt_f32_e32 vcc_lo, 0x42b17218, v17
	s_wait_alu 0xfffd
	s_delay_alu instid0(VALU_DEP_2) | instskip(SKIP_3) | instid1(VALU_DEP_3)
	v_cndmask_b32_e32 v18, 0x7f800000, v18, vcc_lo
	v_cmp_le_f32_e32 vcc_lo, 0xc1a00000, v17
	v_cvt_i32_f32_e32 v17, v22
	s_wait_alu 0xfffd
	v_cndmask_b32_e32 v59, 0, v18, vcc_lo
	s_delay_alu instid0(VALU_DEP_2) | instskip(SKIP_1) | instid1(VALU_DEP_3)
	v_ldexp_f32 v17, v19, v17
	v_cmp_ngt_f32_e32 vcc_lo, 0xc2ce8ed0, v16
	v_cvt_f16_f32_e32 v18, v59
	s_wait_alu 0xfffd
	s_delay_alu instid0(VALU_DEP_3) | instskip(SKIP_1) | instid1(VALU_DEP_3)
	v_cndmask_b32_e32 v17, 0, v17, vcc_lo
	v_cmp_nlt_f32_e32 vcc_lo, 0x42b17218, v16
	v_and_b32_e32 v18, 0xffff, v18
	s_wait_alu 0xfffd
	s_delay_alu instid0(VALU_DEP_3) | instskip(NEXT) | instid1(VALU_DEP_2)
	v_cndmask_b32_e32 v25, 0x7f800000, v17, vcc_lo
	v_mul_u32_u24_e32 v19, 0x10001, v18
	s_delay_alu instid0(VALU_DEP_2) | instskip(NEXT) | instid1(VALU_DEP_2)
	v_fmac_f32_e32 v25, v27, v59
	v_pk_mul_f16 v58, v8, v19
	v_pk_mul_f16 v57, v9, v19
	;; [unrolled: 1-line block ×16, first 2 shown]
	s_cbranch_execnz .LBB0_86
.LBB0_85:                               ;   in Loop: Header=BB0_9 Depth=1
	v_dual_mov_b32 v23, v15 :: v_dual_mov_b32 v22, v14
	v_dual_mov_b32 v19, v3 :: v_dual_mov_b32 v18, v2
	;; [unrolled: 1-line block ×9, first 2 shown]
.LBB0_86:                               ;   in Loop: Header=BB0_9 Depth=1
	s_wait_loadcnt 0x0
	s_barrier_signal -1
	s_barrier_wait -1
	global_inv scope:SCOPE_SE
	s_and_saveexec_b32 s0, s2
	s_cbranch_execz .LBB0_88
; %bb.87:                               ;   in Loop: Header=BB0_9 Depth=1
	scratch_load_b64 v[0:1], off, off       ; 8-byte Folded Reload
	s_wait_loadcnt 0x0
	global_store_b64 v[0:1], v[24:25], off
.LBB0_88:                               ;   in Loop: Header=BB0_9 Depth=1
	s_wait_alu 0xfffe
	s_or_b32 exec_lo, exec_lo, s0
	v_perm_b32 v0, v20, v58, 0x5040100
	v_perm_b32 v1, v20, v58, 0x7060302
	v_add_nc_u32_e32 v8, v129, v130
	v_perm_b32 v2, v21, v57, 0x5040100
	v_perm_b32 v3, v21, v57, 0x7060302
	;; [unrolled: 1-line block ×6, first 2 shown]
	v_cmp_gt_i32_e64 s3, s24, v189
	v_cmp_gt_i32_e64 s4, s94, v174
	v_perm_b32 v9, v16, v31, 0x5040100
	v_perm_b32 v10, v16, v31, 0x7060302
	;; [unrolled: 1-line block ×8, first 2 shown]
	ds_store_2addr_b32 v8, v0, v1 offset1:1
	ds_store_2addr_b32 v8, v2, v3 offset0:2 offset1:3
	ds_store_2addr_b32 v8, v4, v5 offset0:4 offset1:5
	;; [unrolled: 1-line block ×7, first 2 shown]
	v_mov_b32_e32 v0, 50
	s_and_b32 s1, s3, s4
	s_wait_storecnt 0x0
	s_wait_loadcnt_dscnt 0x0
	v_cmp_le_i32_e32 vcc_lo, s94, v174
	s_barrier_signal -1
	s_barrier_wait -1
	global_inv scope:SCOPE_SE
	s_wait_alu 0xfffe
	s_and_saveexec_b32 s0, s1
	s_cbranch_execz .LBB0_90
; %bb.89:                               ;   in Loop: Header=BB0_9 Depth=1
	ds_load_b32 v2, v54
	v_mad_co_u64_u32 v[0:1], null, v189, s25, v[32:33]
	s_delay_alu instid0(VALU_DEP_1) | instskip(NEXT) | instid1(VALU_DEP_1)
	v_lshl_add_u32 v0, v0, 5, v48
	v_ashrrev_i32_e32 v1, 31, v0
	s_delay_alu instid0(VALU_DEP_1) | instskip(SKIP_3) | instid1(VALU_DEP_3)
	v_lshlrev_b64_e32 v[0:1], 3, v[0:1]
	s_wait_dscnt 0x0
	v_lshrrev_b32_e32 v3, 16, v2
	v_cvt_f32_f16_e32 v2, v2
	v_add_co_u32 v4, s3, s72, v0
	s_delay_alu instid0(VALU_DEP_3) | instskip(NEXT) | instid1(VALU_DEP_3)
	v_cvt_f32_f16_e32 v3, v3
	v_add_f32_e32 v2, 0, v2
	s_wait_alu 0xf1ff
	v_add_co_ci_u32_e64 v5, null, s73, v1, s3
	s_delay_alu instid0(VALU_DEP_3)
	v_dual_mov_b32 v0, 0 :: v_dual_add_f32 v3, 0, v3
	global_store_b64 v[4:5], v[2:3], off
.LBB0_90:                               ;   in Loop: Header=BB0_9 Depth=1
	s_wait_alu 0xfffe
	s_or_b32 exec_lo, exec_lo, s0
	s_mov_b32 s4, -1
	s_mov_b32 s0, exec_lo
	v_cmpx_gt_i32_e32 50, v0
; %bb.91:                               ;   in Loop: Header=BB0_9 Depth=1
	v_cmp_eq_u32_e64 s3, 0, v0
	s_or_not1_b32 s4, s3, exec_lo
; %bb.92:                               ;   in Loop: Header=BB0_9 Depth=1
	s_wait_alu 0xfffe
	s_or_b32 exec_lo, exec_lo, s0
	s_mov_b32 s0, 0
	s_mov_b32 s39, 0
                                        ; implicit-def: $vgpr1
	s_and_saveexec_b32 s1, s4
	s_cbranch_execz .LBB0_180
; %bb.93:                               ;   in Loop: Header=BB0_9 Depth=1
	v_cmp_gt_i32_e64 s3, s24, v188
	v_mov_b32_e32 v0, 50
	s_xor_b32 s5, vcc_lo, -1
	s_wait_alu 0xfffe
	s_and_b32 s4, s3, s5
	s_wait_alu 0xfffe
	s_and_saveexec_b32 s3, s4
	s_cbranch_execz .LBB0_95
; %bb.94:                               ;   in Loop: Header=BB0_9 Depth=1
	v_add_nc_u32_e32 v0, v90, v95
	ds_load_b32 v2, v0
	v_mad_co_u64_u32 v[0:1], null, v188, s25, v[32:33]
	s_delay_alu instid0(VALU_DEP_1) | instskip(NEXT) | instid1(VALU_DEP_1)
	v_lshl_add_u32 v0, v0, 5, v48
	v_ashrrev_i32_e32 v1, 31, v0
	s_delay_alu instid0(VALU_DEP_1) | instskip(SKIP_3) | instid1(VALU_DEP_3)
	v_lshlrev_b64_e32 v[0:1], 3, v[0:1]
	s_wait_dscnt 0x0
	v_lshrrev_b32_e32 v3, 16, v2
	v_cvt_f32_f16_e32 v2, v2
	v_add_co_u32 v4, vcc_lo, s72, v0
	s_delay_alu instid0(VALU_DEP_3) | instskip(NEXT) | instid1(VALU_DEP_3)
	v_cvt_f32_f16_e32 v3, v3
	v_add_f32_e32 v2, 0, v2
	s_wait_alu 0xfffd
	v_add_co_ci_u32_e64 v5, null, s73, v1, vcc_lo
	s_delay_alu instid0(VALU_DEP_3)
	v_dual_mov_b32 v0, 0 :: v_dual_add_f32 v3, 0, v3
	global_store_b64 v[4:5], v[2:3], off
.LBB0_95:                               ;   in Loop: Header=BB0_9 Depth=1
	s_wait_alu 0xfffe
	s_or_b32 exec_lo, exec_lo, s3
	s_mov_b32 s6, -1
	s_mov_b32 s3, exec_lo
	v_cmpx_gt_i32_e32 50, v0
; %bb.96:                               ;   in Loop: Header=BB0_9 Depth=1
	v_cmp_eq_u32_e32 vcc_lo, 0, v0
	s_or_not1_b32 s6, vcc_lo, exec_lo
; %bb.97:                               ;   in Loop: Header=BB0_9 Depth=1
	s_wait_alu 0xfffe
	s_or_b32 exec_lo, exec_lo, s3
	s_mov_b32 s4, 0
                                        ; implicit-def: $vgpr1
	s_and_saveexec_b32 s3, s6
	s_cbranch_execz .LBB0_179
; %bb.98:                               ;   in Loop: Header=BB0_9 Depth=1
	v_cmp_gt_i32_e32 vcc_lo, s24, v187
	v_mov_b32_e32 v0, 50
	s_and_b32 s6, vcc_lo, s5
	s_wait_alu 0xfffe
	s_and_saveexec_b32 s4, s6
	s_cbranch_execz .LBB0_100
; %bb.99:                               ;   in Loop: Header=BB0_9 Depth=1
	v_add_nc_u32_e32 v0, v90, v95
	ds_load_b32 v2, v0 offset:576
	v_mad_co_u64_u32 v[0:1], null, v187, s25, v[32:33]
	s_delay_alu instid0(VALU_DEP_1) | instskip(NEXT) | instid1(VALU_DEP_1)
	v_lshl_add_u32 v0, v0, 5, v48
	v_ashrrev_i32_e32 v1, 31, v0
	s_delay_alu instid0(VALU_DEP_1) | instskip(SKIP_3) | instid1(VALU_DEP_3)
	v_lshlrev_b64_e32 v[0:1], 3, v[0:1]
	s_wait_dscnt 0x0
	v_lshrrev_b32_e32 v3, 16, v2
	v_cvt_f32_f16_e32 v2, v2
	v_add_co_u32 v4, vcc_lo, s72, v0
	s_delay_alu instid0(VALU_DEP_3) | instskip(NEXT) | instid1(VALU_DEP_3)
	v_cvt_f32_f16_e32 v3, v3
	v_add_f32_e32 v2, 0, v2
	s_wait_alu 0xfffd
	v_add_co_ci_u32_e64 v5, null, s73, v1, vcc_lo
	s_delay_alu instid0(VALU_DEP_3)
	v_dual_mov_b32 v0, 0 :: v_dual_add_f32 v3, 0, v3
	global_store_b64 v[4:5], v[2:3], off
.LBB0_100:                              ;   in Loop: Header=BB0_9 Depth=1
	s_wait_alu 0xfffe
	s_or_b32 exec_lo, exec_lo, s4
	s_mov_b32 s30, -1
	s_mov_b32 s4, exec_lo
	v_cmpx_gt_i32_e32 50, v0
; %bb.101:                              ;   in Loop: Header=BB0_9 Depth=1
	v_cmp_eq_u32_e32 vcc_lo, 0, v0
	s_or_not1_b32 s30, vcc_lo, exec_lo
; %bb.102:                              ;   in Loop: Header=BB0_9 Depth=1
	s_wait_alu 0xfffe
	s_or_b32 exec_lo, exec_lo, s4
	s_mov_b32 s6, 0
                                        ; implicit-def: $vgpr1
	s_and_saveexec_b32 s4, s30
	s_cbranch_execz .LBB0_178
; %bb.103:                              ;   in Loop: Header=BB0_9 Depth=1
	v_cmp_gt_i32_e32 vcc_lo, s24, v186
	v_mov_b32_e32 v0, 50
	s_and_b32 s30, vcc_lo, s5
	s_wait_alu 0xfffe
	s_and_saveexec_b32 s6, s30
	s_cbranch_execz .LBB0_105
; %bb.104:                              ;   in Loop: Header=BB0_9 Depth=1
	v_add_nc_u32_e32 v0, v90, v95
	ds_load_b32 v2, v0 offset:1152
	v_mad_co_u64_u32 v[0:1], null, v186, s25, v[32:33]
	s_delay_alu instid0(VALU_DEP_1) | instskip(NEXT) | instid1(VALU_DEP_1)
	v_lshl_add_u32 v0, v0, 5, v48
	v_ashrrev_i32_e32 v1, 31, v0
	s_delay_alu instid0(VALU_DEP_1) | instskip(SKIP_3) | instid1(VALU_DEP_3)
	v_lshlrev_b64_e32 v[0:1], 3, v[0:1]
	s_wait_dscnt 0x0
	v_lshrrev_b32_e32 v3, 16, v2
	v_cvt_f32_f16_e32 v2, v2
	v_add_co_u32 v4, vcc_lo, s72, v0
	s_delay_alu instid0(VALU_DEP_3) | instskip(NEXT) | instid1(VALU_DEP_3)
	v_cvt_f32_f16_e32 v3, v3
	v_add_f32_e32 v2, 0, v2
	s_wait_alu 0xfffd
	v_add_co_ci_u32_e64 v5, null, s73, v1, vcc_lo
	s_delay_alu instid0(VALU_DEP_3)
	v_dual_mov_b32 v0, 0 :: v_dual_add_f32 v3, 0, v3
	global_store_b64 v[4:5], v[2:3], off
.LBB0_105:                              ;   in Loop: Header=BB0_9 Depth=1
	s_wait_alu 0xfffe
	s_or_b32 exec_lo, exec_lo, s6
	s_mov_b32 s39, -1
	s_mov_b32 s6, exec_lo
	v_cmpx_gt_i32_e32 50, v0
; %bb.106:                              ;   in Loop: Header=BB0_9 Depth=1
	v_cmp_eq_u32_e32 vcc_lo, 0, v0
	s_or_not1_b32 s39, vcc_lo, exec_lo
; %bb.107:                              ;   in Loop: Header=BB0_9 Depth=1
	s_wait_alu 0xfffe
	s_or_b32 exec_lo, exec_lo, s6
	s_mov_b32 s30, 0
                                        ; implicit-def: $vgpr1
	s_and_saveexec_b32 s6, s39
	s_cbranch_execz .LBB0_177
; %bb.108:                              ;   in Loop: Header=BB0_9 Depth=1
	v_cmp_gt_i32_e32 vcc_lo, s24, v185
	v_mov_b32_e32 v0, 50
	s_and_b32 s39, vcc_lo, s5
	s_wait_alu 0xfffe
	s_and_saveexec_b32 s30, s39
	s_cbranch_execz .LBB0_110
; %bb.109:                              ;   in Loop: Header=BB0_9 Depth=1
	scratch_load_b32 v0, off, off offset:76 ; 4-byte Folded Reload
	s_wait_loadcnt 0x0
	ds_load_b32 v2, v0
	v_mad_co_u64_u32 v[0:1], null, v185, s25, v[32:33]
	s_delay_alu instid0(VALU_DEP_1) | instskip(NEXT) | instid1(VALU_DEP_1)
	v_lshl_add_u32 v0, v0, 5, v48
	v_ashrrev_i32_e32 v1, 31, v0
	s_delay_alu instid0(VALU_DEP_1) | instskip(SKIP_3) | instid1(VALU_DEP_3)
	v_lshlrev_b64_e32 v[0:1], 3, v[0:1]
	s_wait_dscnt 0x0
	v_lshrrev_b32_e32 v3, 16, v2
	v_cvt_f32_f16_e32 v2, v2
	v_add_co_u32 v4, vcc_lo, s72, v0
	s_delay_alu instid0(VALU_DEP_3) | instskip(NEXT) | instid1(VALU_DEP_3)
	v_cvt_f32_f16_e32 v3, v3
	v_add_f32_e32 v2, 0, v2
	s_wait_alu 0xfffd
	v_add_co_ci_u32_e64 v5, null, s73, v1, vcc_lo
	s_delay_alu instid0(VALU_DEP_3)
	v_dual_mov_b32 v0, 0 :: v_dual_add_f32 v3, 0, v3
	global_store_b64 v[4:5], v[2:3], off
.LBB0_110:                              ;   in Loop: Header=BB0_9 Depth=1
	s_wait_alu 0xfffe
	s_or_b32 exec_lo, exec_lo, s30
	s_mov_b32 s40, -1
	s_mov_b32 s30, exec_lo
	v_cmpx_gt_i32_e32 50, v0
; %bb.111:                              ;   in Loop: Header=BB0_9 Depth=1
	v_cmp_eq_u32_e32 vcc_lo, 0, v0
	s_or_not1_b32 s40, vcc_lo, exec_lo
; %bb.112:                              ;   in Loop: Header=BB0_9 Depth=1
	s_wait_alu 0xfffe
	s_or_b32 exec_lo, exec_lo, s30
	s_mov_b32 s39, 0
                                        ; implicit-def: $vgpr1
	s_and_saveexec_b32 s30, s40
	s_cbranch_execz .LBB0_176
; %bb.113:                              ;   in Loop: Header=BB0_9 Depth=1
	v_cmp_gt_i32_e32 vcc_lo, s24, v184
	v_mov_b32_e32 v0, 50
	s_and_b32 s40, vcc_lo, s5
	s_wait_alu 0xfffe
	s_and_saveexec_b32 s39, s40
	s_cbranch_execz .LBB0_115
; %bb.114:                              ;   in Loop: Header=BB0_9 Depth=1
	v_add_nc_u32_e32 v0, v90, v95
	ds_load_b32 v2, v0 offset:2304
	v_mad_co_u64_u32 v[0:1], null, v184, s25, v[32:33]
	s_delay_alu instid0(VALU_DEP_1) | instskip(NEXT) | instid1(VALU_DEP_1)
	v_lshl_add_u32 v0, v0, 5, v48
	v_ashrrev_i32_e32 v1, 31, v0
	s_delay_alu instid0(VALU_DEP_1) | instskip(SKIP_3) | instid1(VALU_DEP_3)
	v_lshlrev_b64_e32 v[0:1], 3, v[0:1]
	s_wait_dscnt 0x0
	v_lshrrev_b32_e32 v3, 16, v2
	v_cvt_f32_f16_e32 v2, v2
	v_add_co_u32 v4, vcc_lo, s72, v0
	s_delay_alu instid0(VALU_DEP_3) | instskip(NEXT) | instid1(VALU_DEP_3)
	v_cvt_f32_f16_e32 v3, v3
	v_add_f32_e32 v2, 0, v2
	s_wait_alu 0xfffd
	v_add_co_ci_u32_e64 v5, null, s73, v1, vcc_lo
	s_delay_alu instid0(VALU_DEP_3)
	v_dual_mov_b32 v0, 0 :: v_dual_add_f32 v3, 0, v3
	global_store_b64 v[4:5], v[2:3], off
.LBB0_115:                              ;   in Loop: Header=BB0_9 Depth=1
	s_wait_alu 0xfffe
	s_or_b32 exec_lo, exec_lo, s39
	s_mov_b32 s41, -1
	s_mov_b32 s39, exec_lo
	v_cmpx_gt_i32_e32 50, v0
; %bb.116:                              ;   in Loop: Header=BB0_9 Depth=1
	v_cmp_eq_u32_e32 vcc_lo, 0, v0
	s_or_not1_b32 s41, vcc_lo, exec_lo
; %bb.117:                              ;   in Loop: Header=BB0_9 Depth=1
	s_wait_alu 0xfffe
	s_or_b32 exec_lo, exec_lo, s39
	s_mov_b32 s40, 0
                                        ; implicit-def: $vgpr1
	s_and_saveexec_b32 s39, s41
	s_cbranch_execz .LBB0_175
; %bb.118:                              ;   in Loop: Header=BB0_9 Depth=1
	v_cmp_gt_i32_e32 vcc_lo, s24, v183
	v_mov_b32_e32 v0, 50
	s_and_b32 s41, vcc_lo, s5
	s_wait_alu 0xfffe
	s_and_saveexec_b32 s40, s41
	s_cbranch_execz .LBB0_120
; %bb.119:                              ;   in Loop: Header=BB0_9 Depth=1
	v_add_nc_u32_e32 v0, v90, v95
	ds_load_b32 v2, v0 offset:2880
	v_mad_co_u64_u32 v[0:1], null, v183, s25, v[32:33]
	s_delay_alu instid0(VALU_DEP_1) | instskip(NEXT) | instid1(VALU_DEP_1)
	v_lshl_add_u32 v0, v0, 5, v48
	v_ashrrev_i32_e32 v1, 31, v0
	s_delay_alu instid0(VALU_DEP_1) | instskip(SKIP_3) | instid1(VALU_DEP_3)
	v_lshlrev_b64_e32 v[0:1], 3, v[0:1]
	s_wait_dscnt 0x0
	v_lshrrev_b32_e32 v3, 16, v2
	v_cvt_f32_f16_e32 v2, v2
	v_add_co_u32 v4, vcc_lo, s72, v0
	s_delay_alu instid0(VALU_DEP_3) | instskip(NEXT) | instid1(VALU_DEP_3)
	v_cvt_f32_f16_e32 v3, v3
	v_add_f32_e32 v2, 0, v2
	s_wait_alu 0xfffd
	v_add_co_ci_u32_e64 v5, null, s73, v1, vcc_lo
	s_delay_alu instid0(VALU_DEP_3)
	v_dual_mov_b32 v0, 0 :: v_dual_add_f32 v3, 0, v3
	global_store_b64 v[4:5], v[2:3], off
.LBB0_120:                              ;   in Loop: Header=BB0_9 Depth=1
	s_wait_alu 0xfffe
	s_or_b32 exec_lo, exec_lo, s40
	s_mov_b32 s42, -1
	s_mov_b32 s40, exec_lo
	v_cmpx_gt_i32_e32 50, v0
; %bb.121:                              ;   in Loop: Header=BB0_9 Depth=1
	v_cmp_eq_u32_e32 vcc_lo, 0, v0
	s_or_not1_b32 s42, vcc_lo, exec_lo
; %bb.122:                              ;   in Loop: Header=BB0_9 Depth=1
	s_wait_alu 0xfffe
	s_or_b32 exec_lo, exec_lo, s40
	s_mov_b32 s41, 0
                                        ; implicit-def: $vgpr1
	s_and_saveexec_b32 s40, s42
	s_cbranch_execz .LBB0_174
; %bb.123:                              ;   in Loop: Header=BB0_9 Depth=1
	v_cmp_gt_i32_e32 vcc_lo, s24, v182
	v_mov_b32_e32 v0, 50
	s_and_b32 s42, vcc_lo, s5
	s_delay_alu instid0(SALU_CYCLE_1)
	s_and_saveexec_b32 s41, s42
	s_cbranch_execz .LBB0_125
; %bb.124:                              ;   in Loop: Header=BB0_9 Depth=1
	v_add_nc_u32_e32 v0, v90, v95
	ds_load_b32 v2, v0 offset:3456
	v_mad_co_u64_u32 v[0:1], null, v182, s25, v[32:33]
	s_delay_alu instid0(VALU_DEP_1) | instskip(NEXT) | instid1(VALU_DEP_1)
	v_lshl_add_u32 v0, v0, 5, v48
	v_ashrrev_i32_e32 v1, 31, v0
	s_delay_alu instid0(VALU_DEP_1) | instskip(SKIP_3) | instid1(VALU_DEP_3)
	v_lshlrev_b64_e32 v[0:1], 3, v[0:1]
	s_wait_dscnt 0x0
	v_lshrrev_b32_e32 v3, 16, v2
	v_cvt_f32_f16_e32 v2, v2
	v_add_co_u32 v4, vcc_lo, s72, v0
	s_delay_alu instid0(VALU_DEP_3) | instskip(NEXT) | instid1(VALU_DEP_3)
	v_cvt_f32_f16_e32 v3, v3
	v_add_f32_e32 v2, 0, v2
	s_wait_alu 0xfffd
	v_add_co_ci_u32_e64 v5, null, s73, v1, vcc_lo
	s_delay_alu instid0(VALU_DEP_3)
	v_dual_mov_b32 v0, 0 :: v_dual_add_f32 v3, 0, v3
	global_store_b64 v[4:5], v[2:3], off
.LBB0_125:                              ;   in Loop: Header=BB0_9 Depth=1
	s_wait_alu 0xfffe
	s_or_b32 exec_lo, exec_lo, s41
	s_mov_b32 s43, -1
	s_mov_b32 s41, exec_lo
	v_cmpx_gt_i32_e32 50, v0
; %bb.126:                              ;   in Loop: Header=BB0_9 Depth=1
	v_cmp_eq_u32_e32 vcc_lo, 0, v0
	s_or_not1_b32 s43, vcc_lo, exec_lo
; %bb.127:                              ;   in Loop: Header=BB0_9 Depth=1
	s_wait_alu 0xfffe
	s_or_b32 exec_lo, exec_lo, s41
	s_mov_b32 s42, 0
                                        ; implicit-def: $vgpr1
	s_and_saveexec_b32 s41, s43
	s_cbranch_execz .LBB0_173
; %bb.128:                              ;   in Loop: Header=BB0_9 Depth=1
	v_cmp_gt_i32_e32 vcc_lo, s24, v181
	v_mov_b32_e32 v0, 50
	s_and_b32 s43, vcc_lo, s5
	s_delay_alu instid0(SALU_CYCLE_1)
	s_and_saveexec_b32 s42, s43
	s_cbranch_execz .LBB0_130
; %bb.129:                              ;   in Loop: Header=BB0_9 Depth=1
	scratch_load_b32 v0, off, off offset:84 ; 4-byte Folded Reload
	s_wait_loadcnt 0x0
	ds_load_b32 v2, v0
	v_mad_co_u64_u32 v[0:1], null, v181, s25, v[32:33]
	s_delay_alu instid0(VALU_DEP_1) | instskip(NEXT) | instid1(VALU_DEP_1)
	v_lshl_add_u32 v0, v0, 5, v48
	v_ashrrev_i32_e32 v1, 31, v0
	s_delay_alu instid0(VALU_DEP_1) | instskip(SKIP_3) | instid1(VALU_DEP_3)
	v_lshlrev_b64_e32 v[0:1], 3, v[0:1]
	s_wait_dscnt 0x0
	v_lshrrev_b32_e32 v3, 16, v2
	v_cvt_f32_f16_e32 v2, v2
	v_add_co_u32 v4, vcc_lo, s72, v0
	s_delay_alu instid0(VALU_DEP_3) | instskip(NEXT) | instid1(VALU_DEP_3)
	v_cvt_f32_f16_e32 v3, v3
	v_add_f32_e32 v2, 0, v2
	s_wait_alu 0xfffd
	v_add_co_ci_u32_e64 v5, null, s73, v1, vcc_lo
	s_delay_alu instid0(VALU_DEP_3)
	v_dual_mov_b32 v0, 0 :: v_dual_add_f32 v3, 0, v3
	global_store_b64 v[4:5], v[2:3], off
.LBB0_130:                              ;   in Loop: Header=BB0_9 Depth=1
	s_or_b32 exec_lo, exec_lo, s42
	s_mov_b32 s44, -1
	s_mov_b32 s42, exec_lo
	v_cmpx_gt_i32_e32 50, v0
; %bb.131:                              ;   in Loop: Header=BB0_9 Depth=1
	v_cmp_eq_u32_e32 vcc_lo, 0, v0
	s_or_not1_b32 s44, vcc_lo, exec_lo
; %bb.132:                              ;   in Loop: Header=BB0_9 Depth=1
	s_or_b32 exec_lo, exec_lo, s42
	s_mov_b32 s43, 0
                                        ; implicit-def: $vgpr1
	s_and_saveexec_b32 s42, s44
	s_cbranch_execz .LBB0_172
; %bb.133:                              ;   in Loop: Header=BB0_9 Depth=1
	v_cmp_gt_i32_e32 vcc_lo, s24, v180
	v_mov_b32_e32 v0, 50
	s_and_b32 s44, vcc_lo, s5
	s_delay_alu instid0(SALU_CYCLE_1)
	s_and_saveexec_b32 s43, s44
	s_cbranch_execz .LBB0_135
; %bb.134:                              ;   in Loop: Header=BB0_9 Depth=1
	v_add_nc_u32_e32 v0, v90, v95
	ds_load_b32 v2, v0 offset:4608
	v_mad_co_u64_u32 v[0:1], null, v180, s25, v[32:33]
	s_delay_alu instid0(VALU_DEP_1) | instskip(NEXT) | instid1(VALU_DEP_1)
	v_lshl_add_u32 v0, v0, 5, v48
	v_ashrrev_i32_e32 v1, 31, v0
	s_delay_alu instid0(VALU_DEP_1) | instskip(SKIP_3) | instid1(VALU_DEP_3)
	v_lshlrev_b64_e32 v[0:1], 3, v[0:1]
	s_wait_dscnt 0x0
	v_lshrrev_b32_e32 v3, 16, v2
	v_cvt_f32_f16_e32 v2, v2
	v_add_co_u32 v4, vcc_lo, s72, v0
	s_delay_alu instid0(VALU_DEP_3) | instskip(NEXT) | instid1(VALU_DEP_3)
	v_cvt_f32_f16_e32 v3, v3
	v_add_f32_e32 v2, 0, v2
	s_wait_alu 0xfffd
	v_add_co_ci_u32_e64 v5, null, s73, v1, vcc_lo
	s_delay_alu instid0(VALU_DEP_3)
	v_dual_mov_b32 v0, 0 :: v_dual_add_f32 v3, 0, v3
	global_store_b64 v[4:5], v[2:3], off
.LBB0_135:                              ;   in Loop: Header=BB0_9 Depth=1
	s_or_b32 exec_lo, exec_lo, s43
	s_mov_b32 s50, -1
	s_mov_b32 s43, exec_lo
	v_cmpx_gt_i32_e32 50, v0
; %bb.136:                              ;   in Loop: Header=BB0_9 Depth=1
	v_cmp_eq_u32_e32 vcc_lo, 0, v0
	s_or_not1_b32 s50, vcc_lo, exec_lo
; %bb.137:                              ;   in Loop: Header=BB0_9 Depth=1
	s_or_b32 exec_lo, exec_lo, s43
	s_mov_b32 s44, 0
                                        ; implicit-def: $vgpr1
	s_and_saveexec_b32 s43, s50
	s_cbranch_execz .LBB0_171
; %bb.138:                              ;   in Loop: Header=BB0_9 Depth=1
	v_cmp_gt_i32_e32 vcc_lo, s24, v179
	v_mov_b32_e32 v0, 50
	s_and_b32 s50, vcc_lo, s5
	s_delay_alu instid0(SALU_CYCLE_1)
	s_and_saveexec_b32 s44, s50
	s_cbranch_execz .LBB0_140
; %bb.139:                              ;   in Loop: Header=BB0_9 Depth=1
	v_add_nc_u32_e32 v0, v90, v95
	ds_load_b32 v2, v0 offset:5184
	v_mad_co_u64_u32 v[0:1], null, v179, s25, v[32:33]
	s_delay_alu instid0(VALU_DEP_1) | instskip(NEXT) | instid1(VALU_DEP_1)
	v_lshl_add_u32 v0, v0, 5, v48
	v_ashrrev_i32_e32 v1, 31, v0
	s_delay_alu instid0(VALU_DEP_1) | instskip(SKIP_3) | instid1(VALU_DEP_3)
	v_lshlrev_b64_e32 v[0:1], 3, v[0:1]
	s_wait_dscnt 0x0
	v_lshrrev_b32_e32 v3, 16, v2
	v_cvt_f32_f16_e32 v2, v2
	v_add_co_u32 v4, vcc_lo, s72, v0
	s_delay_alu instid0(VALU_DEP_3) | instskip(NEXT) | instid1(VALU_DEP_3)
	v_cvt_f32_f16_e32 v3, v3
	v_add_f32_e32 v2, 0, v2
	s_wait_alu 0xfffd
	v_add_co_ci_u32_e64 v5, null, s73, v1, vcc_lo
	s_delay_alu instid0(VALU_DEP_3)
	v_dual_mov_b32 v0, 0 :: v_dual_add_f32 v3, 0, v3
	global_store_b64 v[4:5], v[2:3], off
.LBB0_140:                              ;   in Loop: Header=BB0_9 Depth=1
	s_or_b32 exec_lo, exec_lo, s44
	s_mov_b32 s51, -1
	s_mov_b32 s44, exec_lo
	v_cmpx_gt_i32_e32 50, v0
; %bb.141:                              ;   in Loop: Header=BB0_9 Depth=1
	v_cmp_eq_u32_e32 vcc_lo, 0, v0
	s_or_not1_b32 s51, vcc_lo, exec_lo
; %bb.142:                              ;   in Loop: Header=BB0_9 Depth=1
	s_or_b32 exec_lo, exec_lo, s44
	s_mov_b32 s50, 0
                                        ; implicit-def: $vgpr1
	s_and_saveexec_b32 s44, s51
	s_cbranch_execz .LBB0_170
; %bb.143:                              ;   in Loop: Header=BB0_9 Depth=1
	v_cmp_gt_i32_e32 vcc_lo, s24, v178
	v_mov_b32_e32 v0, 50
	s_and_b32 s51, vcc_lo, s5
	s_delay_alu instid0(SALU_CYCLE_1)
	s_and_saveexec_b32 s50, s51
	s_cbranch_execz .LBB0_145
; %bb.144:                              ;   in Loop: Header=BB0_9 Depth=1
	v_add_nc_u32_e32 v0, v90, v95
	ds_load_b32 v2, v0 offset:5760
	v_mad_co_u64_u32 v[0:1], null, v178, s25, v[32:33]
	s_delay_alu instid0(VALU_DEP_1) | instskip(NEXT) | instid1(VALU_DEP_1)
	v_lshl_add_u32 v0, v0, 5, v48
	v_ashrrev_i32_e32 v1, 31, v0
	s_delay_alu instid0(VALU_DEP_1) | instskip(SKIP_3) | instid1(VALU_DEP_3)
	v_lshlrev_b64_e32 v[0:1], 3, v[0:1]
	s_wait_dscnt 0x0
	v_lshrrev_b32_e32 v3, 16, v2
	v_cvt_f32_f16_e32 v2, v2
	v_add_co_u32 v4, vcc_lo, s72, v0
	s_delay_alu instid0(VALU_DEP_3) | instskip(NEXT) | instid1(VALU_DEP_3)
	v_cvt_f32_f16_e32 v3, v3
	v_add_f32_e32 v2, 0, v2
	s_wait_alu 0xfffd
	v_add_co_ci_u32_e64 v5, null, s73, v1, vcc_lo
	s_delay_alu instid0(VALU_DEP_3)
	v_dual_mov_b32 v0, 0 :: v_dual_add_f32 v3, 0, v3
	global_store_b64 v[4:5], v[2:3], off
.LBB0_145:                              ;   in Loop: Header=BB0_9 Depth=1
	s_or_b32 exec_lo, exec_lo, s50
	s_mov_b32 s56, -1
	s_mov_b32 s50, exec_lo
	v_cmpx_gt_i32_e32 50, v0
; %bb.146:                              ;   in Loop: Header=BB0_9 Depth=1
	v_cmp_eq_u32_e32 vcc_lo, 0, v0
	s_or_not1_b32 s56, vcc_lo, exec_lo
; %bb.147:                              ;   in Loop: Header=BB0_9 Depth=1
	s_or_b32 exec_lo, exec_lo, s50
	s_mov_b32 s51, 0
                                        ; implicit-def: $vgpr1
	s_and_saveexec_b32 s50, s56
	s_cbranch_execz .LBB0_169
; %bb.148:                              ;   in Loop: Header=BB0_9 Depth=1
	v_cmp_gt_i32_e32 vcc_lo, s24, v177
	v_mov_b32_e32 v0, 50
	s_and_b32 s56, vcc_lo, s5
	s_delay_alu instid0(SALU_CYCLE_1)
	s_and_saveexec_b32 s51, s56
	s_cbranch_execz .LBB0_150
; %bb.149:                              ;   in Loop: Header=BB0_9 Depth=1
	scratch_load_b32 v0, off, off offset:92 ; 4-byte Folded Reload
	s_wait_loadcnt 0x0
	ds_load_b32 v2, v0
	v_mad_co_u64_u32 v[0:1], null, v177, s25, v[32:33]
	s_delay_alu instid0(VALU_DEP_1) | instskip(NEXT) | instid1(VALU_DEP_1)
	v_lshl_add_u32 v0, v0, 5, v48
	v_ashrrev_i32_e32 v1, 31, v0
	s_delay_alu instid0(VALU_DEP_1) | instskip(SKIP_3) | instid1(VALU_DEP_3)
	v_lshlrev_b64_e32 v[0:1], 3, v[0:1]
	s_wait_dscnt 0x0
	v_lshrrev_b32_e32 v3, 16, v2
	v_cvt_f32_f16_e32 v2, v2
	v_add_co_u32 v4, vcc_lo, s72, v0
	s_delay_alu instid0(VALU_DEP_3) | instskip(NEXT) | instid1(VALU_DEP_3)
	v_cvt_f32_f16_e32 v3, v3
	v_add_f32_e32 v2, 0, v2
	s_wait_alu 0xfffd
	v_add_co_ci_u32_e64 v5, null, s73, v1, vcc_lo
	s_delay_alu instid0(VALU_DEP_3)
	v_dual_mov_b32 v0, 0 :: v_dual_add_f32 v3, 0, v3
	global_store_b64 v[4:5], v[2:3], off
.LBB0_150:                              ;   in Loop: Header=BB0_9 Depth=1
	s_or_b32 exec_lo, exec_lo, s51
	s_mov_b32 s92, -1
	s_mov_b32 s51, exec_lo
	v_cmpx_gt_i32_e32 50, v0
; %bb.151:                              ;   in Loop: Header=BB0_9 Depth=1
	v_cmp_eq_u32_e32 vcc_lo, 0, v0
	s_or_not1_b32 s92, vcc_lo, exec_lo
; %bb.152:                              ;   in Loop: Header=BB0_9 Depth=1
	s_or_b32 exec_lo, exec_lo, s51
	s_mov_b32 s56, 0
                                        ; implicit-def: $vgpr1
	s_and_saveexec_b32 s51, s92
	s_cbranch_execz .LBB0_168
; %bb.153:                              ;   in Loop: Header=BB0_9 Depth=1
	v_cmp_gt_i32_e32 vcc_lo, s24, v176
	v_mov_b32_e32 v0, 50
	s_and_b32 s92, vcc_lo, s5
	s_delay_alu instid0(SALU_CYCLE_1)
	s_and_saveexec_b32 s56, s92
	s_cbranch_execz .LBB0_155
; %bb.154:                              ;   in Loop: Header=BB0_9 Depth=1
	v_add_nc_u32_e32 v0, v90, v95
	ds_load_b32 v2, v0 offset:6912
	v_mad_co_u64_u32 v[0:1], null, v176, s25, v[32:33]
	s_delay_alu instid0(VALU_DEP_1) | instskip(NEXT) | instid1(VALU_DEP_1)
	v_lshl_add_u32 v0, v0, 5, v48
	v_ashrrev_i32_e32 v1, 31, v0
	s_delay_alu instid0(VALU_DEP_1) | instskip(SKIP_3) | instid1(VALU_DEP_3)
	v_lshlrev_b64_e32 v[0:1], 3, v[0:1]
	s_wait_dscnt 0x0
	v_lshrrev_b32_e32 v3, 16, v2
	v_cvt_f32_f16_e32 v2, v2
	v_add_co_u32 v4, vcc_lo, s72, v0
	s_delay_alu instid0(VALU_DEP_3) | instskip(NEXT) | instid1(VALU_DEP_3)
	v_cvt_f32_f16_e32 v3, v3
	v_add_f32_e32 v2, 0, v2
	s_wait_alu 0xfffd
	v_add_co_ci_u32_e64 v5, null, s73, v1, vcc_lo
	s_delay_alu instid0(VALU_DEP_3)
	v_dual_mov_b32 v0, 0 :: v_dual_add_f32 v3, 0, v3
	global_store_b64 v[4:5], v[2:3], off
.LBB0_155:                              ;   in Loop: Header=BB0_9 Depth=1
	s_or_b32 exec_lo, exec_lo, s56
	s_mov_b32 s93, -1
	s_mov_b32 s56, exec_lo
	v_cmpx_gt_i32_e32 50, v0
; %bb.156:                              ;   in Loop: Header=BB0_9 Depth=1
	v_cmp_eq_u32_e32 vcc_lo, 0, v0
	s_or_not1_b32 s93, vcc_lo, exec_lo
; %bb.157:                              ;   in Loop: Header=BB0_9 Depth=1
	s_or_b32 exec_lo, exec_lo, s56
	s_mov_b32 s92, 0
                                        ; implicit-def: $vgpr1
	s_and_saveexec_b32 s56, s93
	s_cbranch_execz .LBB0_167
; %bb.158:                              ;   in Loop: Header=BB0_9 Depth=1
	v_cmp_gt_i32_e32 vcc_lo, s24, v175
	v_mov_b32_e32 v0, 50
	s_and_b32 s93, vcc_lo, s5
	s_delay_alu instid0(SALU_CYCLE_1)
	s_and_saveexec_b32 s92, s93
	s_cbranch_execz .LBB0_160
; %bb.159:                              ;   in Loop: Header=BB0_9 Depth=1
	v_add_nc_u32_e32 v0, v90, v95
	ds_load_b32 v2, v0 offset:7488
	v_mad_co_u64_u32 v[0:1], null, v175, s25, v[32:33]
	s_delay_alu instid0(VALU_DEP_1) | instskip(NEXT) | instid1(VALU_DEP_1)
	v_lshl_add_u32 v0, v0, 5, v48
	v_ashrrev_i32_e32 v1, 31, v0
	s_delay_alu instid0(VALU_DEP_1) | instskip(SKIP_3) | instid1(VALU_DEP_3)
	v_lshlrev_b64_e32 v[0:1], 3, v[0:1]
	s_wait_dscnt 0x0
	v_lshrrev_b32_e32 v3, 16, v2
	v_cvt_f32_f16_e32 v2, v2
	v_add_co_u32 v4, vcc_lo, s72, v0
	s_delay_alu instid0(VALU_DEP_3) | instskip(NEXT) | instid1(VALU_DEP_3)
	v_cvt_f32_f16_e32 v3, v3
	v_add_f32_e32 v2, 0, v2
	s_wait_alu 0xfffd
	v_add_co_ci_u32_e64 v5, null, s73, v1, vcc_lo
	s_delay_alu instid0(VALU_DEP_3)
	v_dual_mov_b32 v0, 0 :: v_dual_add_f32 v3, 0, v3
	global_store_b64 v[4:5], v[2:3], off
.LBB0_160:                              ;   in Loop: Header=BB0_9 Depth=1
	s_or_b32 exec_lo, exec_lo, s92
	s_mov_b32 s95, -1
	s_mov_b32 s92, exec_lo
	v_cmpx_gt_i32_e32 50, v0
; %bb.161:                              ;   in Loop: Header=BB0_9 Depth=1
	v_cmp_eq_u32_e32 vcc_lo, 0, v0
	s_or_not1_b32 s95, vcc_lo, exec_lo
; %bb.162:                              ;   in Loop: Header=BB0_9 Depth=1
	s_or_b32 exec_lo, exec_lo, s92
	s_mov_b32 s93, 0
                                        ; implicit-def: $vgpr1
	s_wait_alu 0xfffe
	s_and_saveexec_b32 s92, s95
	s_cbranch_execz .LBB0_166
; %bb.163:                              ;   in Loop: Header=BB0_9 Depth=1
	v_cmp_gt_i32_e32 vcc_lo, s24, v173
                                        ; implicit-def: $vgpr1
	s_and_b32 s93, vcc_lo, s5
	s_mov_b32 s5, 0
	s_and_saveexec_b32 s95, s93
	s_wait_alu 0xfffe
	s_xor_b32 s93, exec_lo, s95
	s_cbranch_execz .LBB0_165
; %bb.164:                              ;   in Loop: Header=BB0_9 Depth=1
	v_add_nc_u32_e32 v0, v90, v95
	s_mov_b32 s5, exec_lo
	ds_load_b32 v0, v0 offset:8064
	s_wait_dscnt 0x0
	v_lshrrev_b32_e32 v1, 16, v0
	v_cvt_f32_f16_e32 v0, v0
	s_delay_alu instid0(VALU_DEP_2) | instskip(NEXT) | instid1(VALU_DEP_1)
	v_cvt_f32_f16_e32 v1, v1
	v_dual_add_f32 v0, 0, v0 :: v_dual_add_f32 v1, 0, v1
.LBB0_165:                              ;   in Loop: Header=BB0_9 Depth=1
	s_or_b32 exec_lo, exec_lo, s93
	s_wait_alu 0xfffe
	s_and_b32 s93, s5, exec_lo
.LBB0_166:                              ;   in Loop: Header=BB0_9 Depth=1
	s_or_b32 exec_lo, exec_lo, s92
	s_delay_alu instid0(SALU_CYCLE_1)
	s_and_b32 s92, s93, exec_lo
.LBB0_167:                              ;   in Loop: Header=BB0_9 Depth=1
	s_or_b32 exec_lo, exec_lo, s56
	s_delay_alu instid0(SALU_CYCLE_1)
	s_and_b32 s56, s92, exec_lo
.LBB0_168:                              ;   in Loop: Header=BB0_9 Depth=1
	s_or_b32 exec_lo, exec_lo, s51
	s_delay_alu instid0(SALU_CYCLE_1)
	s_and_b32 s51, s56, exec_lo
.LBB0_169:                              ;   in Loop: Header=BB0_9 Depth=1
	s_or_b32 exec_lo, exec_lo, s50
	s_delay_alu instid0(SALU_CYCLE_1)
	s_and_b32 s50, s51, exec_lo
.LBB0_170:                              ;   in Loop: Header=BB0_9 Depth=1
	s_or_b32 exec_lo, exec_lo, s44
	s_delay_alu instid0(SALU_CYCLE_1)
	s_and_b32 s44, s50, exec_lo
.LBB0_171:                              ;   in Loop: Header=BB0_9 Depth=1
	s_or_b32 exec_lo, exec_lo, s43
	s_delay_alu instid0(SALU_CYCLE_1)
	s_and_b32 s43, s44, exec_lo
.LBB0_172:                              ;   in Loop: Header=BB0_9 Depth=1
	s_or_b32 exec_lo, exec_lo, s42
	s_delay_alu instid0(SALU_CYCLE_1)
	s_and_b32 s42, s43, exec_lo
.LBB0_173:                              ;   in Loop: Header=BB0_9 Depth=1
	s_wait_alu 0xfffe
	s_or_b32 exec_lo, exec_lo, s41
	s_delay_alu instid0(SALU_CYCLE_1)
	s_and_b32 s41, s42, exec_lo
.LBB0_174:                              ;   in Loop: Header=BB0_9 Depth=1
	s_wait_alu 0xfffe
	s_or_b32 exec_lo, exec_lo, s40
	s_delay_alu instid0(SALU_CYCLE_1)
	s_and_b32 s40, s41, exec_lo
.LBB0_175:                              ;   in Loop: Header=BB0_9 Depth=1
	s_wait_alu 0xfffe
	s_or_b32 exec_lo, exec_lo, s39
	s_delay_alu instid0(SALU_CYCLE_1)
	s_and_b32 s39, s40, exec_lo
.LBB0_176:                              ;   in Loop: Header=BB0_9 Depth=1
	s_wait_alu 0xfffe
	s_or_b32 exec_lo, exec_lo, s30
	s_delay_alu instid0(SALU_CYCLE_1)
	s_and_b32 s30, s39, exec_lo
.LBB0_177:                              ;   in Loop: Header=BB0_9 Depth=1
	s_wait_alu 0xfffe
	s_or_b32 exec_lo, exec_lo, s6
	s_delay_alu instid0(SALU_CYCLE_1)
	s_and_b32 s6, s30, exec_lo
.LBB0_178:                              ;   in Loop: Header=BB0_9 Depth=1
	s_wait_alu 0xfffe
	s_or_b32 exec_lo, exec_lo, s4
	s_delay_alu instid0(SALU_CYCLE_1)
	s_and_b32 s4, s6, exec_lo
.LBB0_179:                              ;   in Loop: Header=BB0_9 Depth=1
	s_wait_alu 0xfffe
	s_or_b32 exec_lo, exec_lo, s3
	s_delay_alu instid0(SALU_CYCLE_1)
	s_and_b32 s39, s4, exec_lo
.LBB0_180:                              ;   in Loop: Header=BB0_9 Depth=1
	s_wait_alu 0xfffe
	s_or_b32 exec_lo, exec_lo, s1
	s_delay_alu instid0(SALU_CYCLE_1)
	s_and_b32 vcc_lo, exec_lo, s0
	s_wait_alu 0xfffe
	s_cbranch_vccz .LBB0_350
.LBB0_181:                              ;   in Loop: Header=BB0_9 Depth=1
	s_lshl_b32 s4, s67, 5
	v_cmp_gt_i32_e32 vcc_lo, s94, v174
	s_wait_alu 0xfffe
	v_add_nc_u32_e32 v188, s4, v115
	v_add_nc_u32_e32 v190, v90, v94
	s_delay_alu instid0(VALU_DEP_2) | instskip(SKIP_1) | instid1(SALU_CYCLE_1)
	v_cmp_gt_i32_e64 s3, s24, v188
	s_and_b32 s50, s3, vcc_lo
	s_xor_b32 s0, s50, -1
	s_wait_alu 0xfffe
	s_and_saveexec_b32 s1, s0
	s_wait_alu 0xfffe
	s_xor_b32 s0, exec_lo, s1
; %bb.182:                              ;   in Loop: Header=BB0_9 Depth=1
	ds_store_b32 v190, v93
; %bb.183:                              ;   in Loop: Header=BB0_9 Depth=1
	s_wait_alu 0xfffe
	s_and_not1_saveexec_b32 s0, s0
	s_cbranch_execz .LBB0_185
; %bb.184:                              ;   in Loop: Header=BB0_9 Depth=1
	v_mad_co_u64_u32 v[0:1], null, v188, s7, v[53:54]
	s_delay_alu instid0(VALU_DEP_1) | instskip(NEXT) | instid1(VALU_DEP_1)
	v_ashrrev_i32_e32 v1, 31, v0
	v_lshlrev_b64_e32 v[0:1], 3, v[0:1]
	s_delay_alu instid0(VALU_DEP_1) | instskip(SKIP_1) | instid1(VALU_DEP_2)
	v_add_co_u32 v0, s3, s90, v0
	s_wait_alu 0xf1ff
	v_add_co_ci_u32_e64 v1, null, s91, v1, s3
	global_load_b64 v[0:1], v[0:1], off
	s_wait_loadcnt 0x0
	v_cvt_f16_f32_e32 v0, v0
	v_cvt_f16_f32_e32 v1, v1
	s_delay_alu instid0(VALU_DEP_1) | instskip(NEXT) | instid1(VALU_DEP_1)
	v_pack_b32_f16 v0, v0, v1
	v_pk_mul_f16 v0, v0, s100
	ds_store_b32 v190, v0
.LBB0_185:                              ;   in Loop: Header=BB0_9 Depth=1
	s_wait_alu 0xfffe
	s_or_b32 exec_lo, exec_lo, s0
	v_add_nc_u32_e32 v187, s4, v116
	s_delay_alu instid0(VALU_DEP_1)
	v_cmp_gt_i32_e64 s3, s24, v187
	s_and_b32 s30, s3, vcc_lo
	s_wait_alu 0xfffe
	s_xor_b32 s0, s30, -1
	s_wait_alu 0xfffe
	s_and_saveexec_b32 s1, s0
	s_wait_alu 0xfffe
	s_xor_b32 s0, exec_lo, s1
; %bb.186:                              ;   in Loop: Header=BB0_9 Depth=1
	v_add_nc_u32_e32 v0, v90, v95
	ds_store_b32 v0, v93
; %bb.187:                              ;   in Loop: Header=BB0_9 Depth=1
	s_wait_alu 0xfffe
	s_and_not1_saveexec_b32 s0, s0
	s_cbranch_execz .LBB0_189
; %bb.188:                              ;   in Loop: Header=BB0_9 Depth=1
	v_mad_co_u64_u32 v[0:1], null, v187, s7, v[53:54]
	s_delay_alu instid0(VALU_DEP_1) | instskip(NEXT) | instid1(VALU_DEP_1)
	v_ashrrev_i32_e32 v1, 31, v0
	v_lshlrev_b64_e32 v[0:1], 3, v[0:1]
	s_delay_alu instid0(VALU_DEP_1) | instskip(SKIP_1) | instid1(VALU_DEP_2)
	v_add_co_u32 v0, s3, s90, v0
	s_wait_alu 0xf1ff
	v_add_co_ci_u32_e64 v1, null, s91, v1, s3
	global_load_b64 v[0:1], v[0:1], off
	s_wait_loadcnt 0x0
	v_cvt_f16_f32_e32 v0, v0
	v_cvt_f16_f32_e32 v1, v1
	s_delay_alu instid0(VALU_DEP_1) | instskip(SKIP_1) | instid1(VALU_DEP_2)
	v_pack_b32_f16 v0, v0, v1
	v_add_nc_u32_e32 v1, v90, v95
	v_pk_mul_f16 v0, v0, s100
	ds_store_b32 v1, v0
.LBB0_189:                              ;   in Loop: Header=BB0_9 Depth=1
	s_wait_alu 0xfffe
	s_or_b32 exec_lo, exec_lo, s0
	v_add_nc_u32_e32 v186, s4, v117
	s_delay_alu instid0(VALU_DEP_1)
	v_cmp_gt_i32_e64 s3, s24, v186
	s_and_b32 vcc_hi, s3, vcc_lo
	s_wait_alu 0xfffe
	s_xor_b32 s0, vcc_hi, -1
	s_wait_alu 0xfffe
	s_and_saveexec_b32 s1, s0
	s_wait_alu 0xfffe
	s_xor_b32 s0, exec_lo, s1
; %bb.190:                              ;   in Loop: Header=BB0_9 Depth=1
	v_add_nc_u32_e32 v0, v90, v95
	ds_store_b32 v0, v93 offset:576
; %bb.191:                              ;   in Loop: Header=BB0_9 Depth=1
	s_wait_alu 0xfffe
	s_and_not1_saveexec_b32 s0, s0
	s_cbranch_execz .LBB0_193
; %bb.192:                              ;   in Loop: Header=BB0_9 Depth=1
	v_mad_co_u64_u32 v[0:1], null, v186, s7, v[53:54]
	s_delay_alu instid0(VALU_DEP_1) | instskip(NEXT) | instid1(VALU_DEP_1)
	v_ashrrev_i32_e32 v1, 31, v0
	v_lshlrev_b64_e32 v[0:1], 3, v[0:1]
	s_delay_alu instid0(VALU_DEP_1) | instskip(SKIP_1) | instid1(VALU_DEP_2)
	v_add_co_u32 v0, s3, s90, v0
	s_wait_alu 0xf1ff
	v_add_co_ci_u32_e64 v1, null, s91, v1, s3
	global_load_b64 v[0:1], v[0:1], off
	s_wait_loadcnt 0x0
	v_cvt_f16_f32_e32 v0, v0
	v_cvt_f16_f32_e32 v1, v1
	s_delay_alu instid0(VALU_DEP_1) | instskip(SKIP_1) | instid1(VALU_DEP_2)
	v_pack_b32_f16 v0, v0, v1
	v_add_nc_u32_e32 v1, v90, v95
	v_pk_mul_f16 v0, v0, s100
	ds_store_b32 v1, v0 offset:576
.LBB0_193:                              ;   in Loop: Header=BB0_9 Depth=1
	s_wait_alu 0xfffe
	s_or_b32 exec_lo, exec_lo, s0
	v_add_nc_u32_e32 v185, s4, v118
	s_delay_alu instid0(VALU_DEP_1) | instskip(SKIP_1) | instid1(SALU_CYCLE_1)
	v_cmp_gt_i32_e64 s3, s24, v185
	s_and_b32 s43, s3, vcc_lo
	s_xor_b32 s0, s43, -1
	s_wait_alu 0xfffe
	s_and_saveexec_b32 s1, s0
	s_wait_alu 0xfffe
	s_xor_b32 s0, exec_lo, s1
; %bb.194:                              ;   in Loop: Header=BB0_9 Depth=1
	v_add_nc_u32_e32 v0, v90, v95
	ds_store_b32 v0, v93 offset:1152
; %bb.195:                              ;   in Loop: Header=BB0_9 Depth=1
	s_wait_alu 0xfffe
	s_and_not1_saveexec_b32 s0, s0
	s_cbranch_execz .LBB0_197
; %bb.196:                              ;   in Loop: Header=BB0_9 Depth=1
	v_mad_co_u64_u32 v[0:1], null, v185, s7, v[53:54]
	s_delay_alu instid0(VALU_DEP_1) | instskip(NEXT) | instid1(VALU_DEP_1)
	v_ashrrev_i32_e32 v1, 31, v0
	v_lshlrev_b64_e32 v[0:1], 3, v[0:1]
	s_delay_alu instid0(VALU_DEP_1) | instskip(SKIP_1) | instid1(VALU_DEP_2)
	v_add_co_u32 v0, s3, s90, v0
	s_wait_alu 0xf1ff
	v_add_co_ci_u32_e64 v1, null, s91, v1, s3
	global_load_b64 v[0:1], v[0:1], off
	s_wait_loadcnt 0x0
	v_cvt_f16_f32_e32 v0, v0
	v_cvt_f16_f32_e32 v1, v1
	s_delay_alu instid0(VALU_DEP_1) | instskip(SKIP_1) | instid1(VALU_DEP_2)
	v_pack_b32_f16 v0, v0, v1
	v_add_nc_u32_e32 v1, v90, v95
	v_pk_mul_f16 v0, v0, s100
	ds_store_b32 v1, v0 offset:1152
.LBB0_197:                              ;   in Loop: Header=BB0_9 Depth=1
	s_wait_alu 0xfffe
	s_or_b32 exec_lo, exec_lo, s0
	v_add_nc_u32_e32 v184, s4, v119
	s_delay_alu instid0(VALU_DEP_1) | instskip(SKIP_1) | instid1(SALU_CYCLE_1)
	v_cmp_gt_i32_e64 s3, s24, v184
	s_and_b32 s42, s3, vcc_lo
	s_xor_b32 s0, s42, -1
	s_wait_alu 0xfffe
	s_and_saveexec_b32 s1, s0
	s_wait_alu 0xfffe
	s_xor_b32 s0, exec_lo, s1
; %bb.198:                              ;   in Loop: Header=BB0_9 Depth=1
	v_add_nc_u32_e32 v0, v90, v95
	ds_store_b32 v0, v93 offset:1728
; %bb.199:                              ;   in Loop: Header=BB0_9 Depth=1
	s_wait_alu 0xfffe
	s_and_not1_saveexec_b32 s0, s0
	s_cbranch_execz .LBB0_201
; %bb.200:                              ;   in Loop: Header=BB0_9 Depth=1
	v_mad_co_u64_u32 v[0:1], null, v184, s7, v[53:54]
	s_delay_alu instid0(VALU_DEP_1) | instskip(NEXT) | instid1(VALU_DEP_1)
	v_ashrrev_i32_e32 v1, 31, v0
	v_lshlrev_b64_e32 v[0:1], 3, v[0:1]
	s_delay_alu instid0(VALU_DEP_1) | instskip(SKIP_1) | instid1(VALU_DEP_2)
	v_add_co_u32 v0, s3, s90, v0
	s_wait_alu 0xf1ff
	v_add_co_ci_u32_e64 v1, null, s91, v1, s3
	global_load_b64 v[0:1], v[0:1], off
	s_wait_loadcnt 0x0
	v_cvt_f16_f32_e32 v0, v0
	v_cvt_f16_f32_e32 v1, v1
	s_delay_alu instid0(VALU_DEP_1) | instskip(SKIP_1) | instid1(VALU_DEP_2)
	v_pack_b32_f16 v0, v0, v1
	v_add_nc_u32_e32 v1, v90, v95
	v_pk_mul_f16 v0, v0, s100
	ds_store_b32 v1, v0 offset:1728
.LBB0_201:                              ;   in Loop: Header=BB0_9 Depth=1
	s_wait_alu 0xfffe
	s_or_b32 exec_lo, exec_lo, s0
	v_add_nc_u32_e32 v183, s4, v120
	s_delay_alu instid0(VALU_DEP_1)
	v_cmp_gt_i32_e64 s3, s24, v183
	s_and_b32 s41, s3, vcc_lo
	s_wait_alu 0xfffe
	s_xor_b32 s0, s41, -1
	s_wait_alu 0xfffe
	s_and_saveexec_b32 s1, s0
	s_wait_alu 0xfffe
	s_xor_b32 s0, exec_lo, s1
; %bb.202:                              ;   in Loop: Header=BB0_9 Depth=1
	v_add_nc_u32_e32 v0, v90, v95
	ds_store_b32 v0, v93 offset:2304
; %bb.203:                              ;   in Loop: Header=BB0_9 Depth=1
	s_wait_alu 0xfffe
	s_and_not1_saveexec_b32 s0, s0
	s_cbranch_execz .LBB0_205
; %bb.204:                              ;   in Loop: Header=BB0_9 Depth=1
	v_mad_co_u64_u32 v[0:1], null, v183, s7, v[53:54]
	s_delay_alu instid0(VALU_DEP_1) | instskip(NEXT) | instid1(VALU_DEP_1)
	v_ashrrev_i32_e32 v1, 31, v0
	v_lshlrev_b64_e32 v[0:1], 3, v[0:1]
	s_delay_alu instid0(VALU_DEP_1) | instskip(SKIP_1) | instid1(VALU_DEP_2)
	v_add_co_u32 v0, s3, s90, v0
	s_wait_alu 0xf1ff
	v_add_co_ci_u32_e64 v1, null, s91, v1, s3
	global_load_b64 v[0:1], v[0:1], off
	s_wait_loadcnt 0x0
	v_cvt_f16_f32_e32 v0, v0
	v_cvt_f16_f32_e32 v1, v1
	s_delay_alu instid0(VALU_DEP_1) | instskip(SKIP_1) | instid1(VALU_DEP_2)
	v_pack_b32_f16 v0, v0, v1
	v_add_nc_u32_e32 v1, v90, v95
	v_pk_mul_f16 v0, v0, s100
	ds_store_b32 v1, v0 offset:2304
.LBB0_205:                              ;   in Loop: Header=BB0_9 Depth=1
	s_wait_alu 0xfffe
	s_or_b32 exec_lo, exec_lo, s0
	v_add_nc_u32_e32 v182, s4, v121
	s_delay_alu instid0(VALU_DEP_1)
	v_cmp_gt_i32_e64 s3, s24, v182
	s_and_b32 s40, s3, vcc_lo
	s_wait_alu 0xfffe
	s_xor_b32 s0, s40, -1
	s_wait_alu 0xfffe
	s_and_saveexec_b32 s1, s0
	s_wait_alu 0xfffe
	s_xor_b32 s0, exec_lo, s1
; %bb.206:                              ;   in Loop: Header=BB0_9 Depth=1
	v_add_nc_u32_e32 v0, v90, v95
	ds_store_b32 v0, v93 offset:2880
; %bb.207:                              ;   in Loop: Header=BB0_9 Depth=1
	s_wait_alu 0xfffe
	s_and_not1_saveexec_b32 s0, s0
	s_cbranch_execz .LBB0_209
; %bb.208:                              ;   in Loop: Header=BB0_9 Depth=1
	v_mad_co_u64_u32 v[0:1], null, v182, s7, v[53:54]
	s_delay_alu instid0(VALU_DEP_1) | instskip(NEXT) | instid1(VALU_DEP_1)
	v_ashrrev_i32_e32 v1, 31, v0
	v_lshlrev_b64_e32 v[0:1], 3, v[0:1]
	s_delay_alu instid0(VALU_DEP_1) | instskip(SKIP_1) | instid1(VALU_DEP_2)
	v_add_co_u32 v0, s3, s90, v0
	s_wait_alu 0xf1ff
	v_add_co_ci_u32_e64 v1, null, s91, v1, s3
	global_load_b64 v[0:1], v[0:1], off
	s_wait_loadcnt 0x0
	v_cvt_f16_f32_e32 v0, v0
	v_cvt_f16_f32_e32 v1, v1
	s_delay_alu instid0(VALU_DEP_1) | instskip(SKIP_1) | instid1(VALU_DEP_2)
	v_pack_b32_f16 v0, v0, v1
	v_add_nc_u32_e32 v1, v90, v95
	v_pk_mul_f16 v0, v0, s100
	ds_store_b32 v1, v0 offset:2880
.LBB0_209:                              ;   in Loop: Header=BB0_9 Depth=1
	s_wait_alu 0xfffe
	s_or_b32 exec_lo, exec_lo, s0
	v_add_nc_u32_e32 v181, s4, v122
	s_delay_alu instid0(VALU_DEP_1) | instskip(SKIP_1) | instid1(SALU_CYCLE_1)
	v_cmp_gt_i32_e64 s3, s24, v181
	s_and_b32 s51, s3, vcc_lo
	s_xor_b32 s0, s51, -1
	s_wait_alu 0xfffe
	s_and_saveexec_b32 s1, s0
	s_wait_alu 0xfffe
	s_xor_b32 s0, exec_lo, s1
; %bb.210:                              ;   in Loop: Header=BB0_9 Depth=1
	v_add_nc_u32_e32 v0, v90, v95
	ds_store_b32 v0, v93 offset:3456
; %bb.211:                              ;   in Loop: Header=BB0_9 Depth=1
	s_wait_alu 0xfffe
	s_and_not1_saveexec_b32 s0, s0
	s_cbranch_execz .LBB0_213
; %bb.212:                              ;   in Loop: Header=BB0_9 Depth=1
	v_mad_co_u64_u32 v[0:1], null, v181, s7, v[53:54]
	s_delay_alu instid0(VALU_DEP_1) | instskip(NEXT) | instid1(VALU_DEP_1)
	v_ashrrev_i32_e32 v1, 31, v0
	v_lshlrev_b64_e32 v[0:1], 3, v[0:1]
	s_delay_alu instid0(VALU_DEP_1) | instskip(SKIP_1) | instid1(VALU_DEP_2)
	v_add_co_u32 v0, s3, s90, v0
	s_wait_alu 0xf1ff
	v_add_co_ci_u32_e64 v1, null, s91, v1, s3
	global_load_b64 v[0:1], v[0:1], off
	s_wait_loadcnt 0x0
	v_cvt_f16_f32_e32 v0, v0
	v_cvt_f16_f32_e32 v1, v1
	s_delay_alu instid0(VALU_DEP_1) | instskip(SKIP_1) | instid1(VALU_DEP_2)
	v_pack_b32_f16 v0, v0, v1
	v_add_nc_u32_e32 v1, v90, v95
	v_pk_mul_f16 v0, v0, s100
	ds_store_b32 v1, v0 offset:3456
.LBB0_213:                              ;   in Loop: Header=BB0_9 Depth=1
	s_wait_alu 0xfffe
	s_or_b32 exec_lo, exec_lo, s0
	v_add_nc_u32_e32 v180, s4, v123
	s_delay_alu instid0(VALU_DEP_1)
	v_cmp_gt_i32_e64 s3, s24, v180
	s_and_b32 s0, s3, vcc_lo
	s_wait_alu 0xfffe
	s_xor_b32 s1, s0, -1
	s_wait_alu 0xfffe
	s_and_saveexec_b32 s3, s1
	s_wait_alu 0xfffe
	s_xor_b32 s1, exec_lo, s3
; %bb.214:                              ;   in Loop: Header=BB0_9 Depth=1
	v_add_nc_u32_e32 v0, v90, v124
	ds_store_b32 v0, v93
; %bb.215:                              ;   in Loop: Header=BB0_9 Depth=1
	s_wait_alu 0xfffe
	s_and_not1_saveexec_b32 s1, s1
	s_cbranch_execz .LBB0_217
; %bb.216:                              ;   in Loop: Header=BB0_9 Depth=1
	v_mad_co_u64_u32 v[0:1], null, v180, s7, v[53:54]
	s_delay_alu instid0(VALU_DEP_1) | instskip(NEXT) | instid1(VALU_DEP_1)
	v_ashrrev_i32_e32 v1, 31, v0
	v_lshlrev_b64_e32 v[0:1], 3, v[0:1]
	s_delay_alu instid0(VALU_DEP_1) | instskip(SKIP_1) | instid1(VALU_DEP_2)
	v_add_co_u32 v0, s3, s90, v0
	s_wait_alu 0xf1ff
	v_add_co_ci_u32_e64 v1, null, s91, v1, s3
	global_load_b64 v[0:1], v[0:1], off
	s_wait_loadcnt 0x0
	v_cvt_f16_f32_e32 v0, v0
	v_cvt_f16_f32_e32 v1, v1
	s_delay_alu instid0(VALU_DEP_1) | instskip(SKIP_1) | instid1(VALU_DEP_2)
	v_pack_b32_f16 v0, v0, v1
	v_add_nc_u32_e32 v1, v90, v124
	v_pk_mul_f16 v0, v0, s100
	ds_store_b32 v1, v0
.LBB0_217:                              ;   in Loop: Header=BB0_9 Depth=1
	s_wait_alu 0xfffe
	s_or_b32 exec_lo, exec_lo, s1
	v_add_nc_u32_e32 v179, s4, v125
	s_delay_alu instid0(VALU_DEP_1)
	v_cmp_gt_i32_e64 s3, s24, v179
	s_and_b32 s1, s3, vcc_lo
	s_wait_alu 0xfffe
	s_xor_b32 s3, s1, -1
	s_wait_alu 0xfffe
	s_and_saveexec_b32 s5, s3
	s_wait_alu 0xfffe
	s_xor_b32 s3, exec_lo, s5
; %bb.218:                              ;   in Loop: Header=BB0_9 Depth=1
	v_add_nc_u32_e32 v0, v90, v124
	ds_store_b32 v0, v93 offset:576
; %bb.219:                              ;   in Loop: Header=BB0_9 Depth=1
	s_wait_alu 0xfffe
	s_and_not1_saveexec_b32 s5, s3
	s_cbranch_execz .LBB0_221
; %bb.220:                              ;   in Loop: Header=BB0_9 Depth=1
	v_mad_co_u64_u32 v[0:1], null, v179, s7, v[53:54]
	s_delay_alu instid0(VALU_DEP_1) | instskip(NEXT) | instid1(VALU_DEP_1)
	v_ashrrev_i32_e32 v1, 31, v0
	v_lshlrev_b64_e32 v[0:1], 3, v[0:1]
	s_delay_alu instid0(VALU_DEP_1) | instskip(SKIP_1) | instid1(VALU_DEP_2)
	v_add_co_u32 v0, s3, s90, v0
	s_wait_alu 0xf1ff
	v_add_co_ci_u32_e64 v1, null, s91, v1, s3
	global_load_b64 v[0:1], v[0:1], off
	s_wait_loadcnt 0x0
	v_cvt_f16_f32_e32 v0, v0
	v_cvt_f16_f32_e32 v1, v1
	s_delay_alu instid0(VALU_DEP_1) | instskip(SKIP_1) | instid1(VALU_DEP_2)
	v_pack_b32_f16 v0, v0, v1
	v_add_nc_u32_e32 v1, v90, v124
	v_pk_mul_f16 v0, v0, s100
	ds_store_b32 v1, v0 offset:576
.LBB0_221:                              ;   in Loop: Header=BB0_9 Depth=1
	s_wait_alu 0xfffe
	s_or_b32 exec_lo, exec_lo, s5
	v_add_nc_u32_e32 v178, s4, v126
	s_delay_alu instid0(VALU_DEP_1) | instskip(SKIP_1) | instid1(SALU_CYCLE_1)
	v_cmp_gt_i32_e64 s3, s24, v178
	s_and_b32 s44, s3, vcc_lo
	s_xor_b32 s3, s44, -1
	s_wait_alu 0xfffe
	s_and_saveexec_b32 s5, s3
	s_wait_alu 0xfffe
	s_xor_b32 s3, exec_lo, s5
; %bb.222:                              ;   in Loop: Header=BB0_9 Depth=1
	v_add_nc_u32_e32 v0, v90, v124
	ds_store_b32 v0, v93 offset:1152
; %bb.223:                              ;   in Loop: Header=BB0_9 Depth=1
	s_wait_alu 0xfffe
	s_and_not1_saveexec_b32 s5, s3
	s_cbranch_execz .LBB0_225
; %bb.224:                              ;   in Loop: Header=BB0_9 Depth=1
	v_mad_co_u64_u32 v[0:1], null, v178, s7, v[53:54]
	s_delay_alu instid0(VALU_DEP_1) | instskip(NEXT) | instid1(VALU_DEP_1)
	v_ashrrev_i32_e32 v1, 31, v0
	v_lshlrev_b64_e32 v[0:1], 3, v[0:1]
	s_delay_alu instid0(VALU_DEP_1) | instskip(SKIP_1) | instid1(VALU_DEP_2)
	v_add_co_u32 v0, s3, s90, v0
	s_wait_alu 0xf1ff
	v_add_co_ci_u32_e64 v1, null, s91, v1, s3
	global_load_b64 v[0:1], v[0:1], off
	s_wait_loadcnt 0x0
	v_cvt_f16_f32_e32 v0, v0
	v_cvt_f16_f32_e32 v1, v1
	s_delay_alu instid0(VALU_DEP_1) | instskip(SKIP_1) | instid1(VALU_DEP_2)
	v_pack_b32_f16 v0, v0, v1
	v_add_nc_u32_e32 v1, v90, v124
	v_pk_mul_f16 v0, v0, s100
	ds_store_b32 v1, v0 offset:1152
.LBB0_225:                              ;   in Loop: Header=BB0_9 Depth=1
	s_wait_alu 0xfffe
	s_or_b32 exec_lo, exec_lo, s5
	v_add_nc_u32_e32 v177, s4, v127
	s_delay_alu instid0(VALU_DEP_1)
	v_cmp_gt_i32_e64 s3, s24, v177
	s_and_b32 s6, s3, vcc_lo
	s_wait_alu 0xfffe
	s_xor_b32 s3, s6, -1
	s_wait_alu 0xfffe
	s_and_saveexec_b32 s5, s3
	s_wait_alu 0xfffe
	s_xor_b32 s3, exec_lo, s5
; %bb.226:                              ;   in Loop: Header=BB0_9 Depth=1
	v_add_nc_u32_e32 v0, v90, v124
	ds_store_b32 v0, v93 offset:1728
; %bb.227:                              ;   in Loop: Header=BB0_9 Depth=1
	s_wait_alu 0xfffe
	s_and_not1_saveexec_b32 s5, s3
	s_cbranch_execz .LBB0_229
; %bb.228:                              ;   in Loop: Header=BB0_9 Depth=1
	v_mad_co_u64_u32 v[0:1], null, v177, s7, v[53:54]
	s_delay_alu instid0(VALU_DEP_1) | instskip(NEXT) | instid1(VALU_DEP_1)
	v_ashrrev_i32_e32 v1, 31, v0
	v_lshlrev_b64_e32 v[0:1], 3, v[0:1]
	s_delay_alu instid0(VALU_DEP_1) | instskip(SKIP_1) | instid1(VALU_DEP_2)
	v_add_co_u32 v0, s3, s90, v0
	s_wait_alu 0xf1ff
	v_add_co_ci_u32_e64 v1, null, s91, v1, s3
	global_load_b64 v[0:1], v[0:1], off
	s_wait_loadcnt 0x0
	v_cvt_f16_f32_e32 v0, v0
	v_cvt_f16_f32_e32 v1, v1
	s_delay_alu instid0(VALU_DEP_1) | instskip(SKIP_1) | instid1(VALU_DEP_2)
	v_pack_b32_f16 v0, v0, v1
	v_add_nc_u32_e32 v1, v90, v124
	v_pk_mul_f16 v0, v0, s100
	ds_store_b32 v1, v0 offset:1728
.LBB0_229:                              ;   in Loop: Header=BB0_9 Depth=1
	s_wait_alu 0xfffe
	s_or_b32 exec_lo, exec_lo, s5
	v_add_nc_u32_e32 v176, s4, v128
	s_delay_alu instid0(VALU_DEP_1)
	v_cmp_gt_i32_e64 s3, s24, v176
	s_and_b32 s95, s3, vcc_lo
	s_wait_alu 0xfffe
	s_xor_b32 s3, s95, -1
	s_wait_alu 0xfffe
	s_and_saveexec_b32 s5, s3
	s_wait_alu 0xfffe
	s_xor_b32 s3, exec_lo, s5
; %bb.230:                              ;   in Loop: Header=BB0_9 Depth=1
	v_add_nc_u32_e32 v0, v90, v124
	ds_store_b32 v0, v93 offset:2304
; %bb.231:                              ;   in Loop: Header=BB0_9 Depth=1
	s_wait_alu 0xfffe
	s_and_not1_saveexec_b32 s5, s3
	s_cbranch_execz .LBB0_233
; %bb.232:                              ;   in Loop: Header=BB0_9 Depth=1
	v_mad_co_u64_u32 v[0:1], null, v176, s7, v[53:54]
	s_delay_alu instid0(VALU_DEP_1) | instskip(NEXT) | instid1(VALU_DEP_1)
	v_ashrrev_i32_e32 v1, 31, v0
	v_lshlrev_b64_e32 v[0:1], 3, v[0:1]
	s_delay_alu instid0(VALU_DEP_1) | instskip(SKIP_1) | instid1(VALU_DEP_2)
	v_add_co_u32 v0, s3, s90, v0
	s_wait_alu 0xf1ff
	v_add_co_ci_u32_e64 v1, null, s91, v1, s3
	global_load_b64 v[0:1], v[0:1], off
	s_wait_loadcnt 0x0
	v_cvt_f16_f32_e32 v0, v0
	v_cvt_f16_f32_e32 v1, v1
	s_delay_alu instid0(VALU_DEP_1) | instskip(SKIP_1) | instid1(VALU_DEP_2)
	v_pack_b32_f16 v0, v0, v1
	v_add_nc_u32_e32 v1, v90, v124
	v_pk_mul_f16 v0, v0, s100
	ds_store_b32 v1, v0 offset:2304
.LBB0_233:                              ;   in Loop: Header=BB0_9 Depth=1
	s_wait_alu 0xfffe
	s_or_b32 exec_lo, exec_lo, s5
	v_add_nc_u32_e32 v175, s4, v141
	s_delay_alu instid0(VALU_DEP_1) | instskip(SKIP_1) | instid1(SALU_CYCLE_1)
	v_cmp_gt_i32_e64 s3, s24, v175
	s_and_b32 s93, s3, vcc_lo
	s_xor_b32 s3, s93, -1
	s_wait_alu 0xfffe
	s_and_saveexec_b32 s5, s3
	s_wait_alu 0xfffe
	s_xor_b32 s3, exec_lo, s5
; %bb.234:                              ;   in Loop: Header=BB0_9 Depth=1
	v_add_nc_u32_e32 v0, v90, v124
	ds_store_b32 v0, v93 offset:2880
; %bb.235:                              ;   in Loop: Header=BB0_9 Depth=1
	s_wait_alu 0xfffe
	s_and_not1_saveexec_b32 s5, s3
	s_cbranch_execz .LBB0_237
; %bb.236:                              ;   in Loop: Header=BB0_9 Depth=1
	v_mad_co_u64_u32 v[0:1], null, v175, s7, v[53:54]
	s_delay_alu instid0(VALU_DEP_1) | instskip(NEXT) | instid1(VALU_DEP_1)
	v_ashrrev_i32_e32 v1, 31, v0
	v_lshlrev_b64_e32 v[0:1], 3, v[0:1]
	s_delay_alu instid0(VALU_DEP_1) | instskip(SKIP_1) | instid1(VALU_DEP_2)
	v_add_co_u32 v0, s3, s90, v0
	s_wait_alu 0xf1ff
	v_add_co_ci_u32_e64 v1, null, s91, v1, s3
	global_load_b64 v[0:1], v[0:1], off
	s_wait_loadcnt 0x0
	v_cvt_f16_f32_e32 v0, v0
	v_cvt_f16_f32_e32 v1, v1
	s_delay_alu instid0(VALU_DEP_1) | instskip(SKIP_1) | instid1(VALU_DEP_2)
	v_pack_b32_f16 v0, v0, v1
	v_add_nc_u32_e32 v1, v90, v124
	v_pk_mul_f16 v0, v0, s100
	ds_store_b32 v1, v0 offset:2880
.LBB0_237:                              ;   in Loop: Header=BB0_9 Depth=1
	s_wait_alu 0xfffe
	s_or_b32 exec_lo, exec_lo, s5
	v_add_nc_u32_e32 v174, s4, v142
	s_delay_alu instid0(VALU_DEP_1) | instskip(SKIP_1) | instid1(SALU_CYCLE_1)
	v_cmp_gt_i32_e64 s3, s24, v174
	s_and_b32 s92, s3, vcc_lo
	s_xor_b32 s3, s92, -1
	s_wait_alu 0xfffe
	s_and_saveexec_b32 s5, s3
	s_wait_alu 0xfffe
	s_xor_b32 s3, exec_lo, s5
; %bb.238:                              ;   in Loop: Header=BB0_9 Depth=1
	v_add_nc_u32_e32 v0, v90, v124
	ds_store_b32 v0, v93 offset:3456
; %bb.239:                              ;   in Loop: Header=BB0_9 Depth=1
	s_wait_alu 0xfffe
	s_and_not1_saveexec_b32 s5, s3
	s_cbranch_execz .LBB0_241
; %bb.240:                              ;   in Loop: Header=BB0_9 Depth=1
	v_mad_co_u64_u32 v[0:1], null, v174, s7, v[53:54]
	s_delay_alu instid0(VALU_DEP_1) | instskip(NEXT) | instid1(VALU_DEP_1)
	v_ashrrev_i32_e32 v1, 31, v0
	v_lshlrev_b64_e32 v[0:1], 3, v[0:1]
	s_delay_alu instid0(VALU_DEP_1) | instskip(SKIP_1) | instid1(VALU_DEP_2)
	v_add_co_u32 v0, s3, s90, v0
	s_wait_alu 0xf1ff
	v_add_co_ci_u32_e64 v1, null, s91, v1, s3
	global_load_b64 v[0:1], v[0:1], off
	s_wait_loadcnt 0x0
	v_cvt_f16_f32_e32 v0, v0
	v_cvt_f16_f32_e32 v1, v1
	s_delay_alu instid0(VALU_DEP_1) | instskip(SKIP_1) | instid1(VALU_DEP_2)
	v_pack_b32_f16 v0, v0, v1
	v_add_nc_u32_e32 v1, v90, v124
	v_pk_mul_f16 v0, v0, s100
	ds_store_b32 v1, v0 offset:3456
.LBB0_241:                              ;   in Loop: Header=BB0_9 Depth=1
	s_wait_alu 0xfffe
	s_or_b32 exec_lo, exec_lo, s5
	v_add_nc_u32_e32 v173, s4, v145
	s_delay_alu instid0(VALU_DEP_1)
	v_cmp_gt_i32_e64 s3, s24, v173
	s_and_b32 s67, s3, vcc_lo
	s_wait_alu 0xfffe
	s_xor_b32 s3, s67, -1
	s_wait_alu 0xfffe
	s_and_saveexec_b32 s5, s3
	s_wait_alu 0xfffe
	s_xor_b32 s3, exec_lo, s5
; %bb.242:                              ;   in Loop: Header=BB0_9 Depth=1
	v_add_nc_u32_e32 v0, v90, v124
	ds_store_b32 v0, v93 offset:4032
; %bb.243:                              ;   in Loop: Header=BB0_9 Depth=1
	s_wait_alu 0xfffe
	s_and_not1_saveexec_b32 s3, s3
	s_cbranch_execz .LBB0_245
; %bb.244:                              ;   in Loop: Header=BB0_9 Depth=1
	v_mad_co_u64_u32 v[0:1], null, v173, s7, v[53:54]
	s_delay_alu instid0(VALU_DEP_1) | instskip(NEXT) | instid1(VALU_DEP_1)
	v_ashrrev_i32_e32 v1, 31, v0
	v_lshlrev_b64_e32 v[0:1], 3, v[0:1]
	s_delay_alu instid0(VALU_DEP_1) | instskip(SKIP_1) | instid1(VALU_DEP_2)
	v_add_co_u32 v0, vcc_lo, s90, v0
	s_wait_alu 0xfffd
	v_add_co_ci_u32_e64 v1, null, s91, v1, vcc_lo
	global_load_b64 v[0:1], v[0:1], off
	s_wait_loadcnt 0x0
	v_cvt_f16_f32_e32 v0, v0
	v_cvt_f16_f32_e32 v1, v1
	s_delay_alu instid0(VALU_DEP_1) | instskip(SKIP_1) | instid1(VALU_DEP_2)
	v_pack_b32_f16 v0, v0, v1
	v_add_nc_u32_e32 v1, v90, v124
	v_pk_mul_f16 v0, v0, s100
	ds_store_b32 v1, v0 offset:4032
.LBB0_245:                              ;   in Loop: Header=BB0_9 Depth=1
	s_wait_alu 0xfffe
	s_or_b32 exec_lo, exec_lo, s3
	s_wait_storecnt 0x0
	s_wait_loadcnt_dscnt 0x0
	s_barrier_signal -1
	s_barrier_wait -1
	global_inv scope:SCOPE_SE
	ds_load_b128 v[24:27], v91
	ds_load_b128 v[28:31], v91 offset:32
	ds_load_b128 v[20:23], v91 offset:64
	;; [unrolled: 1-line block ×3, first 2 shown]
	s_cmp_gt_i32 s33, 1
	s_mov_b32 s3, -1
	s_wait_loadcnt_dscnt 0x0
	s_barrier_signal -1
	s_barrier_wait -1
	global_inv scope:SCOPE_SE
                                        ; implicit-def: $vgpr54_vgpr55
                                        ; implicit-def: $vgpr192
                                        ; implicit-def: $vgpr193
                                        ; implicit-def: $vgpr58_vgpr59
                                        ; implicit-def: $vgpr56_vgpr57
                                        ; implicit-def: $vgpr68_vgpr69
                                        ; implicit-def: $vgpr66_vgpr67
                                        ; implicit-def: $vgpr60_vgpr61
                                        ; implicit-def: $vgpr62_vgpr63
                                        ; implicit-def: $vgpr64_vgpr65
	s_cbranch_scc1 .LBB0_247
; %bb.246:                              ;   in Loop: Header=BB0_9 Depth=1
	v_dual_mov_b32 v193, 32 :: v_dual_add_nc_u32 v0, s4, v85
	v_add_nc_u32_e32 v2, s4, v86
	v_add_nc_u32_e32 v1, s4, v87
	;; [unrolled: 1-line block ×3, first 2 shown]
	s_delay_alu instid0(VALU_DEP_4)
	v_mul_hi_u32 v3, s36, v0
	v_add_nc_u32_e32 v5, s4, v83
	v_mul_hi_u32 v7, s36, v2
	v_mul_hi_u32 v6, s36, v1
	;; [unrolled: 1-line block ×3, first 2 shown]
	v_add_nc_u32_e32 v10, s4, v82
	v_mul_hi_u32 v9, s36, v5
	v_xor_b32_e32 v192, 16, v172
	v_add_nc_u32_e32 v3, v0, v3
	s_mov_b32 s3, 0
	v_add_nc_u32_e32 v7, v2, v7
	v_add_nc_u32_e32 v6, v1, v6
	;; [unrolled: 1-line block ×3, first 2 shown]
	v_lshrrev_b32_e32 v3, s37, v3
	v_add_nc_u32_e32 v9, v5, v9
	v_lshrrev_b32_e32 v7, s37, v7
	v_lshrrev_b32_e32 v6, s37, v6
	;; [unrolled: 1-line block ×3, first 2 shown]
	v_mul_lo_u32 v3, v3, s24
	v_lshrrev_b32_e32 v9, s37, v9
	v_mul_lo_u32 v7, v7, s24
	v_mul_lo_u32 v6, v6, s24
	;; [unrolled: 1-line block ×3, first 2 shown]
	s_delay_alu instid0(VALU_DEP_4)
	v_mul_lo_u32 v9, v9, s24
	v_sub_nc_u32_e32 v0, v0, v3
	v_add_nc_u32_e32 v3, s4, v81
	v_sub_nc_u32_e32 v2, v2, v7
	v_add_nc_u32_e32 v7, s4, v80
	v_sub_nc_u32_e32 v1, v1, v6
	v_mul_hi_u32 v6, s36, v10
	v_sub_nc_u32_e32 v4, v4, v8
	v_mul_hi_u32 v8, s36, v3
	;; [unrolled: 2-line block ×3, first 2 shown]
	v_mad_co_i64_i32 v[54:55], null, v0, s38, 0
	v_mad_co_i64_i32 v[58:59], null, v1, s38, 0
	v_add_nc_u32_e32 v6, v10, v6
	v_add_nc_u32_e32 v8, v3, v8
	v_mad_co_i64_i32 v[56:57], null, v2, s38, 0
	v_add_nc_u32_e32 v9, v7, v9
	s_delay_alu instid0(VALU_DEP_4) | instskip(NEXT) | instid1(VALU_DEP_4)
	v_lshrrev_b32_e32 v6, s37, v6
	v_lshrrev_b32_e32 v8, s37, v8
	v_mad_co_i64_i32 v[68:69], null, v4, s38, 0
	s_delay_alu instid0(VALU_DEP_4) | instskip(NEXT) | instid1(VALU_DEP_4)
	v_lshrrev_b32_e32 v9, s37, v9
	v_mul_lo_u32 v6, v6, s24
	s_delay_alu instid0(VALU_DEP_4) | instskip(SKIP_1) | instid1(VALU_DEP_4)
	v_mul_lo_u32 v8, v8, s24
	v_mad_co_i64_i32 v[66:67], null, v5, s38, 0
	v_mul_lo_u32 v9, v9, s24
	s_delay_alu instid0(VALU_DEP_4) | instskip(NEXT) | instid1(VALU_DEP_4)
	v_sub_nc_u32_e32 v6, v10, v6
	v_sub_nc_u32_e32 v0, v3, v8
	s_delay_alu instid0(VALU_DEP_3) | instskip(NEXT) | instid1(VALU_DEP_3)
	v_sub_nc_u32_e32 v1, v7, v9
	v_mad_co_i64_i32 v[60:61], null, v6, s38, 0
	s_delay_alu instid0(VALU_DEP_3) | instskip(NEXT) | instid1(VALU_DEP_3)
	v_mad_co_i64_i32 v[62:63], null, v0, s38, 0
	v_mad_co_i64_i32 v[64:65], null, v1, s38, 0
.LBB0_247:                              ;   in Loop: Header=BB0_9 Depth=1
	s_wait_alu 0xfffe
	s_and_not1_b32 vcc_lo, exec_lo, s3
	s_wait_alu 0xfffe
	s_cbranch_vccnz .LBB0_251
; %bb.248:                              ;   in Loop: Header=BB0_9 Depth=1
	scratch_load_b32 v54, off, off offset:12 ; 4-byte Folded Reload
	v_dual_mov_b32 v189, 0 :: v_dual_add_nc_u32 v0, s4, v85
	v_xor_b32_e32 v192, 16, v172
	s_add_nc_u64 s[82:83], s[84:85], s[82:83]
	v_dual_mov_b32 v47, v248 :: v_dual_mov_b32 v144, v247
	s_delay_alu instid0(VALU_DEP_3) | instskip(NEXT) | instid1(VALU_DEP_3)
	v_mul_hi_u32 v1, s36, v0
	v_cmp_gt_i32_e32 vcc_lo, 32, v192
	v_dual_mov_b32 v132, v246 :: v_dual_mov_b32 v147, v245
	v_dual_mov_b32 v146, v244 :: v_dual_mov_b32 v133, v242
	;; [unrolled: 1-line block ×3, first 2 shown]
	v_add_nc_u32_e32 v1, v0, v1
	s_add_co_i32 s33, s33, -1
	v_mov_b32_e32 v13, v189
	s_mov_b32 s56, s33
	v_mov_b32_e32 v12, 0
	v_lshrrev_b32_e32 v1, s37, v1
	v_dual_mov_b32 v15, v189 :: v_dual_mov_b32 v14, v189
	v_dual_mov_b32 v5, v189 :: v_dual_mov_b32 v4, 0
	s_delay_alu instid0(VALU_DEP_3) | instskip(SKIP_3) | instid1(VALU_DEP_4)
	v_mul_lo_u32 v1, v1, s24
	v_dual_mov_b32 v7, v189 :: v_dual_mov_b32 v6, v189
	v_mov_b32_e32 v193, 32
	v_mov_b32_e32 v191, 0xfeffffff
	v_sub_nc_u32_e32 v194, v0, v1
	v_add_nc_u32_e32 v0, s4, v87
	s_delay_alu instid0(VALU_DEP_1) | instskip(NEXT) | instid1(VALU_DEP_1)
	v_mul_hi_u32 v1, s36, v0
	v_add_nc_u32_e32 v1, v0, v1
	s_delay_alu instid0(VALU_DEP_1) | instskip(NEXT) | instid1(VALU_DEP_1)
	v_lshrrev_b32_e32 v1, s37, v1
	v_mul_lo_u32 v1, v1, s24
	s_delay_alu instid0(VALU_DEP_1) | instskip(SKIP_1) | instid1(VALU_DEP_2)
	v_sub_nc_u32_e32 v195, v0, v1
	v_add_nc_u32_e32 v0, s4, v86
	v_mad_co_i64_i32 v[56:57], null, s66, v195, s[80:81]
	s_delay_alu instid0(VALU_DEP_2) | instskip(NEXT) | instid1(VALU_DEP_1)
	v_mul_hi_u32 v1, s36, v0
	v_add_nc_u32_e32 v1, v0, v1
	s_delay_alu instid0(VALU_DEP_1) | instskip(NEXT) | instid1(VALU_DEP_1)
	v_lshrrev_b32_e32 v1, s37, v1
	v_mul_lo_u32 v1, v1, s24
	s_delay_alu instid0(VALU_DEP_1) | instskip(SKIP_1) | instid1(VALU_DEP_2)
	v_sub_nc_u32_e32 v196, v0, v1
	v_add_nc_u32_e32 v0, s4, v84
	v_mad_co_i64_i32 v[58:59], null, s66, v196, s[80:81]
	s_delay_alu instid0(VALU_DEP_2) | instskip(NEXT) | instid1(VALU_DEP_1)
	;; [unrolled: 10-line block ×5, first 2 shown]
	v_mul_hi_u32 v1, s36, v0
	v_add_nc_u32_e32 v1, v0, v1
	s_delay_alu instid0(VALU_DEP_1) | instskip(NEXT) | instid1(VALU_DEP_1)
	v_lshrrev_b32_e32 v1, s37, v1
	v_mul_lo_u32 v1, v1, s24
	s_delay_alu instid0(VALU_DEP_1) | instskip(SKIP_2) | instid1(VALU_DEP_2)
	v_sub_nc_u32_e32 v200, v0, v1
	v_add_nc_u32_e32 v0, s4, v80
	s_add_nc_u64 s[4:5], s[86:87], s[88:89]
	v_mad_co_i64_i32 v[66:67], null, s66, v200, s[80:81]
	s_delay_alu instid0(VALU_DEP_2) | instskip(NEXT) | instid1(VALU_DEP_1)
	v_mul_hi_u32 v1, s36, v0
	v_add_nc_u32_e32 v1, v0, v1
	s_delay_alu instid0(VALU_DEP_1) | instskip(NEXT) | instid1(VALU_DEP_1)
	v_lshrrev_b32_e32 v1, s37, v1
	v_mul_lo_u32 v1, v1, s24
	s_delay_alu instid0(VALU_DEP_1) | instskip(SKIP_2) | instid1(VALU_DEP_2)
	v_sub_nc_u32_e32 v201, v0, v1
	s_wait_alu 0xfffd
	v_cndmask_b32_e32 v0, v172, v192, vcc_lo
	v_mad_co_i64_i32 v[68:69], null, s66, v201, s[80:81]
	s_delay_alu instid0(VALU_DEP_2) | instskip(SKIP_1) | instid1(VALU_DEP_1)
	v_lshlrev_b32_e32 v202, 2, v0
	v_mov_b32_e32 v0, 0
	v_dual_mov_b32 v1, v0 :: v_dual_mov_b32 v2, v0
	v_dual_mov_b32 v3, v0 :: v_dual_mov_b32 v8, v0
	;; [unrolled: 1-line block ×3, first 2 shown]
	v_mov_b32_e32 v11, v0
	s_wait_loadcnt 0x0
	s_wait_alu 0xfffe
	v_add_co_u32 v203, vcc_lo, v54, s4
	scratch_load_b32 v54, off, off offset:16 ; 4-byte Folded Reload
	s_wait_loadcnt 0x0
	s_wait_alu 0xfffd
	v_add_co_ci_u32_e64 v204, null, s5, v54, vcc_lo
	scratch_load_b32 v54, off, off offset:20 ; 4-byte Folded Reload
	s_wait_loadcnt 0x0
	v_add_co_u32 v205, vcc_lo, v54, s4
	scratch_load_b32 v54, off, off offset:24 ; 4-byte Folded Reload
	s_wait_loadcnt 0x0
	s_wait_alu 0xfffd
	v_add_co_ci_u32_e64 v206, null, s5, v54, vcc_lo
	scratch_load_b32 v54, off, off offset:28 ; 4-byte Folded Reload
	s_wait_loadcnt 0x0
	;; [unrolled: 7-line block ×7, first 2 shown]
	v_add_co_u32 v217, vcc_lo, v54, s82
	scratch_load_b32 v54, off, off offset:72 ; 4-byte Folded Reload
	s_wait_loadcnt 0x0
	s_wait_alu 0xfffd
	v_add_co_ci_u32_e64 v218, null, s83, v54, vcc_lo
	v_mad_co_i64_i32 v[54:55], null, s66, v194, s[80:81]
.LBB0_249:                              ;   Parent Loop BB0_9 Depth=1
                                        ; =>  This Inner Loop Header: Depth=2
	s_delay_alu instid0(VALU_DEP_1) | instskip(SKIP_1) | instid1(VALU_DEP_2)
	v_add_co_u32 v70, vcc_lo, v54, v88
	s_wait_alu 0xfffd
	v_add_co_ci_u32_e64 v71, null, 0, v55, vcc_lo
	s_add_co_i32 s56, s56, -1
	s_delay_alu instid0(SALU_CYCLE_1)
	s_cmp_lg_u32 s56, 0
	global_load_b32 v72, v[70:71], off
	v_add_co_u32 v70, vcc_lo, v56, v88
	s_wait_alu 0xfffd
	v_add_co_ci_u32_e64 v71, null, 0, v57, vcc_lo
	global_load_b32 v70, v[70:71], off
	v_add_nc_u32_e32 v71, 0x2400, v190
	s_wait_loadcnt 0x0
	ds_store_2addr_b32 v71, v72, v70 offset1:144
	v_add_co_u32 v70, vcc_lo, v58, v88
	s_wait_alu 0xfffd
	v_add_co_ci_u32_e64 v71, null, 0, v59, vcc_lo
	global_load_b32 v72, v[70:71], off
	v_add_co_u32 v70, vcc_lo, v60, v88
	s_wait_alu 0xfffd
	v_add_co_ci_u32_e64 v71, null, 0, v61, vcc_lo
	global_load_b32 v70, v[70:71], off
	v_add_nc_u32_e32 v71, 0x2800, v190
	s_wait_loadcnt 0x0
	ds_store_2addr_b32 v71, v72, v70 offset0:32 offset1:176
	v_add_co_u32 v70, vcc_lo, v62, v88
	s_wait_alu 0xfffd
	v_add_co_ci_u32_e64 v71, null, 0, v63, vcc_lo
	global_load_b32 v72, v[70:71], off
	v_add_co_u32 v70, vcc_lo, v64, v88
	s_wait_alu 0xfffd
	v_add_co_ci_u32_e64 v71, null, 0, v65, vcc_lo
	global_load_b32 v70, v[70:71], off
	v_add_nc_u32_e32 v71, 0x2c00, v190
	s_wait_loadcnt 0x0
	ds_store_2addr_b32 v71, v72, v70 offset0:64 offset1:208
	;; [unrolled: 11-line block ×3, first 2 shown]
	v_add_co_u32 v70, vcc_lo, v211, v135
	s_wait_alu 0xfffd
	v_add_co_ci_u32_e64 v71, null, 0, v212, vcc_lo
	v_add_co_u32 v72, vcc_lo, v213, v135
	s_wait_alu 0xfffd
	v_add_co_ci_u32_e64 v73, null, 0, v214, vcc_lo
	global_load_b128 v[148:151], v[70:71], off
	global_load_b128 v[152:155], v[72:73], off
	v_add_co_u32 v70, vcc_lo, v215, v135
	s_wait_alu 0xfffd
	v_add_co_ci_u32_e64 v71, null, 0, v216, vcc_lo
	v_add_co_u32 v72, vcc_lo, v217, v135
	s_wait_alu 0xfffd
	v_add_co_ci_u32_e64 v73, null, 0, v218, vcc_lo
	s_wait_loadcnt 0x1
	ds_store_b128 v96, v[148:151]
	s_wait_loadcnt 0x0
	ds_store_b128 v100, v[152:155]
	global_load_b128 v[148:151], v[70:71], off
	global_load_b128 v[152:155], v[72:73], off
	s_wait_loadcnt 0x1
	ds_store_b128 v101, v[148:151]
	s_wait_loadcnt 0x0
	ds_store_b128 v102, v[152:155]
	s_wait_dscnt 0x0
	s_barrier_signal -1
	s_barrier_wait -1
	global_inv scope:SCOPE_SE
	ds_load_b128 v[148:151], v89
	ds_load_b128 v[152:155], v89 offset:32
	s_wait_dscnt 0x1
	v_wmma_f32_16x16x16_f16 v[219:226], v[148:151], v[24:27], 0
	s_wait_dscnt 0x0
	s_delay_alu instid0(VALU_DEP_1)
	v_wmma_f32_16x16x16_f16 v[219:226], v[152:155], v[28:31], v[219:226]
	ds_load_b128 v[148:151], v89 offset:64
	ds_load_b128 v[152:155], v89 offset:96
	s_wait_dscnt 0x1
	v_wmma_f32_16x16x16_f16 v[219:226], v[148:151], v[20:23], v[219:226]
	s_wait_dscnt 0x0
	s_delay_alu instid0(VALU_DEP_1)
	v_wmma_f32_16x16x16_f16 v[219:226], v[152:155], v[16:19], v[219:226]
	v_add_nc_u32_e32 v78, 0x2400, v99
	v_add_nc_u32_e32 v79, 0x2400, v104
	ds_load_b128 v[148:151], v89 offset:2304
	ds_load_b128 v[152:155], v89 offset:2336
	;; [unrolled: 1-line block ×12, first 2 shown]
	s_wait_loadcnt_dscnt 0x0
	s_barrier_signal -1
	s_barrier_wait -1
	global_inv scope:SCOPE_SE
	ds_load_2addr_b32 v[235:236], v78 offset1:1
	ds_load_2addr_b32 v[237:238], v79 offset1:1
	ds_load_b32 v78, v103 offset:9216
	ds_load_b32 v240, v99 offset:9224
	s_wait_dscnt 0x3
	v_cvt_f32_f16_e64 v79, v235
	v_lshrrev_b32_e32 v235, 16, v235
	v_cvt_f32_f16_e64 v239, v236
	v_lshrrev_b32_e32 v236, 16, v236
	s_wait_dscnt 0x0
	v_cvt_f32_f16_e64 v241, v240
	v_lshrrev_b32_e32 v240, 16, v240
	v_lshrrev_b32_e32 v242, 16, v78
	v_cvt_f32_f16_e32 v78, v78
	v_cvt_f32_f16_e64 v235, v235
	v_cvt_f32_f16_e64 v236, v236
	v_cvt_f32_f16_e64 v240, v240
	v_cvt_f32_f16_e64 v242, v242
	v_add_f32_e32 v243, v219, v79
	v_add_f32_e32 v244, v220, v235
	v_dual_add_f32 v245, v221, v239 :: v_dual_add_f32 v246, v222, v236
	v_dual_add_f32 v250, v223, v241 :: v_dual_add_f32 v249, v224, v240
	v_add_f32_e32 v248, v225, v78
	v_add_f32_e32 v247, v226, v242
	v_wmma_f32_16x16x16_f16 v[219:226], v[148:151], v[24:27], 0
	v_add_nc_u32_e32 v78, 0x2400, v105
	s_delay_alu instid0(VALU_DEP_2) | instskip(SKIP_3) | instid1(VALU_DEP_4)
	v_wmma_f32_16x16x16_f16 v[219:226], v[152:155], v[28:31], v[219:226]
	v_add_nc_u32_e32 v152, 0x2400, v108
	v_lshrrev_b32_e32 v155, 16, v237
	v_cvt_f32_f16_e64 v154, v237
	v_wmma_f32_16x16x16_f16 v[219:226], v[227:230], v[20:23], v[219:226]
	v_lshrrev_b32_e32 v228, 16, v238
	v_add_nc_u32_e32 v229, 0x2400, v109
	v_cvt_f32_f16_e64 v227, v238
	v_cvt_f32_f16_e64 v155, v155
	v_wmma_f32_16x16x16_f16 v[219:226], v[231:234], v[16:19], v[219:226]
	v_cvt_f32_f16_e64 v228, v228
	v_add_nc_u32_e32 v79, 0x2400, v107
	s_delay_alu instid0(VALU_DEP_3) | instskip(NEXT) | instid1(VALU_DEP_3)
	v_add_f32_e32 v236, v220, v155
	v_add_f32_e32 v238, v222, v228
	ds_load_2addr_b32 v[148:149], v78 offset1:1
	ds_load_2addr_b32 v[150:151], v79 offset1:1
	;; [unrolled: 1-line block ×4, first 2 shown]
	v_add_f32_e32 v237, v221, v227
	s_wait_dscnt 0x3
	v_cvt_f32_f16_e64 v229, v148
	v_lshrrev_b32_e32 v148, 16, v148
	v_lshrrev_b32_e32 v230, 16, v149
	v_cvt_f32_f16_e64 v149, v149
	v_add_f32_e32 v235, v219, v154
	v_add_f32_e32 v242, v223, v229
	v_cvt_f32_f16_e64 v148, v148
	v_cvt_f32_f16_e64 v230, v230
	s_delay_alu instid0(VALU_DEP_2) | instskip(NEXT) | instid1(VALU_DEP_2)
	v_dual_add_f32 v240, v225, v149 :: v_dual_add_f32 v241, v224, v148
	v_add_f32_e32 v239, v226, v230
	v_wmma_f32_16x16x16_f16 v[219:226], v[251:254], v[24:27], 0
	s_delay_alu instid0(VALU_DEP_1)
	v_wmma_f32_16x16x16_f16 v[219:226], v[70:73], v[28:31], v[219:226]
	s_wait_dscnt 0x2
	v_cvt_f32_f16_e64 v70, v150
	v_lshrrev_b32_e32 v71, 16, v150
	v_cvt_f32_f16_e64 v72, v151
	v_lshrrev_b32_e32 v73, 16, v151
	v_wmma_f32_16x16x16_f16 v[219:226], v[74:77], v[20:23], v[219:226]
	s_wait_dscnt 0x1
	v_cvt_f32_f16_e64 v74, v152
	v_lshrrev_b32_e32 v75, 16, v152
	v_lshrrev_b32_e32 v76, 16, v153
	v_cvt_f32_f16_e64 v77, v153
	v_wmma_f32_16x16x16_f16 v[148:155], v[156:159], v[24:27], 0
	v_wmma_f32_16x16x16_f16 v[219:226], v[137:140], v[16:19], v[219:226]
	v_cvt_f32_f16_e32 v73, v73
	v_cvt_f32_f16_e32 v71, v71
	s_delay_alu instid0(VALU_DEP_4) | instskip(SKIP_1) | instid1(VALU_DEP_4)
	v_wmma_f32_16x16x16_f16 v[148:155], v[160:163], v[28:31], v[148:155]
	v_cvt_f32_f16_e32 v75, v75
	v_dual_add_f32 v229, v221, v72 :: v_dual_add_f32 v230, v222, v73
	s_wait_dscnt 0x0
	v_lshrrev_b32_e32 v73, 16, v78
	v_wmma_f32_16x16x16_f16 v[148:155], v[164:167], v[20:23], v[148:155]
	v_add_f32_e32 v228, v220, v71
	v_cvt_f32_f16_e32 v76, v76
	v_add_f32_e32 v233, v224, v75
	v_cvt_f32_f16_e32 v73, v73
	v_wmma_f32_16x16x16_f16 v[148:155], v[168:171], v[16:19], v[148:155]
	v_add_f32_e32 v227, v219, v70
	v_add_nc_u32_e32 v70, 0x2400, v110
	v_lshrrev_b32_e32 v75, 16, v79
	v_add_f32_e32 v234, v223, v74
	v_add_f32_e32 v232, v225, v77
	v_cvt_f32_f16_e32 v72, v78
	ds_load_2addr_b32 v[70:71], v70 offset1:1
	v_cvt_f32_f16_e32 v75, v75
	v_add_f32_e32 v231, v226, v76
	v_cvt_f32_f16_e32 v74, v79
	v_add_f32_e32 v220, v149, v73
	s_delay_alu instid0(VALU_DEP_4)
	v_add_f32_e32 v222, v151, v75
	s_wait_dscnt 0x0
	v_cvt_f32_f16_e32 v76, v70
	v_lshrrev_b32_e32 v70, 16, v70
	v_lshrrev_b32_e32 v77, 16, v71
	v_cvt_f32_f16_e32 v71, v71
	v_add_f32_e32 v219, v148, v72
	v_dual_add_f32 v221, v150, v74 :: v_dual_add_f32 v226, v152, v76
	v_cvt_f32_f16_e32 v70, v70
	s_delay_alu instid0(VALU_DEP_4) | instskip(SKIP_1) | instid1(VALU_DEP_3)
	v_add_f32_e32 v224, v154, v71
	v_cvt_f32_f16_e32 v77, v77
	v_add_f32_e32 v225, v153, v70
	v_add_co_u32 v70, vcc_lo, v203, v135
	s_wait_alu 0xfffd
	v_add_co_ci_u32_e64 v71, null, 0, v204, vcc_lo
	v_add_co_u32 v74, vcc_lo, v205, v135
	s_wait_alu 0xfffd
	v_add_co_ci_u32_e64 v75, null, 0, v206, vcc_lo
	v_add_f32_e32 v223, v155, v77
	global_load_b128 v[70:73], v[70:71], off
	global_load_b128 v[74:77], v[74:75], off
	s_wait_loadcnt 0x1
	ds_store_b128 v96, v[70:73]
	s_wait_loadcnt 0x0
	ds_store_b128 v100, v[74:77]
	v_add_co_u32 v70, vcc_lo, v207, v135
	s_wait_alu 0xfffd
	v_add_co_ci_u32_e64 v71, null, 0, v208, vcc_lo
	v_add_co_u32 v74, vcc_lo, v209, v135
	s_wait_alu 0xfffd
	v_add_co_ci_u32_e64 v75, null, 0, v210, vcc_lo
	global_load_b128 v[70:73], v[70:71], off
	global_load_b128 v[74:77], v[74:75], off
	s_wait_loadcnt 0x1
	ds_store_b128 v101, v[70:73]
	s_wait_loadcnt 0x0
	ds_store_b128 v102, v[74:77]
	s_wait_dscnt 0x0
	s_barrier_signal -1
	s_barrier_wait -1
	global_inv scope:SCOPE_SE
	ds_load_2addr_b32 v[70:71], v111 offset0:144 offset1:160
	ds_load_2addr_b32 v[72:73], v111 offset0:180 offset1:196
	ds_load_2addr_b32 v[76:77], v112 offset1:16
	ds_load_2addr_b32 v[78:79], v113 offset1:16
	s_wait_dscnt 0x2
	v_perm_b32 v74, v72, v70, 0x7060302
	v_perm_b32 v139, v72, v70, 0x5040100
	s_wait_dscnt 0x0
	v_perm_b32 v75, v78, v76, 0x7060302
	v_perm_b32 v140, v78, v76, 0x5040100
	;; [unrolled: 1-line block ×6, first 2 shown]
	ds_load_2addr_b32 v[70:71], v111 offset0:72 offset1:88
	ds_load_2addr_b32 v[76:77], v111 offset0:108 offset1:124
	s_wait_dscnt 0x0
	v_perm_b32 v73, v76, v70, 0x7060302
	v_perm_b32 v138, v76, v70, 0x5040100
	;; [unrolled: 1-line block ×4, first 2 shown]
	ds_load_2addr_b32 v[70:71], v111 offset1:16
	ds_load_2addr_b32 v[76:77], v111 offset0:36 offset1:52
	s_wait_dscnt 0x0
	v_perm_b32 v72, v76, v70, 0x7060302
	v_perm_b32 v137, v76, v70, 0x5040100
	;; [unrolled: 1-line block ×4, first 2 shown]
	v_mov_b32_e32 v76, v191
	v_dual_add_f32 v70, 0x40051340, v243 :: v_dual_add_f32 v71, 0x40051340, v244
	v_add_f32_e32 v77, 0x40051340, v246
	s_delay_alu instid0(VALU_DEP_2) | instskip(SKIP_1) | instid1(VALU_DEP_1)
	v_max3_num_f32 v70, v76, v70, v71
	v_add_f32_e32 v71, 0x40051340, v245
	v_max3_num_f32 v70, v70, v71, v77
	v_add_f32_e32 v71, 0x40051340, v250
	v_add_f32_e32 v77, 0x40051340, v249
	s_delay_alu instid0(VALU_DEP_1) | instskip(SKIP_2) | instid1(VALU_DEP_1)
	v_max3_num_f32 v70, v70, v71, v77
	v_add_f32_e32 v71, 0x40051340, v248
	v_add_f32_e32 v77, 0x40051340, v247
	v_max3_num_f32 v70, v70, v71, v77
	v_add_f32_e32 v71, 0x40051340, v235
	v_add_f32_e32 v77, 0x40051340, v236
	s_delay_alu instid0(VALU_DEP_1) | instskip(SKIP_2) | instid1(VALU_DEP_1)
	v_max3_num_f32 v70, v70, v71, v77
	v_add_f32_e32 v71, 0x40051340, v237
	;; [unrolled: 7-line block ×7, first 2 shown]
	v_add_f32_e32 v77, 0x40051340, v223
	v_max3_num_f32 v70, v70, v71, v77
	ds_bpermute_b32 v71, v202, v70
	s_wait_dscnt 0x0
	v_max_num_f32_e32 v71, v71, v71
	s_delay_alu instid0(VALU_DEP_1) | instskip(NEXT) | instid1(VALU_DEP_1)
	v_max_num_f32_e32 v191, v70, v71
	v_sub_f32_e32 v70, v250, v191
	s_delay_alu instid0(VALU_DEP_1) | instskip(SKIP_1) | instid1(VALU_DEP_2)
	v_mul_f32_e32 v71, 0x3fb8aa3b, v70
	v_cmp_ngt_f32_e64 s5, 0xc2ce8ed0, v70
	v_fma_f32 v77, 0x3fb8aa3b, v70, -v71
	v_rndne_f32_e32 v78, v71
	s_delay_alu instid0(VALU_DEP_2) | instskip(NEXT) | instid1(VALU_DEP_2)
	v_fmac_f32_e32 v77, 0x32a5705f, v70
	v_sub_f32_e32 v71, v71, v78
	v_cvt_i32_f32_e32 v78, v78
	s_delay_alu instid0(VALU_DEP_2) | instskip(SKIP_1) | instid1(VALU_DEP_2)
	v_add_f32_e32 v71, v71, v77
	v_sub_f32_e32 v77, v249, v191
	v_exp_f32_e32 v71, v71
	s_delay_alu instid0(VALU_DEP_1) | instskip(SKIP_1) | instid1(VALU_DEP_2)
	v_mul_f32_e32 v79, 0x3fb8aa3b, v77
	v_cmp_ngt_f32_e32 vcc_lo, 0xc2ce8ed0, v77
	v_fma_f32 v156, 0x3fb8aa3b, v77, -v79
	v_rndne_f32_e32 v157, v79
	s_delay_alu instid0(TRANS32_DEP_1) | instskip(NEXT) | instid1(VALU_DEP_3)
	v_ldexp_f32 v71, v71, v78
	v_fmac_f32_e32 v156, 0x32a5705f, v77
	s_delay_alu instid0(VALU_DEP_3)
	v_sub_f32_e32 v79, v79, v157
	v_cvt_i32_f32_e32 v157, v157
	s_wait_alu 0xf1ff
	v_cndmask_b32_e64 v71, 0, v71, s5
	v_cmp_nlt_f32_e64 s5, 0x42b17218, v70
	v_dual_add_f32 v79, v79, v156 :: v_dual_sub_f32 v156, v248, v191
	s_delay_alu instid0(VALU_DEP_1) | instskip(NEXT) | instid1(VALU_DEP_1)
	v_exp_f32_e32 v79, v79
	v_mul_f32_e32 v158, 0x3fb8aa3b, v156
	v_cmp_ngt_f32_e64 s3, 0xc2ce8ed0, v156
	v_sub_f32_e32 v76, v76, v191
	s_delay_alu instid0(VALU_DEP_3) | instskip(SKIP_1) | instid1(TRANS32_DEP_1)
	v_fma_f32 v159, 0x3fb8aa3b, v156, -v158
	v_rndne_f32_e32 v160, v158
	v_ldexp_f32 v79, v79, v157
	s_delay_alu instid0(VALU_DEP_3) | instskip(NEXT) | instid1(VALU_DEP_3)
	v_fmac_f32_e32 v159, 0x32a5705f, v156
	v_sub_f32_e32 v158, v158, v160
	v_cvt_i32_f32_e32 v78, v160
	s_wait_alu 0xfffd
	v_cndmask_b32_e32 v79, 0, v79, vcc_lo
	v_cmp_nlt_f32_e32 vcc_lo, 0x42b17218, v77
	v_add_f32_e32 v158, v158, v159
	v_sub_f32_e32 v159, v247, v191
	s_wait_alu 0xf1ff
	v_cndmask_b32_e64 v247, 0x7f800000, v71, s5
	s_wait_alu 0xfffd
	v_cndmask_b32_e32 v248, 0x7f800000, v79, vcc_lo
	v_exp_f32_e32 v158, v158
	v_mul_f32_e32 v161, 0x3fb8aa3b, v159
	v_cmp_ngt_f32_e64 s4, 0xc2ce8ed0, v159
	s_delay_alu instid0(VALU_DEP_2) | instskip(SKIP_1) | instid1(TRANS32_DEP_1)
	v_fma_f32 v162, 0x3fb8aa3b, v159, -v161
	v_rndne_f32_e32 v163, v161
	v_ldexp_f32 v78, v158, v78
	s_delay_alu instid0(VALU_DEP_3) | instskip(NEXT) | instid1(VALU_DEP_3)
	v_fmac_f32_e32 v162, 0x32a5705f, v159
	v_sub_f32_e32 v161, v161, v163
	v_cvt_i32_f32_e32 v157, v163
	s_delay_alu instid0(VALU_DEP_4) | instskip(SKIP_1) | instid1(VALU_DEP_4)
	v_cndmask_b32_e64 v77, 0, v78, s3
	v_cmp_nlt_f32_e64 s3, 0x42b17218, v156
	v_add_f32_e32 v161, v161, v162
	v_cvt_f16_f32_e64 v156, v248
	s_wait_alu 0xf1ff
	s_delay_alu instid0(VALU_DEP_3) | instskip(NEXT) | instid1(VALU_DEP_3)
	v_cndmask_b32_e64 v70, 0x7f800000, v77, s3
	v_exp_f32_e32 v158, v161
	v_cvt_f16_f32_e64 v77, v247
	s_delay_alu instid0(TRANS32_DEP_1) | instskip(NEXT) | instid1(VALU_DEP_2)
	v_ldexp_f32 v157, v158, v157
	v_pack_b32_f16 v158, v77, v156
	v_sub_f32_e32 v77, v246, v191
	s_delay_alu instid0(VALU_DEP_3) | instskip(SKIP_1) | instid1(VALU_DEP_3)
	v_cndmask_b32_e64 v78, 0, v157, s4
	v_cmp_nlt_f32_e64 s4, 0x42b17218, v159
	v_cmp_ngt_f32_e32 vcc_lo, 0xc2ce8ed0, v77
	s_wait_alu 0xf1ff
	s_delay_alu instid0(VALU_DEP_2) | instskip(SKIP_1) | instid1(VALU_DEP_2)
	v_cndmask_b32_e64 v71, 0x7f800000, v78, s4
	v_cvt_f16_f32_e32 v78, v70
	v_cvt_f16_f32_e32 v79, v71
	s_delay_alu instid0(VALU_DEP_1) | instskip(SKIP_1) | instid1(VALU_DEP_1)
	v_pack_b32_f16 v159, v78, v79
	v_mul_f32_e32 v78, 0x3fb8aa3b, v77
	v_fma_f32 v79, 0x3fb8aa3b, v77, -v78
	v_rndne_f32_e32 v156, v78
	s_delay_alu instid0(VALU_DEP_1) | instskip(SKIP_1) | instid1(VALU_DEP_2)
	v_dual_fmac_f32 v79, 0x32a5705f, v77 :: v_dual_sub_f32 v78, v78, v156
	v_cvt_i32_f32_e32 v156, v156
	v_add_f32_e32 v78, v78, v79
	v_sub_f32_e32 v79, v245, v191
	s_delay_alu instid0(VALU_DEP_2) | instskip(NEXT) | instid1(VALU_DEP_1)
	v_exp_f32_e32 v78, v78
	v_mul_f32_e32 v157, 0x3fb8aa3b, v79
	v_cmp_ngt_f32_e64 s3, 0xc2ce8ed0, v79
	s_delay_alu instid0(VALU_DEP_2) | instskip(SKIP_1) | instid1(TRANS32_DEP_1)
	v_fma_f32 v160, 0x3fb8aa3b, v79, -v157
	v_rndne_f32_e32 v161, v157
	v_ldexp_f32 v78, v78, v156
	s_delay_alu instid0(VALU_DEP_2) | instskip(SKIP_2) | instid1(VALU_DEP_3)
	v_dual_fmac_f32 v160, 0x32a5705f, v79 :: v_dual_sub_f32 v157, v157, v161
	v_cvt_i32_f32_e32 v156, v161
	s_wait_alu 0xfffd
	v_cndmask_b32_e32 v78, 0, v78, vcc_lo
	v_cmp_nlt_f32_e32 vcc_lo, 0x42b17218, v77
	s_wait_alu 0xfffd
	s_delay_alu instid0(VALU_DEP_2) | instskip(NEXT) | instid1(VALU_DEP_1)
	v_dual_add_f32 v157, v157, v160 :: v_dual_cndmask_b32 v246, 0x7f800000, v78
	v_exp_f32_e32 v157, v157
	s_delay_alu instid0(VALU_DEP_1) | instskip(NEXT) | instid1(TRANS32_DEP_1)
	v_cvt_f16_f32_e64 v78, v246
	v_ldexp_f32 v156, v157, v156
	s_wait_alu 0xf1ff
	s_delay_alu instid0(VALU_DEP_1) | instskip(SKIP_2) | instid1(VALU_DEP_1)
	v_cndmask_b32_e64 v77, 0, v156, s3
	v_cmp_nlt_f32_e64 s3, 0x42b17218, v79
	s_wait_alu 0xf1ff
	v_cndmask_b32_e64 v245, 0x7f800000, v77, s3
	s_delay_alu instid0(VALU_DEP_1) | instskip(NEXT) | instid1(VALU_DEP_1)
	v_cvt_f16_f32_e64 v77, v245
	v_pack_b32_f16 v157, v77, v78
	v_sub_f32_e32 v77, v244, v191
	s_delay_alu instid0(VALU_DEP_1) | instskip(SKIP_1) | instid1(VALU_DEP_2)
	v_mul_f32_e32 v78, 0x3fb8aa3b, v77
	v_cmp_ngt_f32_e32 vcc_lo, 0xc2ce8ed0, v77
	v_fma_f32 v79, 0x3fb8aa3b, v77, -v78
	v_rndne_f32_e32 v156, v78
	s_delay_alu instid0(VALU_DEP_1) | instskip(SKIP_1) | instid1(VALU_DEP_2)
	v_dual_fmac_f32 v79, 0x32a5705f, v77 :: v_dual_sub_f32 v78, v78, v156
	v_cvt_i32_f32_e32 v156, v156
	v_add_f32_e32 v78, v78, v79
	v_sub_f32_e32 v79, v243, v191
	s_delay_alu instid0(VALU_DEP_2) | instskip(NEXT) | instid1(VALU_DEP_1)
	v_exp_f32_e32 v78, v78
	v_mul_f32_e32 v160, 0x3fb8aa3b, v79
	v_cmp_ngt_f32_e64 s3, 0xc2ce8ed0, v79
	s_delay_alu instid0(VALU_DEP_2) | instskip(SKIP_1) | instid1(TRANS32_DEP_1)
	v_fma_f32 v161, 0x3fb8aa3b, v79, -v160
	v_rndne_f32_e32 v162, v160
	v_ldexp_f32 v78, v78, v156
	s_delay_alu instid0(VALU_DEP_2) | instskip(SKIP_2) | instid1(VALU_DEP_3)
	v_dual_fmac_f32 v161, 0x32a5705f, v79 :: v_dual_sub_f32 v160, v160, v162
	v_cvt_i32_f32_e32 v156, v162
	s_wait_alu 0xfffd
	v_cndmask_b32_e32 v78, 0, v78, vcc_lo
	v_cmp_nlt_f32_e32 vcc_lo, 0x42b17218, v77
	s_wait_alu 0xfffd
	s_delay_alu instid0(VALU_DEP_2) | instskip(NEXT) | instid1(VALU_DEP_1)
	v_dual_add_f32 v160, v160, v161 :: v_dual_cndmask_b32 v249, 0x7f800000, v78
	v_exp_f32_e32 v160, v160
	v_cmp_ngt_f32_e32 vcc_lo, 0xc2ce8ed0, v76
	s_delay_alu instid0(VALU_DEP_2) | instskip(NEXT) | instid1(TRANS32_DEP_1)
	v_cvt_f16_f32_e64 v78, v249
	v_ldexp_f32 v156, v160, v156
	s_wait_alu 0xf1ff
	s_delay_alu instid0(VALU_DEP_1) | instskip(SKIP_2) | instid1(VALU_DEP_1)
	v_cndmask_b32_e64 v77, 0, v156, s3
	v_cmp_nlt_f32_e64 s3, 0x42b17218, v79
	s_wait_alu 0xf1ff
	v_cndmask_b32_e64 v244, 0x7f800000, v77, s3
	s_delay_alu instid0(VALU_DEP_1) | instskip(NEXT) | instid1(VALU_DEP_1)
	v_cvt_f16_f32_e64 v77, v244
	v_pack_b32_f16 v156, v77, v78
	v_mul_f32_e32 v77, 0x3fb8aa3b, v76
	s_delay_alu instid0(VALU_DEP_1) | instskip(SKIP_1) | instid1(VALU_DEP_1)
	v_fma_f32 v78, 0x3fb8aa3b, v76, -v77
	v_rndne_f32_e32 v79, v77
	v_dual_fmac_f32 v78, 0x32a5705f, v76 :: v_dual_sub_f32 v77, v77, v79
	s_delay_alu instid0(VALU_DEP_1) | instskip(SKIP_1) | instid1(VALU_DEP_2)
	v_add_f32_e32 v77, v77, v78
	v_cvt_i32_f32_e32 v78, v79
	v_exp_f32_e32 v77, v77
	s_delay_alu instid0(TRANS32_DEP_1) | instskip(SKIP_1) | instid1(VALU_DEP_1)
	v_ldexp_f32 v77, v77, v78
	s_wait_alu 0xfffd
	v_cndmask_b32_e32 v77, 0, v77, vcc_lo
	v_cmp_nlt_f32_e32 vcc_lo, 0x42b17218, v76
	s_wait_alu 0xfffd
	s_delay_alu instid0(VALU_DEP_2) | instskip(SKIP_2) | instid1(VALU_DEP_2)
	v_cndmask_b32_e32 v77, 0x7f800000, v77, vcc_lo
	v_cmp_le_f32_e32 vcc_lo, 0xc1a00000, v76
	s_wait_alu 0xfffd
	v_cndmask_b32_e32 v243, 0, v77, vcc_lo
	s_delay_alu instid0(VALU_DEP_1) | instskip(NEXT) | instid1(VALU_DEP_1)
	v_cvt_f16_f32_e64 v76, v243
	v_and_b32_e32 v76, 0xffff, v76
	s_delay_alu instid0(VALU_DEP_1) | instskip(NEXT) | instid1(VALU_DEP_1)
	v_mul_u32_u24_e32 v76, 0x10001, v76
	v_pk_mul_f16 v12, v12, v76
	v_pk_mul_f16 v13, v13, v76
	;; [unrolled: 1-line block ×12, first 2 shown]
	v_wmma_f16_16x16x16_f16 v[12:15], v[72:75], v[156:159], v[12:15]
	v_add_nc_u32_e32 v72, 0xa00, v111
	v_add_nc_u32_e32 v74, 0x800, v112
	;; [unrolled: 1-line block ×3, first 2 shown]
	v_wmma_f16_16x16x16_f16 v[4:7], v[148:151], v[156:159], v[4:7]
	v_add_nc_u32_e32 v148, 0x800, v111
	v_wmma_f16_16x16x16_f16 v[0:3], v[137:140], v[156:159], v[0:3]
	v_pk_mul_f16 v8, v8, v76
	v_pk_mul_f16 v9, v9, v76
	;; [unrolled: 1-line block ×4, first 2 shown]
	ds_load_2addr_b32 v[72:73], v72 offset0:116 offset1:132
	ds_load_2addr_b32 v[76:77], v74 offset0:64 offset1:80
	;; [unrolled: 1-line block ×4, first 2 shown]
	v_wmma_f16_16x16x16_f16 v[8:11], v[152:155], v[156:159], v[8:11]
	s_wait_dscnt 0x1
	v_perm_b32 v75, v78, v76, 0x7060302
	v_perm_b32 v140, v78, v76, 0x5040100
	;; [unrolled: 1-line block ×4, first 2 shown]
	ds_load_2addr_b32 v[76:77], v148 offset0:136 offset1:152
	ds_load_2addr_b32 v[78:79], v148 offset0:172 offset1:188
	s_wait_dscnt 0x2
	v_perm_b32 v150, v73, v138, 0x7060302
	v_perm_b32 v154, v73, v138, 0x5040100
	;; [unrolled: 1-line block ×4, first 2 shown]
	s_wait_dscnt 0x0
	v_perm_b32 v73, v78, v76, 0x7060302
	v_perm_b32 v138, v78, v76, 0x5040100
	;; [unrolled: 1-line block ×4, first 2 shown]
	ds_load_2addr_b32 v[76:77], v148 offset0:64 offset1:80
	ds_load_2addr_b32 v[78:79], v148 offset0:100 offset1:116
	s_wait_dscnt 0x0
	v_perm_b32 v72, v78, v76, 0x7060302
	v_perm_b32 v137, v78, v76, 0x5040100
	v_sub_f32_e32 v76, v242, v191
	v_perm_b32 v148, v79, v77, 0x7060302
	v_perm_b32 v152, v79, v77, 0x5040100
	s_delay_alu instid0(VALU_DEP_3) | instskip(SKIP_1) | instid1(VALU_DEP_2)
	v_mul_f32_e32 v77, 0x3fb8aa3b, v76
	v_cmp_ngt_f32_e64 s5, 0xc2ce8ed0, v76
	v_fma_f32 v78, 0x3fb8aa3b, v76, -v77
	v_rndne_f32_e32 v79, v77
	s_delay_alu instid0(VALU_DEP_1) | instskip(SKIP_1) | instid1(VALU_DEP_2)
	v_dual_fmac_f32 v78, 0x32a5705f, v76 :: v_dual_sub_f32 v77, v77, v79
	v_cvt_i32_f32_e32 v79, v79
	v_add_f32_e32 v77, v77, v78
	v_sub_f32_e32 v78, v241, v191
	s_delay_alu instid0(VALU_DEP_2) | instskip(NEXT) | instid1(VALU_DEP_1)
	v_exp_f32_e32 v77, v77
	v_mul_f32_e32 v156, 0x3fb8aa3b, v78
	v_cmp_ngt_f32_e32 vcc_lo, 0xc2ce8ed0, v78
	s_delay_alu instid0(VALU_DEP_2) | instskip(SKIP_1) | instid1(TRANS32_DEP_1)
	v_fma_f32 v157, 0x3fb8aa3b, v78, -v156
	v_rndne_f32_e32 v158, v156
	v_ldexp_f32 v77, v77, v79
	s_delay_alu instid0(VALU_DEP_3) | instskip(NEXT) | instid1(VALU_DEP_3)
	v_fmac_f32_e32 v157, 0x32a5705f, v78
	v_sub_f32_e32 v156, v156, v158
	v_cvt_i32_f32_e32 v158, v158
	s_wait_alu 0xf1ff
	v_cndmask_b32_e64 v77, 0, v77, s5
	v_cmp_nlt_f32_e64 s5, 0x42b17218, v76
	v_add_f32_e32 v156, v156, v157
	v_sub_f32_e32 v157, v240, v191
	s_wait_alu 0xf1ff
	s_delay_alu instid0(VALU_DEP_3) | instskip(NEXT) | instid1(VALU_DEP_3)
	v_cndmask_b32_e64 v241, 0x7f800000, v77, s5
	v_exp_f32_e32 v156, v156
	s_delay_alu instid0(VALU_DEP_2) | instskip(SKIP_1) | instid1(VALU_DEP_3)
	v_mul_f32_e32 v159, 0x3fb8aa3b, v157
	v_cmp_ngt_f32_e64 s3, 0xc2ce8ed0, v157
	v_cvt_f16_f32_e64 v76, v241
	s_delay_alu instid0(VALU_DEP_3) | instskip(SKIP_1) | instid1(TRANS32_DEP_1)
	v_fma_f32 v160, 0x3fb8aa3b, v157, -v159
	v_rndne_f32_e32 v161, v159
	v_ldexp_f32 v156, v156, v158
	s_delay_alu instid0(VALU_DEP_3) | instskip(NEXT) | instid1(VALU_DEP_3)
	v_fmac_f32_e32 v160, 0x32a5705f, v157
	v_sub_f32_e32 v159, v159, v161
	v_cvt_i32_f32_e32 v79, v161
	s_wait_alu 0xfffd
	v_cndmask_b32_e32 v156, 0, v156, vcc_lo
	v_cmp_nlt_f32_e32 vcc_lo, 0x42b17218, v78
	v_add_f32_e32 v159, v159, v160
	v_sub_f32_e32 v160, v239, v191
	s_wait_alu 0xfffd
	v_cndmask_b32_e32 v242, 0x7f800000, v156, vcc_lo
	s_delay_alu instid0(VALU_DEP_3) | instskip(NEXT) | instid1(VALU_DEP_2)
	v_exp_f32_e32 v159, v159
	v_mul_f32_e32 v162, 0x3fb8aa3b, v160
	v_cmp_ngt_f32_e64 s4, 0xc2ce8ed0, v160
	s_delay_alu instid0(VALU_DEP_2) | instskip(SKIP_1) | instid1(TRANS32_DEP_1)
	v_fma_f32 v163, 0x3fb8aa3b, v160, -v162
	v_rndne_f32_e32 v164, v162
	v_ldexp_f32 v79, v159, v79
	s_delay_alu instid0(VALU_DEP_3) | instskip(NEXT) | instid1(VALU_DEP_3)
	v_fmac_f32_e32 v163, 0x32a5705f, v160
	v_sub_f32_e32 v162, v162, v164
	v_cvt_i32_f32_e32 v158, v164
	s_wait_alu 0xf1ff
	v_cndmask_b32_e64 v78, 0, v79, s3
	v_cmp_nlt_f32_e64 s3, 0x42b17218, v157
	v_add_f32_e32 v162, v162, v163
	s_wait_alu 0xf1ff
	s_delay_alu instid0(VALU_DEP_2) | instskip(NEXT) | instid1(VALU_DEP_2)
	v_cndmask_b32_e64 v239, 0x7f800000, v78, s3
	v_exp_f32_e32 v159, v162
	v_sub_f32_e32 v221, v221, v191
	s_delay_alu instid0(VALU_DEP_2) | instskip(NEXT) | instid1(TRANS32_DEP_1)
	v_cvt_f16_f32_e64 v77, v239
	v_ldexp_f32 v158, v159, v158
	s_delay_alu instid0(VALU_DEP_1) | instskip(SKIP_2) | instid1(VALU_DEP_1)
	v_cndmask_b32_e64 v79, 0, v158, s4
	v_cmp_nlt_f32_e64 s4, 0x42b17218, v160
	s_wait_alu 0xf1ff
	v_cndmask_b32_e64 v240, 0x7f800000, v79, s4
	v_cvt_f16_f32_e64 v79, v242
	s_delay_alu instid0(VALU_DEP_2) | instskip(NEXT) | instid1(VALU_DEP_2)
	v_cvt_f16_f32_e64 v78, v240
	v_pack_b32_f16 v158, v76, v79
	v_sub_f32_e32 v76, v238, v191
	s_delay_alu instid0(VALU_DEP_3) | instskip(NEXT) | instid1(VALU_DEP_2)
	v_pack_b32_f16 v159, v77, v78
	v_mul_f32_e32 v77, 0x3fb8aa3b, v76
	v_cmp_ngt_f32_e32 vcc_lo, 0xc2ce8ed0, v76
	s_delay_alu instid0(VALU_DEP_2) | instskip(SKIP_1) | instid1(VALU_DEP_1)
	v_fma_f32 v78, 0x3fb8aa3b, v76, -v77
	v_rndne_f32_e32 v79, v77
	v_dual_fmac_f32 v78, 0x32a5705f, v76 :: v_dual_sub_f32 v77, v77, v79
	v_cvt_i32_f32_e32 v79, v79
	s_delay_alu instid0(VALU_DEP_2) | instskip(SKIP_1) | instid1(VALU_DEP_2)
	v_add_f32_e32 v77, v77, v78
	v_sub_f32_e32 v78, v237, v191
	v_exp_f32_e32 v77, v77
	s_delay_alu instid0(VALU_DEP_1) | instskip(SKIP_1) | instid1(VALU_DEP_2)
	v_mul_f32_e32 v156, 0x3fb8aa3b, v78
	v_cmp_ngt_f32_e64 s3, 0xc2ce8ed0, v78
	v_fma_f32 v157, 0x3fb8aa3b, v78, -v156
	v_rndne_f32_e32 v160, v156
	s_delay_alu instid0(TRANS32_DEP_1) | instskip(NEXT) | instid1(VALU_DEP_2)
	v_ldexp_f32 v77, v77, v79
	v_dual_fmac_f32 v157, 0x32a5705f, v78 :: v_dual_sub_f32 v156, v156, v160
	v_cvt_i32_f32_e32 v79, v160
	s_wait_alu 0xfffd
	s_delay_alu instid0(VALU_DEP_3) | instskip(SKIP_3) | instid1(VALU_DEP_3)
	v_cndmask_b32_e32 v77, 0, v77, vcc_lo
	v_cmp_nlt_f32_e32 vcc_lo, 0x42b17218, v76
	v_add_f32_e32 v156, v156, v157
	s_wait_alu 0xfffd
	v_cndmask_b32_e32 v161, 0x7f800000, v77, vcc_lo
	s_delay_alu instid0(VALU_DEP_2) | instskip(SKIP_1) | instid1(VALU_DEP_2)
	v_exp_f32_e32 v156, v156
	v_sub_f32_e32 v223, v223, v191
	v_cvt_f16_f32_e64 v77, v161
	s_delay_alu instid0(TRANS32_DEP_1) | instskip(SKIP_1) | instid1(VALU_DEP_1)
	v_ldexp_f32 v79, v156, v79
	s_wait_alu 0xf1ff
	v_cndmask_b32_e64 v76, 0, v79, s3
	v_cmp_nlt_f32_e64 s3, 0x42b17218, v78
	s_wait_alu 0xf1ff
	s_delay_alu instid0(VALU_DEP_1) | instskip(NEXT) | instid1(VALU_DEP_1)
	v_cndmask_b32_e64 v160, 0x7f800000, v76, s3
	v_cvt_f16_f32_e64 v76, v160
	s_delay_alu instid0(VALU_DEP_1) | instskip(SKIP_1) | instid1(VALU_DEP_1)
	v_pack_b32_f16 v157, v76, v77
	v_sub_f32_e32 v76, v236, v191
	v_mul_f32_e32 v77, 0x3fb8aa3b, v76
	v_cmp_ngt_f32_e32 vcc_lo, 0xc2ce8ed0, v76
	s_delay_alu instid0(VALU_DEP_2) | instskip(SKIP_1) | instid1(VALU_DEP_1)
	v_fma_f32 v78, 0x3fb8aa3b, v76, -v77
	v_rndne_f32_e32 v79, v77
	v_dual_fmac_f32 v78, 0x32a5705f, v76 :: v_dual_sub_f32 v77, v77, v79
	v_cvt_i32_f32_e32 v79, v79
	s_delay_alu instid0(VALU_DEP_2) | instskip(NEXT) | instid1(VALU_DEP_1)
	v_dual_add_f32 v77, v77, v78 :: v_dual_sub_f32 v78, v235, v191
	v_exp_f32_e32 v77, v77
	s_delay_alu instid0(VALU_DEP_1) | instskip(SKIP_1) | instid1(VALU_DEP_2)
	v_mul_f32_e32 v156, 0x3fb8aa3b, v78
	v_cmp_ngt_f32_e64 s3, 0xc2ce8ed0, v78
	v_fma_f32 v162, 0x3fb8aa3b, v78, -v156
	v_rndne_f32_e32 v163, v156
	s_delay_alu instid0(TRANS32_DEP_1) | instskip(NEXT) | instid1(VALU_DEP_3)
	v_ldexp_f32 v77, v77, v79
	v_fmac_f32_e32 v162, 0x32a5705f, v78
	s_delay_alu instid0(VALU_DEP_3)
	v_sub_f32_e32 v156, v156, v163
	v_cvt_i32_f32_e32 v79, v163
	s_wait_alu 0xfffd
	v_cndmask_b32_e32 v77, 0, v77, vcc_lo
	v_cmp_nlt_f32_e32 vcc_lo, 0x42b17218, v76
	s_wait_alu 0xfffd
	s_delay_alu instid0(VALU_DEP_2) | instskip(NEXT) | instid1(VALU_DEP_1)
	v_dual_add_f32 v156, v156, v162 :: v_dual_cndmask_b32 v163, 0x7f800000, v77
	v_exp_f32_e32 v156, v156
	s_delay_alu instid0(VALU_DEP_1) | instskip(NEXT) | instid1(TRANS32_DEP_1)
	v_cvt_f16_f32_e64 v77, v163
	v_ldexp_f32 v79, v156, v79
	s_wait_alu 0xf1ff
	s_delay_alu instid0(VALU_DEP_1) | instskip(SKIP_2) | instid1(VALU_DEP_1)
	v_cndmask_b32_e64 v76, 0, v79, s3
	v_cmp_nlt_f32_e64 s3, 0x42b17218, v78
	s_wait_alu 0xf1ff
	v_cndmask_b32_e64 v162, 0x7f800000, v76, s3
	s_delay_alu instid0(VALU_DEP_1) | instskip(NEXT) | instid1(VALU_DEP_1)
	v_cvt_f16_f32_e64 v76, v162
	v_pack_b32_f16 v156, v76, v77
	s_delay_alu instid0(VALU_DEP_1)
	v_wmma_f16_16x16x16_f16 v[12:15], v[72:75], v[156:159], v[12:15]
	v_add_nc_u32_e32 v74, 0x1400, v111
	v_add_nc_u32_e32 v75, 0x1000, v112
	v_wmma_f16_16x16x16_f16 v[0:3], v[137:140], v[156:159], v[0:3]
	v_add_nc_u32_e32 v137, 0x1000, v113
	ds_load_2addr_b32 v[72:73], v74 offset0:16 offset1:32
	ds_load_2addr_b32 v[76:77], v74 offset0:52 offset1:68
	;; [unrolled: 1-line block ×4, first 2 shown]
	v_wmma_f16_16x16x16_f16 v[8:11], v[152:155], v[156:159], v[8:11]
	v_wmma_f16_16x16x16_f16 v[4:7], v[148:151], v[156:159], v[4:7]
	s_wait_dscnt 0x2
	v_perm_b32 v74, v76, v72, 0x7060302
	v_perm_b32 v139, v76, v72, 0x5040100
	v_add_nc_u32_e32 v72, 0x1000, v111
	s_wait_dscnt 0x0
	v_perm_b32 v75, v137, v78, 0x7060302
	v_perm_b32 v140, v137, v78, 0x5040100
	v_perm_b32 v150, v77, v73, 0x7060302
	v_perm_b32 v151, v138, v79, 0x7060302
	v_perm_b32 v155, v138, v79, 0x5040100
	v_perm_b32 v154, v77, v73, 0x5040100
	ds_load_2addr_b32 v[76:77], v72 offset0:200 offset1:216
	ds_load_2addr_b32 v[78:79], v72 offset0:236 offset1:252
	s_wait_dscnt 0x0
	v_perm_b32 v73, v78, v76, 0x7060302
	v_perm_b32 v138, v78, v76, 0x5040100
	;; [unrolled: 1-line block ×4, first 2 shown]
	ds_load_2addr_b32 v[76:77], v72 offset0:128 offset1:144
	ds_load_2addr_b32 v[78:79], v72 offset0:164 offset1:180
	s_wait_dscnt 0x0
	v_perm_b32 v72, v78, v76, 0x7060302
	v_perm_b32 v137, v78, v76, 0x5040100
	v_sub_f32_e32 v76, v234, v191
	v_perm_b32 v148, v79, v77, 0x7060302
	v_perm_b32 v152, v79, v77, 0x5040100
	s_delay_alu instid0(VALU_DEP_3) | instskip(SKIP_1) | instid1(VALU_DEP_2)
	v_mul_f32_e32 v77, 0x3fb8aa3b, v76
	v_cmp_ngt_f32_e64 s5, 0xc2ce8ed0, v76
	v_fma_f32 v78, 0x3fb8aa3b, v76, -v77
	v_rndne_f32_e32 v79, v77
	s_delay_alu instid0(VALU_DEP_1) | instskip(SKIP_1) | instid1(VALU_DEP_2)
	v_dual_fmac_f32 v78, 0x32a5705f, v76 :: v_dual_sub_f32 v77, v77, v79
	v_cvt_i32_f32_e32 v79, v79
	v_add_f32_e32 v77, v77, v78
	v_sub_f32_e32 v78, v233, v191
	s_delay_alu instid0(VALU_DEP_2) | instskip(NEXT) | instid1(VALU_DEP_1)
	v_exp_f32_e32 v77, v77
	v_mul_f32_e32 v156, 0x3fb8aa3b, v78
	v_cmp_ngt_f32_e32 vcc_lo, 0xc2ce8ed0, v78
	s_delay_alu instid0(VALU_DEP_2) | instskip(SKIP_1) | instid1(TRANS32_DEP_1)
	v_fma_f32 v157, 0x3fb8aa3b, v78, -v156
	v_rndne_f32_e32 v158, v156
	v_ldexp_f32 v77, v77, v79
	s_delay_alu instid0(VALU_DEP_3) | instskip(NEXT) | instid1(VALU_DEP_3)
	v_fmac_f32_e32 v157, 0x32a5705f, v78
	v_sub_f32_e32 v156, v156, v158
	v_cvt_i32_f32_e32 v158, v158
	s_wait_alu 0xf1ff
	v_cndmask_b32_e64 v77, 0, v77, s5
	v_cmp_nlt_f32_e64 s5, 0x42b17218, v76
	v_add_f32_e32 v156, v156, v157
	v_sub_f32_e32 v157, v232, v191
	s_delay_alu instid0(VALU_DEP_2) | instskip(NEXT) | instid1(VALU_DEP_1)
	v_exp_f32_e32 v156, v156
	v_mul_f32_e32 v159, 0x3fb8aa3b, v157
	v_cmp_ngt_f32_e64 s3, 0xc2ce8ed0, v157
	s_delay_alu instid0(VALU_DEP_2) | instskip(SKIP_1) | instid1(TRANS32_DEP_1)
	v_fma_f32 v164, 0x3fb8aa3b, v157, -v159
	v_rndne_f32_e32 v165, v159
	v_ldexp_f32 v156, v156, v158
	s_delay_alu instid0(VALU_DEP_3) | instskip(NEXT) | instid1(VALU_DEP_3)
	v_fmac_f32_e32 v164, 0x32a5705f, v157
	v_sub_f32_e32 v159, v159, v165
	v_cvt_i32_f32_e32 v79, v165
	s_wait_alu 0xfffd
	v_cndmask_b32_e32 v156, 0, v156, vcc_lo
	v_cmp_nlt_f32_e32 vcc_lo, 0x42b17218, v78
	v_add_f32_e32 v159, v159, v164
	v_sub_f32_e32 v164, v231, v191
	s_delay_alu instid0(VALU_DEP_2) | instskip(NEXT) | instid1(VALU_DEP_1)
	v_exp_f32_e32 v159, v159
	v_mul_f32_e32 v166, 0x3fb8aa3b, v164
	v_cmp_ngt_f32_e64 s4, 0xc2ce8ed0, v164
	s_delay_alu instid0(VALU_DEP_2) | instskip(SKIP_1) | instid1(TRANS32_DEP_1)
	v_fma_f32 v167, 0x3fb8aa3b, v164, -v166
	v_rndne_f32_e32 v168, v166
	v_ldexp_f32 v79, v159, v79
	s_delay_alu instid0(VALU_DEP_3) | instskip(NEXT) | instid1(VALU_DEP_3)
	v_fmac_f32_e32 v167, 0x32a5705f, v164
	v_sub_f32_e32 v166, v166, v168
	v_cvt_i32_f32_e32 v158, v168
	s_wait_alu 0xf1ff
	v_cndmask_b32_e64 v78, 0, v79, s3
	v_cmp_nlt_f32_e64 s3, 0x42b17218, v157
	s_wait_alu 0xfffd
	v_dual_add_f32 v166, v166, v167 :: v_dual_cndmask_b32 v167, 0x7f800000, v156
	s_wait_alu 0xf1ff
	s_delay_alu instid0(VALU_DEP_2) | instskip(NEXT) | instid1(VALU_DEP_2)
	v_cndmask_b32_e64 v165, 0x7f800000, v78, s3
	v_exp_f32_e32 v159, v166
	s_delay_alu instid0(TRANS32_DEP_1) | instskip(NEXT) | instid1(VALU_DEP_1)
	v_ldexp_f32 v158, v159, v158
	v_cndmask_b32_e64 v79, 0, v158, s4
	v_cmp_nlt_f32_e64 s4, 0x42b17218, v164
	v_cndmask_b32_e64 v164, 0x7f800000, v77, s5
	v_cvt_f16_f32_e64 v77, v165
	s_wait_alu 0xf1ff
	s_delay_alu instid0(VALU_DEP_3) | instskip(NEXT) | instid1(VALU_DEP_3)
	v_cndmask_b32_e64 v166, 0x7f800000, v79, s4
	v_cvt_f16_f32_e64 v76, v164
	v_cvt_f16_f32_e64 v79, v167
	v_cmp_ngt_f32_e64 s4, 0xc2ce8ed0, v223
	s_delay_alu instid0(VALU_DEP_4) | instskip(NEXT) | instid1(VALU_DEP_3)
	v_cvt_f16_f32_e64 v78, v166
	v_pack_b32_f16 v158, v76, v79
	v_sub_f32_e32 v76, v230, v191
	s_delay_alu instid0(VALU_DEP_3) | instskip(NEXT) | instid1(VALU_DEP_2)
	v_pack_b32_f16 v159, v77, v78
	v_mul_f32_e32 v77, 0x3fb8aa3b, v76
	v_cmp_ngt_f32_e32 vcc_lo, 0xc2ce8ed0, v76
	s_delay_alu instid0(VALU_DEP_2) | instskip(SKIP_1) | instid1(VALU_DEP_1)
	v_fma_f32 v78, 0x3fb8aa3b, v76, -v77
	v_rndne_f32_e32 v79, v77
	v_dual_fmac_f32 v78, 0x32a5705f, v76 :: v_dual_sub_f32 v77, v77, v79
	v_cvt_i32_f32_e32 v79, v79
	s_delay_alu instid0(VALU_DEP_2) | instskip(SKIP_1) | instid1(VALU_DEP_2)
	v_add_f32_e32 v77, v77, v78
	v_sub_f32_e32 v78, v229, v191
	v_exp_f32_e32 v77, v77
	s_delay_alu instid0(VALU_DEP_1) | instskip(SKIP_1) | instid1(VALU_DEP_2)
	v_mul_f32_e32 v156, 0x3fb8aa3b, v78
	v_cmp_ngt_f32_e64 s3, 0xc2ce8ed0, v78
	v_fma_f32 v157, 0x3fb8aa3b, v78, -v156
	v_rndne_f32_e32 v168, v156
	s_delay_alu instid0(TRANS32_DEP_1) | instskip(NEXT) | instid1(VALU_DEP_2)
	v_ldexp_f32 v77, v77, v79
	v_dual_fmac_f32 v157, 0x32a5705f, v78 :: v_dual_sub_f32 v156, v156, v168
	v_cvt_i32_f32_e32 v79, v168
	s_wait_alu 0xfffd
	s_delay_alu instid0(VALU_DEP_3) | instskip(SKIP_3) | instid1(VALU_DEP_3)
	v_cndmask_b32_e32 v77, 0, v77, vcc_lo
	v_cmp_nlt_f32_e32 vcc_lo, 0x42b17218, v76
	v_add_f32_e32 v156, v156, v157
	s_wait_alu 0xfffd
	v_cndmask_b32_e32 v169, 0x7f800000, v77, vcc_lo
	s_delay_alu instid0(VALU_DEP_2) | instskip(NEXT) | instid1(VALU_DEP_1)
	v_exp_f32_e32 v156, v156
	v_cvt_f16_f32_e64 v77, v169
	s_delay_alu instid0(TRANS32_DEP_1) | instskip(SKIP_1) | instid1(VALU_DEP_1)
	v_ldexp_f32 v79, v156, v79
	s_wait_alu 0xf1ff
	v_cndmask_b32_e64 v76, 0, v79, s3
	v_cmp_nlt_f32_e64 s3, 0x42b17218, v78
	s_wait_alu 0xf1ff
	s_delay_alu instid0(VALU_DEP_1) | instskip(NEXT) | instid1(VALU_DEP_1)
	v_cndmask_b32_e64 v168, 0x7f800000, v76, s3
	v_cvt_f16_f32_e64 v76, v168
	s_delay_alu instid0(VALU_DEP_1) | instskip(SKIP_1) | instid1(VALU_DEP_1)
	v_pack_b32_f16 v157, v76, v77
	v_sub_f32_e32 v76, v228, v191
	v_mul_f32_e32 v77, 0x3fb8aa3b, v76
	v_cmp_ngt_f32_e32 vcc_lo, 0xc2ce8ed0, v76
	s_delay_alu instid0(VALU_DEP_2) | instskip(SKIP_1) | instid1(VALU_DEP_1)
	v_fma_f32 v78, 0x3fb8aa3b, v76, -v77
	v_rndne_f32_e32 v79, v77
	v_dual_fmac_f32 v78, 0x32a5705f, v76 :: v_dual_sub_f32 v77, v77, v79
	v_cvt_i32_f32_e32 v79, v79
	s_delay_alu instid0(VALU_DEP_2) | instskip(NEXT) | instid1(VALU_DEP_1)
	v_dual_add_f32 v77, v77, v78 :: v_dual_sub_f32 v78, v227, v191
	v_exp_f32_e32 v77, v77
	s_delay_alu instid0(VALU_DEP_1) | instskip(SKIP_1) | instid1(VALU_DEP_2)
	v_mul_f32_e32 v156, 0x3fb8aa3b, v78
	v_cmp_ngt_f32_e64 s3, 0xc2ce8ed0, v78
	v_fma_f32 v170, 0x3fb8aa3b, v78, -v156
	v_rndne_f32_e32 v171, v156
	s_delay_alu instid0(TRANS32_DEP_1) | instskip(NEXT) | instid1(VALU_DEP_3)
	v_ldexp_f32 v77, v77, v79
	v_fmac_f32_e32 v170, 0x32a5705f, v78
	s_delay_alu instid0(VALU_DEP_3)
	v_sub_f32_e32 v156, v156, v171
	v_cvt_i32_f32_e32 v79, v171
	s_wait_alu 0xfffd
	v_cndmask_b32_e32 v77, 0, v77, vcc_lo
	v_cmp_nlt_f32_e32 vcc_lo, 0x42b17218, v76
	s_wait_alu 0xfffd
	s_delay_alu instid0(VALU_DEP_2) | instskip(NEXT) | instid1(VALU_DEP_1)
	v_dual_add_f32 v156, v156, v170 :: v_dual_cndmask_b32 v171, 0x7f800000, v77
	v_exp_f32_e32 v156, v156
	s_delay_alu instid0(VALU_DEP_1) | instskip(NEXT) | instid1(TRANS32_DEP_1)
	v_cvt_f16_f32_e64 v77, v171
	v_ldexp_f32 v79, v156, v79
	s_wait_alu 0xf1ff
	s_delay_alu instid0(VALU_DEP_1) | instskip(SKIP_2) | instid1(VALU_DEP_1)
	v_cndmask_b32_e64 v76, 0, v79, s3
	v_cmp_nlt_f32_e64 s3, 0x42b17218, v78
	s_wait_alu 0xf1ff
	v_cndmask_b32_e64 v170, 0x7f800000, v76, s3
	v_sub_f32_e32 v219, v219, v191
	s_delay_alu instid0(VALU_DEP_2) | instskip(NEXT) | instid1(VALU_DEP_1)
	v_cvt_f16_f32_e64 v76, v170
	v_pack_b32_f16 v156, v76, v77
	s_delay_alu instid0(VALU_DEP_1)
	v_wmma_f16_16x16x16_f16 v[12:15], v[72:75], v[156:159], v[12:15]
	v_add_nc_u32_e32 v72, 0x1800, v112
	v_add_nc_u32_e32 v74, 0x1800, v113
	v_wmma_f16_16x16x16_f16 v[4:7], v[148:151], v[156:159], v[4:7]
	v_add_nc_u32_e32 v148, 0x1c00, v111
	v_wmma_f16_16x16x16_f16 v[0:3], v[137:140], v[156:159], v[0:3]
	ds_load_2addr_b32 v[72:73], v72 offset0:192 offset1:208
	ds_load_2addr_b32 v[76:77], v74 offset0:192 offset1:208
	;; [unrolled: 1-line block ×4, first 2 shown]
	v_wmma_f16_16x16x16_f16 v[8:11], v[152:155], v[156:159], v[8:11]
	s_wait_dscnt 0x2
	v_perm_b32 v75, v76, v72, 0x7060302
	v_perm_b32 v140, v76, v72, 0x5040100
	s_wait_dscnt 0x0
	v_perm_b32 v74, v137, v78, 0x7060302
	v_perm_b32 v139, v137, v78, 0x5040100
	;; [unrolled: 1-line block ×6, first 2 shown]
	ds_load_2addr_b32 v[76:77], v148 offset0:8 offset1:24
	ds_load_2addr_b32 v[78:79], v148 offset0:44 offset1:60
	v_add_nc_u32_e32 v72, 0x1800, v111
	s_wait_dscnt 0x0
	v_perm_b32 v73, v78, v76, 0x7060302
	v_perm_b32 v138, v78, v76, 0x5040100
	;; [unrolled: 1-line block ×4, first 2 shown]
	ds_load_2addr_b32 v[76:77], v72 offset0:192 offset1:208
	ds_load_2addr_b32 v[78:79], v72 offset0:228 offset1:244
	s_wait_loadcnt_dscnt 0x0
	s_barrier_signal -1
	s_barrier_wait -1
	global_inv scope:SCOPE_SE
	v_perm_b32 v72, v78, v76, 0x7060302
	v_perm_b32 v137, v78, v76, 0x5040100
	v_sub_f32_e32 v76, v226, v191
	v_perm_b32 v148, v79, v77, 0x7060302
	v_perm_b32 v152, v79, v77, 0x5040100
	s_delay_alu instid0(VALU_DEP_3) | instskip(SKIP_1) | instid1(VALU_DEP_2)
	v_mul_f32_e32 v77, 0x3fb8aa3b, v76
	v_cmp_ngt_f32_e64 s5, 0xc2ce8ed0, v76
	v_fma_f32 v78, 0x3fb8aa3b, v76, -v77
	v_rndne_f32_e32 v79, v77
	s_delay_alu instid0(VALU_DEP_1) | instskip(SKIP_1) | instid1(VALU_DEP_2)
	v_dual_fmac_f32 v78, 0x32a5705f, v76 :: v_dual_sub_f32 v77, v77, v79
	v_cvt_i32_f32_e32 v79, v79
	v_add_f32_e32 v77, v77, v78
	v_sub_f32_e32 v78, v225, v191
	s_delay_alu instid0(VALU_DEP_2) | instskip(NEXT) | instid1(VALU_DEP_1)
	v_exp_f32_e32 v77, v77
	v_mul_f32_e32 v156, 0x3fb8aa3b, v78
	v_cmp_ngt_f32_e32 vcc_lo, 0xc2ce8ed0, v78
	s_delay_alu instid0(VALU_DEP_2) | instskip(SKIP_1) | instid1(TRANS32_DEP_1)
	v_fma_f32 v157, 0x3fb8aa3b, v78, -v156
	v_rndne_f32_e32 v158, v156
	v_ldexp_f32 v77, v77, v79
	s_delay_alu instid0(VALU_DEP_3) | instskip(NEXT) | instid1(VALU_DEP_3)
	v_fmac_f32_e32 v157, 0x32a5705f, v78
	v_sub_f32_e32 v156, v156, v158
	v_cvt_i32_f32_e32 v158, v158
	s_wait_alu 0xf1ff
	v_cndmask_b32_e64 v77, 0, v77, s5
	v_cmp_nlt_f32_e64 s5, 0x42b17218, v76
	v_add_f32_e32 v156, v156, v157
	v_sub_f32_e32 v157, v224, v191
	s_wait_alu 0xf1ff
	s_delay_alu instid0(VALU_DEP_3) | instskip(NEXT) | instid1(VALU_DEP_3)
	v_cndmask_b32_e64 v76, 0x7f800000, v77, s5
	v_exp_f32_e32 v156, v156
	s_delay_alu instid0(VALU_DEP_2) | instskip(SKIP_1) | instid1(VALU_DEP_2)
	v_mul_f32_e32 v159, 0x3fb8aa3b, v157
	v_cmp_ngt_f32_e64 s3, 0xc2ce8ed0, v157
	v_fma_f32 v224, 0x3fb8aa3b, v157, -v159
	v_rndne_f32_e32 v225, v159
	s_delay_alu instid0(TRANS32_DEP_1) | instskip(NEXT) | instid1(VALU_DEP_3)
	v_ldexp_f32 v156, v156, v158
	v_fmac_f32_e32 v224, 0x32a5705f, v157
	s_delay_alu instid0(VALU_DEP_3)
	v_sub_f32_e32 v159, v159, v225
	v_cvt_i32_f32_e32 v79, v225
	s_wait_alu 0xfffd
	v_cndmask_b32_e32 v156, 0, v156, vcc_lo
	v_cmp_nlt_f32_e32 vcc_lo, 0x42b17218, v78
	v_dual_add_f32 v159, v159, v224 :: v_dual_mul_f32 v224, 0x3fb8aa3b, v223
	s_delay_alu instid0(VALU_DEP_1) | instskip(NEXT) | instid1(VALU_DEP_1)
	v_exp_f32_e32 v159, v159
	v_fma_f32 v226, 0x3fb8aa3b, v223, -v224
	v_rndne_f32_e32 v227, v224
	s_delay_alu instid0(VALU_DEP_2) | instskip(NEXT) | instid1(VALU_DEP_2)
	v_fmac_f32_e32 v226, 0x32a5705f, v223
	v_sub_f32_e32 v224, v224, v227
	v_cvt_i32_f32_e32 v158, v227
	s_delay_alu instid0(TRANS32_DEP_1) | instskip(NEXT) | instid1(VALU_DEP_3)
	v_ldexp_f32 v79, v159, v79
	v_add_f32_e32 v224, v224, v226
	s_wait_alu 0xf1ff
	s_delay_alu instid0(VALU_DEP_2) | instskip(SKIP_1) | instid1(VALU_DEP_3)
	v_cndmask_b32_e64 v78, 0, v79, s3
	v_cmp_nlt_f32_e64 s3, 0x42b17218, v157
	v_exp_f32_e32 v159, v224
	s_wait_alu 0xf1ff
	s_delay_alu instid0(VALU_DEP_1) | instskip(SKIP_1) | instid1(VALU_DEP_2)
	v_cndmask_b32_e64 v77, 0x7f800000, v78, s3
	v_cmp_ngt_f32_e64 s3, 0xc2ce8ed0, v221
	v_cvt_f16_f32_e64 v157, v77
	s_delay_alu instid0(TRANS32_DEP_1) | instskip(NEXT) | instid1(VALU_DEP_1)
	v_ldexp_f32 v158, v159, v158
	v_cndmask_b32_e64 v79, 0, v158, s4
	v_cmp_nlt_f32_e64 s4, 0x42b17218, v223
	s_wait_alu 0xf1ff
	s_delay_alu instid0(VALU_DEP_1) | instskip(SKIP_3) | instid1(VALU_DEP_3)
	v_cndmask_b32_e64 v78, 0x7f800000, v79, s4
	s_wait_alu 0xfffd
	v_cndmask_b32_e32 v79, 0x7f800000, v156, vcc_lo
	v_cvt_f16_f32_e64 v156, v76
	v_cvt_f16_f32_e64 v158, v78
	s_delay_alu instid0(VALU_DEP_3) | instskip(NEXT) | instid1(VALU_DEP_2)
	v_cvt_f16_f32_e64 v223, v79
	v_pack_b32_f16 v159, v157, v158
	s_delay_alu instid0(VALU_DEP_2) | instskip(SKIP_1) | instid1(VALU_DEP_1)
	v_pack_b32_f16 v158, v156, v223
	v_sub_f32_e32 v156, v222, v191
	v_mul_f32_e32 v157, 0x3fb8aa3b, v156
	v_cmp_ngt_f32_e32 vcc_lo, 0xc2ce8ed0, v156
	s_delay_alu instid0(VALU_DEP_2) | instskip(SKIP_1) | instid1(VALU_DEP_1)
	v_fma_f32 v222, 0x3fb8aa3b, v156, -v157
	v_rndne_f32_e32 v223, v157
	v_dual_fmac_f32 v222, 0x32a5705f, v156 :: v_dual_sub_f32 v157, v157, v223
	v_cvt_i32_f32_e32 v223, v223
	s_delay_alu instid0(VALU_DEP_2) | instskip(NEXT) | instid1(VALU_DEP_1)
	v_dual_add_f32 v157, v157, v222 :: v_dual_mul_f32 v222, 0x3fb8aa3b, v221
	v_exp_f32_e32 v157, v157
	s_delay_alu instid0(VALU_DEP_1) | instskip(SKIP_1) | instid1(VALU_DEP_2)
	v_fma_f32 v224, 0x3fb8aa3b, v221, -v222
	v_rndne_f32_e32 v225, v222
	v_fmac_f32_e32 v224, 0x32a5705f, v221
	s_delay_alu instid0(VALU_DEP_2) | instskip(NEXT) | instid1(TRANS32_DEP_1)
	v_sub_f32_e32 v222, v222, v225
	v_ldexp_f32 v157, v157, v223
	v_cvt_i32_f32_e32 v223, v225
	s_wait_alu 0xfffd
	s_delay_alu instid0(VALU_DEP_2) | instskip(SKIP_1) | instid1(VALU_DEP_2)
	v_dual_add_f32 v222, v222, v224 :: v_dual_cndmask_b32 v157, 0, v157
	v_cmp_nlt_f32_e32 vcc_lo, 0x42b17218, v156
	v_exp_f32_e32 v222, v222
	s_delay_alu instid0(TRANS32_DEP_1) | instskip(NEXT) | instid1(VALU_DEP_1)
	v_ldexp_f32 v222, v222, v223
	v_cndmask_b32_e64 v156, 0, v222, s3
	v_cmp_nlt_f32_e64 s3, 0x42b17218, v221
	s_wait_alu 0xfffd
	v_cndmask_b32_e32 v222, 0x7f800000, v157, vcc_lo
	s_wait_alu 0xf1ff
	s_delay_alu instid0(VALU_DEP_2) | instskip(NEXT) | instid1(VALU_DEP_2)
	v_cndmask_b32_e64 v221, 0x7f800000, v156, s3
	v_cvt_f16_f32_e64 v157, v222
	v_cmp_ngt_f32_e64 s3, 0xc2ce8ed0, v219
	s_delay_alu instid0(VALU_DEP_3) | instskip(NEXT) | instid1(VALU_DEP_1)
	v_cvt_f16_f32_e64 v156, v221
	v_pack_b32_f16 v157, v156, v157
	v_sub_f32_e32 v156, v220, v191
	s_delay_alu instid0(VALU_DEP_1) | instskip(SKIP_1) | instid1(VALU_DEP_2)
	v_mul_f32_e32 v220, 0x3fb8aa3b, v156
	v_cmp_ngt_f32_e32 vcc_lo, 0xc2ce8ed0, v156
	v_fma_f32 v223, 0x3fb8aa3b, v156, -v220
	v_rndne_f32_e32 v224, v220
	s_delay_alu instid0(VALU_DEP_2) | instskip(NEXT) | instid1(VALU_DEP_2)
	v_fmac_f32_e32 v223, 0x32a5705f, v156
	v_sub_f32_e32 v220, v220, v224
	v_cvt_i32_f32_e32 v224, v224
	s_delay_alu instid0(VALU_DEP_2) | instskip(SKIP_1) | instid1(VALU_DEP_2)
	v_add_f32_e32 v220, v220, v223
	v_mul_f32_e32 v223, 0x3fb8aa3b, v219
	v_exp_f32_e32 v220, v220
	s_delay_alu instid0(VALU_DEP_1) | instskip(SKIP_1) | instid1(VALU_DEP_2)
	v_fma_f32 v225, 0x3fb8aa3b, v219, -v223
	v_rndne_f32_e32 v226, v223
	v_fmac_f32_e32 v225, 0x32a5705f, v219
	s_delay_alu instid0(VALU_DEP_2) | instskip(NEXT) | instid1(TRANS32_DEP_1)
	v_sub_f32_e32 v223, v223, v226
	v_ldexp_f32 v220, v220, v224
	v_cvt_i32_f32_e32 v224, v226
	s_wait_alu 0xfffd
	s_delay_alu instid0(VALU_DEP_2) | instskip(SKIP_1) | instid1(VALU_DEP_2)
	v_dual_add_f32 v223, v223, v225 :: v_dual_cndmask_b32 v220, 0, v220
	v_cmp_nlt_f32_e32 vcc_lo, 0x42b17218, v156
	v_exp_f32_e32 v223, v223
	s_wait_alu 0xfffd
	s_delay_alu instid0(VALU_DEP_2) | instskip(SKIP_4) | instid1(TRANS32_DEP_1)
	v_cndmask_b32_e32 v220, 0x7f800000, v220, vcc_lo
	v_add_co_u32 v54, vcc_lo, 0x80, v54
	s_wait_alu 0xfffd
	v_add_co_ci_u32_e64 v55, null, 0, v55, vcc_lo
	v_add_co_u32 v56, vcc_lo, 0x80, v56
	v_ldexp_f32 v223, v223, v224
	s_wait_alu 0xfffd
	v_add_co_ci_u32_e64 v57, null, 0, v57, vcc_lo
	v_add_co_u32 v58, vcc_lo, 0x80, v58
	s_wait_alu 0xf1ff
	v_cndmask_b32_e64 v156, 0, v223, s3
	v_cmp_nlt_f32_e64 s3, 0x42b17218, v219
	v_cvt_f16_f32_e64 v223, v220
	s_wait_alu 0xfffd
	v_add_co_ci_u32_e64 v59, null, 0, v59, vcc_lo
	v_add_co_u32 v60, vcc_lo, 0x80, v60
	s_wait_alu 0xf1ff
	v_cndmask_b32_e64 v219, 0x7f800000, v156, s3
	s_wait_alu 0xfffd
	v_add_co_ci_u32_e64 v61, null, 0, v61, vcc_lo
	v_add_co_u32 v62, vcc_lo, 0x80, v62
	s_delay_alu instid0(VALU_DEP_3) | instskip(SKIP_3) | instid1(VALU_DEP_3)
	v_cvt_f16_f32_e64 v156, v219
	s_wait_alu 0xfffd
	v_add_co_ci_u32_e64 v63, null, 0, v63, vcc_lo
	v_add_co_u32 v64, vcc_lo, 0x80, v64
	v_pack_b32_f16 v156, v156, v223
	s_wait_alu 0xfffd
	v_add_co_ci_u32_e64 v65, null, 0, v65, vcc_lo
	v_add_co_u32 v66, vcc_lo, 0x80, v66
	s_delay_alu instid0(VALU_DEP_3) | instskip(SKIP_4) | instid1(VALU_DEP_3)
	v_wmma_f16_16x16x16_f16 v[12:15], v[72:75], v[156:159], v[12:15]
	v_add_f32_e32 v72, v244, v249
	s_wait_alu 0xfffd
	v_add_co_ci_u32_e64 v67, null, 0, v67, vcc_lo
	v_add_co_u32 v68, vcc_lo, 0x80, v68
	v_add_f32_e32 v72, v245, v72
	s_wait_alu 0xfffd
	v_add_co_ci_u32_e64 v69, null, 0, v69, vcc_lo
	v_add_co_u32 v203, vcc_lo, v203, s68
	s_delay_alu instid0(VALU_DEP_3) | instskip(SKIP_3) | instid1(VALU_DEP_3)
	v_add_f32_e32 v72, v246, v72
	s_wait_alu 0xfffd
	v_add_co_ci_u32_e64 v204, null, s69, v204, vcc_lo
	v_add_co_u32 v205, vcc_lo, v205, s68
	v_add_f32_e32 v72, v247, v72
	s_wait_alu 0xfffd
	v_add_co_ci_u32_e64 v206, null, s69, v206, vcc_lo
	v_add_co_u32 v207, vcc_lo, v207, s68
	s_delay_alu instid0(VALU_DEP_3) | instskip(SKIP_3) | instid1(VALU_DEP_3)
	v_add_f32_e32 v72, v248, v72
	s_wait_alu 0xfffd
	v_add_co_ci_u32_e64 v208, null, s69, v208, vcc_lo
	v_add_co_u32 v209, vcc_lo, v209, s68
	v_add_f32_e32 v70, v70, v72
	s_wait_alu 0xfffd
	v_add_co_ci_u32_e64 v210, null, s69, v210, vcc_lo
	v_add_co_u32 v211, vcc_lo, v211, s70
	s_delay_alu instid0(VALU_DEP_3) | instskip(SKIP_3) | instid1(VALU_DEP_3)
	v_dual_add_f32 v70, v71, v70 :: v_dual_mov_b32 v71, v189
	s_wait_alu 0xfffd
	v_add_co_ci_u32_e64 v212, null, s71, v212, vcc_lo
	v_add_co_u32 v213, vcc_lo, v213, s70
	v_add_f32_e32 v70, v162, v70
	s_wait_alu 0xfffd
	v_add_co_ci_u32_e64 v214, null, s71, v214, vcc_lo
	v_add_co_u32 v215, vcc_lo, v215, s70
	s_delay_alu instid0(VALU_DEP_3) | instskip(SKIP_3) | instid1(VALU_DEP_3)
	v_add_f32_e32 v70, v163, v70
	s_wait_alu 0xfffd
	v_add_co_ci_u32_e64 v216, null, s71, v216, vcc_lo
	v_add_co_u32 v217, vcc_lo, v217, s70
	v_add_f32_e32 v70, v160, v70
	v_wmma_f16_16x16x16_f16 v[0:3], v[137:140], v[156:159], v[0:3]
	v_wmma_f16_16x16x16_f16 v[8:11], v[152:155], v[156:159], v[8:11]
	;; [unrolled: 1-line block ×3, first 2 shown]
	s_wait_alu 0xfffd
	v_add_co_ci_u32_e64 v218, null, s71, v218, vcc_lo
	v_add_f32_e32 v70, v161, v70
	s_delay_alu instid0(VALU_DEP_1) | instskip(NEXT) | instid1(VALU_DEP_1)
	v_add_f32_e32 v70, v241, v70
	v_add_f32_e32 v70, v242, v70
	s_delay_alu instid0(VALU_DEP_1) | instskip(NEXT) | instid1(VALU_DEP_1)
	v_add_f32_e32 v70, v239, v70
	;; [unrolled: 3-line block ×10, first 2 shown]
	v_add_f32_e32 v189, v78, v70
	s_delay_alu instid0(VALU_DEP_1)
	v_fmac_f32_e32 v189, v71, v243
	s_cbranch_scc1 .LBB0_249
; %bb.250:                              ;   in Loop: Header=BB0_9 Depth=1
	v_mad_co_i64_i32 v[54:55], null, v194, s38, 0
	v_mad_co_i64_i32 v[58:59], null, v195, s38, 0
	;; [unrolled: 1-line block ×8, first 2 shown]
	v_dual_mov_b32 v241, v143 :: v_dual_mov_b32 v242, v133
	v_dual_mov_b32 v243, v134 :: v_dual_mov_b32 v244, v146
	;; [unrolled: 1-line block ×4, first 2 shown]
	s_lshl_b32 s56, s33, 6
	s_delay_alu instid0(SALU_CYCLE_1)
	s_mov_b64 s[4:5], s[56:57]
	s_branch .LBB0_252
.LBB0_251:                              ;   in Loop: Header=BB0_9 Depth=1
	v_mov_b32_e32 v11, 0
	v_mov_b32_e32 v7, 0
	s_mov_b64 s[4:5], 0
	s_delay_alu instid0(VALU_DEP_2) | instskip(NEXT) | instid1(VALU_DEP_2)
	v_dual_mov_b32 v10, v11 :: v_dual_mov_b32 v191, 0xfeffffff
	v_dual_mov_b32 v6, v7 :: v_dual_mov_b32 v5, v7
	v_mov_b32_e32 v14, v7
	v_dual_mov_b32 v4, v7 :: v_dual_mov_b32 v189, 0
	v_dual_mov_b32 v8, v11 :: v_dual_mov_b32 v9, v11
	;; [unrolled: 1-line block ×5, first 2 shown]
	v_mov_b32_e32 v1, v11
.LBB0_252:                              ;   in Loop: Header=BB0_9 Depth=1
	v_lshlrev_b32_e32 v70, 1, v92
	s_wait_alu 0xfffe
	s_lshl_b64 s[82:83], s[4:5], 1
	v_lshlrev_b64_e32 v[54:55], 1, v[54:55]
	s_wait_alu 0xfffe
	s_add_nc_u64 s[80:81], s[80:81], s[82:83]
	v_lshlrev_b64_e32 v[60:61], 1, v[60:61]
	s_wait_alu 0xfffe
	v_add_co_u32 v74, s3, s80, v70
	s_wait_alu 0xf1ff
	v_add_co_ci_u32_e64 v75, null, s81, 0, s3
	v_lshlrev_b64_e32 v[62:63], 1, v[62:63]
	s_delay_alu instid0(VALU_DEP_3) | instskip(SKIP_1) | instid1(VALU_DEP_3)
	v_add_co_u32 v70, vcc_lo, v74, v54
	s_wait_alu 0xfffd
	v_add_co_ci_u32_e64 v71, null, v75, v55, vcc_lo
	v_lshlrev_b64_e32 v[54:55], 1, v[58:59]
	v_lshlrev_b64_e32 v[58:59], 1, v[66:67]
	;; [unrolled: 1-line block ×3, first 2 shown]
	s_mul_u64 s[80:81], s[4:5], s[26:27]
	s_mul_u64 s[4:5], s[4:5], s[34:35]
	s_wait_alu 0xfffe
	s_lshl_b64 s[80:81], s[80:81], 2
	v_add_co_u32 v72, vcc_lo, v74, v54
	s_wait_alu 0xfffd
	v_add_co_ci_u32_e64 v73, null, v75, v55, vcc_lo
	v_lshlrev_b64_e32 v[54:55], 1, v[56:57]
	v_lshlrev_b64_e32 v[56:57], 1, v[68:69]
	s_wait_alu 0xfffe
	s_add_nc_u64 s[78:79], s[78:79], s[80:81]
	s_lshl_b64 s[4:5], s[4:5], 2
	s_cmp_lg_u64 s[74:75], 0
	s_wait_alu 0xfffe
	s_add_nc_u64 s[4:5], s[76:77], s[4:5]
	v_add_co_u32 v54, vcc_lo, v74, v54
	s_wait_alu 0xfffd
	v_add_co_ci_u32_e64 v55, null, v75, v55, vcc_lo
	v_add_co_u32 v56, vcc_lo, v74, v56
	s_wait_alu 0xfffd
	v_add_co_ci_u32_e64 v57, null, v75, v57, vcc_lo
	;; [unrolled: 3-line block ×6, first 2 shown]
	s_clause 0x7
	global_load_b32 v66, v[70:71], off
	global_load_b32 v67, v[72:73], off
	;; [unrolled: 1-line block ×8, first 2 shown]
	v_add_nc_u32_e32 v60, 0x2400, v190
	s_wait_loadcnt 0x6
	ds_store_2addr_b32 v60, v66, v67 offset1:144
	v_add_nc_u32_e32 v60, 0x2800, v190
	s_wait_loadcnt 0x4
	ds_store_2addr_b32 v60, v54, v55 offset0:32 offset1:176
	v_add_nc_u32_e32 v54, 0x2c00, v190
	s_wait_loadcnt 0x2
	ds_store_2addr_b32 v54, v56, v57 offset0:64 offset1:208
	;; [unrolled: 3-line block ×3, first 2 shown]
	v_add_co_u32 v54, vcc_lo, s78, v43
	s_wait_alu 0xfffd
	v_add_co_ci_u32_e64 v55, null, s79, v44, vcc_lo
	s_delay_alu instid0(VALU_DEP_2) | instskip(SKIP_1) | instid1(VALU_DEP_2)
	v_add_co_u32 v54, vcc_lo, v54, v136
	s_wait_alu 0xfffd
	v_add_co_ci_u32_e64 v55, null, 0, v55, vcc_lo
	v_add_co_u32 v56, vcc_lo, s78, v45
	s_wait_alu 0xfffd
	v_add_co_ci_u32_e64 v57, null, s79, v46, vcc_lo
	s_delay_alu instid0(VALU_DEP_2) | instskip(SKIP_1) | instid1(VALU_DEP_2)
	v_add_co_u32 v58, vcc_lo, v56, v136
	s_wait_alu 0xfffd
	v_add_co_ci_u32_e64 v59, null, 0, v57, vcc_lo
	s_clause 0x1
	global_load_b128 v[54:57], v[54:55], off
	global_load_b128 v[58:61], v[58:59], off
	s_wait_loadcnt 0x1
	ds_store_b128 v96, v[54:57]
	s_wait_loadcnt 0x0
	ds_store_b128 v100, v[58:61]
	v_add_co_u32 v54, vcc_lo, s78, v49
	s_wait_alu 0xfffd
	v_add_co_ci_u32_e64 v55, null, s79, v50, vcc_lo
	s_delay_alu instid0(VALU_DEP_2) | instskip(SKIP_1) | instid1(VALU_DEP_2)
	v_add_co_u32 v54, vcc_lo, v54, v136
	s_wait_alu 0xfffd
	v_add_co_ci_u32_e64 v55, null, 0, v55, vcc_lo
	v_add_co_u32 v56, vcc_lo, s78, v51
	s_wait_alu 0xfffd
	v_add_co_ci_u32_e64 v57, null, s79, v52, vcc_lo
	s_delay_alu instid0(VALU_DEP_2) | instskip(SKIP_1) | instid1(VALU_DEP_2)
	v_add_co_u32 v58, vcc_lo, v56, v136
	s_wait_alu 0xfffd
	v_add_co_ci_u32_e64 v59, null, 0, v57, vcc_lo
	s_clause 0x1
	global_load_b128 v[54:57], v[54:55], off
	global_load_b128 v[58:61], v[58:59], off
	v_cmp_lt_i32_e32 vcc_lo, v192, v193
	s_wait_loadcnt 0x1
	ds_store_b128 v101, v[54:57]
	s_wait_loadcnt 0x0
	ds_store_b128 v102, v[58:61]
	s_wait_dscnt 0x0
	s_barrier_signal -1
	s_barrier_wait -1
	global_inv scope:SCOPE_SE
	ds_load_b128 v[62:65], v89
	ds_load_b128 v[66:69], v89 offset:32
	s_wait_dscnt 0x1
	v_wmma_f32_16x16x16_f16 v[54:61], v[62:65], v[24:27], 0
	s_wait_dscnt 0x0
	s_delay_alu instid0(VALU_DEP_1)
	v_wmma_f32_16x16x16_f16 v[54:61], v[66:69], v[28:31], v[54:61]
	ds_load_b128 v[62:65], v89 offset:2304
	ds_load_b128 v[66:69], v89 offset:2336
	s_wait_dscnt 0x1
	v_wmma_f32_16x16x16_f16 v[148:155], v[62:65], v[24:27], 0
	s_wait_dscnt 0x0
	s_delay_alu instid0(VALU_DEP_1)
	v_wmma_f32_16x16x16_f16 v[148:155], v[66:69], v[28:31], v[148:155]
	ds_load_b128 v[62:65], v89 offset:4608
	;; [unrolled: 7-line block ×4, first 2 shown]
	ds_load_b128 v[28:31], v89 offset:96
	s_wait_dscnt 0x1
	v_wmma_f32_16x16x16_f16 v[54:61], v[24:27], v[20:23], v[54:61]
	ds_load_b128 v[24:27], v89 offset:2368
	ds_load_b128 v[62:65], v89 offset:2400
	s_wait_dscnt 0x2
	v_wmma_f32_16x16x16_f16 v[54:61], v[28:31], v[16:19], v[54:61]
	s_wait_dscnt 0x1
	v_wmma_f32_16x16x16_f16 v[148:155], v[24:27], v[20:23], v[148:155]
	ds_load_b128 v[24:27], v89 offset:4672
	ds_load_b128 v[66:69], v89 offset:4704
	s_wait_dscnt 0x2
	v_wmma_f32_16x16x16_f16 v[148:155], v[62:65], v[16:19], v[148:155]
	s_wait_dscnt 0x1
	v_wmma_f32_16x16x16_f16 v[194:201], v[24:27], v[20:23], v[194:201]
	ds_load_b128 v[24:27], v89 offset:6976
	ds_load_b128 v[70:73], v89 offset:7008
	s_wait_loadcnt_dscnt 0x0
	s_barrier_signal -1
	s_barrier_wait -1
	v_wmma_f32_16x16x16_f16 v[194:201], v[66:69], v[16:19], v[194:201]
	global_inv scope:SCOPE_SE
	v_wmma_f32_16x16x16_f16 v[202:209], v[24:27], v[20:23], v[202:209]
	s_delay_alu instid0(VALU_DEP_1)
	v_wmma_f32_16x16x16_f16 v[202:209], v[70:73], v[16:19], v[202:209]
	v_add_nc_u32_e32 v16, 0x2400, v99
	v_add_nc_u32_e32 v18, 0x2400, v104
	ds_load_2addr_b32 v[16:17], v16 offset1:1
	ds_load_2addr_b32 v[18:19], v18 offset1:1
	ds_load_b32 v20, v103 offset:9216
	ds_load_b32 v23, v99 offset:9224
	s_wait_dscnt 0x3
	v_cvt_f32_f16_e32 v21, v16
	v_lshrrev_b32_e32 v16, 16, v16
	v_cvt_f32_f16_e32 v22, v17
	v_lshrrev_b32_e32 v17, 16, v17
	s_wait_dscnt 0x1
	v_lshrrev_b32_e32 v25, 16, v20
	v_cvt_f32_f16_e32 v20, v20
	v_cvt_f32_f16_e32 v16, v16
	v_add_f32_e32 v67, v56, v22
	v_cvt_f32_f16_e32 v17, v17
	v_cvt_f32_f16_e32 v25, v25
	v_add_f32_e32 v70, v60, v20
	v_dual_add_f32 v65, v55, v16 :: v_dual_add_nc_u32 v16, 0x2400, v105
	s_delay_alu instid0(VALU_DEP_4) | instskip(NEXT) | instid1(VALU_DEP_4)
	v_add_f32_e32 v68, v57, v17
	v_add_f32_e32 v69, v61, v25
	v_lshrrev_b32_e32 v25, 16, v18
	v_add_nc_u32_e32 v20, 0x2400, v108
	ds_load_2addr_b32 v[16:17], v16 offset1:1
	s_wait_dscnt 0x1
	v_cvt_f32_f16_e32 v24, v23
	v_lshrrev_b32_e32 v23, 16, v23
	v_add_nc_u32_e32 v22, 0x2400, v109
	v_add_f32_e32 v64, v54, v21
	v_cvt_f32_f16_e32 v26, v19
	v_add_f32_e32 v190, v58, v24
	v_cvt_f32_f16_e32 v23, v23
	v_cvt_f32_f16_e32 v24, v18
	v_add_nc_u32_e32 v18, 0x2400, v107
	v_lshrrev_b32_e32 v27, 16, v19
	v_cvt_f32_f16_e32 v25, v25
	v_add_f32_e32 v71, v59, v23
	ds_load_2addr_b32 v[18:19], v18 offset1:1
	ds_load_2addr_b32 v[20:21], v20 offset1:1
	;; [unrolled: 1-line block ×3, first 2 shown]
	v_cvt_f32_f16_e32 v27, v27
	v_dual_add_f32 v57, v149, v25 :: v_dual_add_f32 v58, v150, v26
	v_add_f32_e32 v56, v148, v24
	s_wait_dscnt 0x3
	v_cvt_f32_f16_e32 v28, v16
	v_lshrrev_b32_e32 v16, 16, v16
	v_lshrrev_b32_e32 v29, 16, v17
	v_cvt_f32_f16_e32 v17, v17
	s_delay_alu instid0(VALU_DEP_4) | instskip(NEXT) | instid1(VALU_DEP_4)
	v_dual_add_f32 v59, v151, v27 :: v_dual_add_f32 v66, v152, v28
	v_cvt_f32_f16_e32 v16, v16
	s_delay_alu instid0(VALU_DEP_4) | instskip(NEXT) | instid1(VALU_DEP_2)
	v_cvt_f32_f16_e32 v29, v29
	v_dual_add_f32 v61, v154, v17 :: v_dual_add_f32 v62, v153, v16
	s_wait_dscnt 0x2
	v_cvt_f32_f16_e32 v16, v18
	v_lshrrev_b32_e32 v17, 16, v18
	v_cvt_f32_f16_e32 v18, v19
	v_lshrrev_b32_e32 v19, 16, v19
	s_wait_dscnt 0x1
	v_cvt_f32_f16_e32 v24, v20
	v_add_f32_e32 v26, v194, v16
	v_cvt_f32_f16_e32 v17, v17
	v_add_nc_u32_e32 v16, 0x2400, v110
	v_lshrrev_b32_e32 v20, 16, v20
	v_lshrrev_b32_e32 v25, 16, v21
	v_cvt_f32_f16_e32 v21, v21
	v_add_f32_e32 v27, v195, v17
	ds_load_2addr_b32 v[16:17], v16 offset1:1
	v_cvt_f32_f16_e32 v19, v19
	v_cvt_f32_f16_e32 v20, v20
	v_dual_add_f32 v55, v198, v24 :: v_dual_add_f32 v60, v155, v29
	v_add_f32_e32 v31, v200, v21
	s_delay_alu instid0(VALU_DEP_4)
	v_add_f32_e32 v29, v197, v19
	s_wait_dscnt 0x1
	v_lshrrev_b32_e32 v19, 16, v22
	v_lshrrev_b32_e32 v21, 16, v23
	v_cvt_f32_f16_e32 v25, v25
	v_add_f32_e32 v28, v196, v18
	v_add_f32_e32 v54, v199, v20
	v_cvt_f32_f16_e32 v18, v22
	v_cvt_f32_f16_e32 v20, v23
	;; [unrolled: 1-line block ×3, first 2 shown]
	v_add_f32_e32 v30, v201, v25
	s_wait_dscnt 0x0
	v_cvt_f32_f16_e32 v22, v16
	v_lshrrev_b32_e32 v16, 16, v16
	v_lshrrev_b32_e32 v23, 16, v17
	v_cvt_f32_f16_e32 v24, v17
	v_cvt_f32_f16_e32 v17, v19
	v_add_f32_e32 v19, v204, v20
	v_cvt_f32_f16_e32 v63, v16
	v_cvt_f32_f16_e32 v72, v23
	s_delay_alu instid0(VALU_DEP_4)
	v_dual_add_f32 v16, v202, v18 :: v_dual_add_f32 v17, v203, v17
	v_dual_add_f32 v20, v205, v21 :: v_dual_add_f32 v25, v206, v22
	v_add_f32_e32 v22, v208, v24
	v_add_f32_e32 v18, 0x40051340, v64
	v_dual_add_f32 v24, 0x40051340, v65 :: v_dual_add_f32 v23, v207, v63
	v_add_f32_e32 v21, v209, v72
	v_add_f32_e32 v63, 0x40051340, v68
	s_delay_alu instid0(VALU_DEP_3) | instskip(SKIP_1) | instid1(VALU_DEP_1)
	v_max3_num_f32 v18, v191, v18, v24
	v_add_f32_e32 v24, 0x40051340, v67
	v_max3_num_f32 v18, v18, v24, v63
	v_dual_add_f32 v24, 0x40051340, v190 :: v_dual_add_f32 v63, 0x40051340, v71
	s_delay_alu instid0(VALU_DEP_1) | instskip(SKIP_1) | instid1(VALU_DEP_1)
	v_max3_num_f32 v18, v18, v24, v63
	v_dual_add_f32 v24, 0x40051340, v70 :: v_dual_add_f32 v63, 0x40051340, v69
	v_max3_num_f32 v18, v18, v24, v63
	v_dual_add_f32 v24, 0x40051340, v56 :: v_dual_add_f32 v63, 0x40051340, v57
	s_delay_alu instid0(VALU_DEP_1) | instskip(SKIP_1) | instid1(VALU_DEP_1)
	v_max3_num_f32 v18, v18, v24, v63
	v_dual_add_f32 v24, 0x40051340, v58 :: v_dual_add_f32 v63, 0x40051340, v59
	v_max3_num_f32 v18, v18, v24, v63
	v_add_f32_e32 v24, 0x40051340, v66
	v_add_f32_e32 v63, 0x40051340, v62
	s_delay_alu instid0(VALU_DEP_1) | instskip(SKIP_1) | instid1(VALU_DEP_1)
	v_max3_num_f32 v18, v18, v24, v63
	v_dual_add_f32 v24, 0x40051340, v61 :: v_dual_add_f32 v63, 0x40051340, v60
	v_max3_num_f32 v18, v18, v24, v63
	v_dual_add_f32 v24, 0x40051340, v26 :: v_dual_add_f32 v63, 0x40051340, v27
	s_delay_alu instid0(VALU_DEP_1) | instskip(SKIP_1) | instid1(VALU_DEP_1)
	v_max3_num_f32 v18, v18, v24, v63
	v_dual_add_f32 v24, 0x40051340, v28 :: v_dual_add_f32 v63, 0x40051340, v29
	v_max3_num_f32 v18, v18, v24, v63
	v_dual_add_f32 v24, 0x40051340, v55 :: v_dual_add_f32 v63, 0x40051340, v54
	;; [unrolled: 5-line block ×4, first 2 shown]
	s_delay_alu instid0(VALU_DEP_1) | instskip(SKIP_1) | instid1(VALU_DEP_1)
	v_max3_num_f32 v18, v18, v24, v63
	v_dual_add_f32 v24, 0x40051340, v22 :: v_dual_add_f32 v63, 0x40051340, v21
	v_max3_num_f32 v24, v18, v24, v63
	s_wait_alu 0xfffd
	v_cndmask_b32_e32 v18, v172, v192, vcc_lo
	s_delay_alu instid0(VALU_DEP_1) | instskip(SKIP_3) | instid1(VALU_DEP_1)
	v_lshlrev_b32_e32 v18, 2, v18
	ds_bpermute_b32 v63, v18, v24
	s_wait_dscnt 0x0
	v_max_num_f32_e32 v63, v63, v63
	v_max_num_f32_e32 v24, v24, v63
	s_delay_alu instid0(VALU_DEP_1) | instskip(NEXT) | instid1(VALU_DEP_1)
	v_dual_sub_f32 v63, v191, v24 :: v_dual_add_nc_u32 v192, v106, v98
	v_dual_mul_f32 v72, 0x3fb8aa3b, v63 :: v_dual_add_nc_u32 v191, v106, v97
	v_cmp_ngt_f32_e32 vcc_lo, 0xc2ce8ed0, v63
	s_delay_alu instid0(VALU_DEP_2) | instskip(SKIP_1) | instid1(VALU_DEP_1)
	v_fma_f32 v73, 0x3fb8aa3b, v63, -v72
	v_rndne_f32_e32 v74, v72
	v_dual_fmac_f32 v73, 0x32a5705f, v63 :: v_dual_sub_f32 v72, v72, v74
	s_delay_alu instid0(VALU_DEP_1) | instskip(SKIP_1) | instid1(VALU_DEP_2)
	v_add_f32_e32 v72, v72, v73
	v_cvt_i32_f32_e32 v73, v74
	v_exp_f32_e32 v72, v72
	s_delay_alu instid0(TRANS32_DEP_1) | instskip(SKIP_1) | instid1(VALU_DEP_1)
	v_ldexp_f32 v72, v72, v73
	s_wait_alu 0xfffd
	v_cndmask_b32_e32 v72, 0, v72, vcc_lo
	v_cmp_nlt_f32_e32 vcc_lo, 0x42b17218, v63
	s_wait_alu 0xfffd
	s_delay_alu instid0(VALU_DEP_2) | instskip(SKIP_2) | instid1(VALU_DEP_2)
	v_cndmask_b32_e32 v72, 0x7f800000, v72, vcc_lo
	v_cmp_le_f32_e32 vcc_lo, 0xc1a00000, v63
	s_wait_alu 0xfffd
	v_cndmask_b32_e32 v63, 0, v72, vcc_lo
	s_delay_alu instid0(VALU_DEP_1) | instskip(NEXT) | instid1(VALU_DEP_1)
	v_cvt_f16_f32_e32 v72, v63
	v_and_b32_e32 v72, 0xffff, v72
	s_delay_alu instid0(VALU_DEP_1) | instskip(NEXT) | instid1(VALU_DEP_1)
	v_mul_u32_u24_e32 v72, 0x10001, v72
	v_pk_mul_f16 v0, v0, v72
	v_pk_mul_f16 v1, v1, v72
	;; [unrolled: 1-line block ×16, first 2 shown]
	s_wait_alu 0xfffe
	v_add_co_u32 v72, vcc_lo, s4, v35
	s_wait_alu 0xfffd
	v_add_co_ci_u32_e64 v73, null, s5, v36, vcc_lo
	s_delay_alu instid0(VALU_DEP_2) | instskip(SKIP_1) | instid1(VALU_DEP_2)
	v_add_co_u32 v72, vcc_lo, v72, v136
	s_wait_alu 0xfffd
	v_add_co_ci_u32_e64 v73, null, 0, v73, vcc_lo
	v_add_co_u32 v74, vcc_lo, s4, v37
	s_wait_alu 0xfffd
	v_add_co_ci_u32_e64 v75, null, s5, v38, vcc_lo
	s_delay_alu instid0(VALU_DEP_2) | instskip(SKIP_1) | instid1(VALU_DEP_2)
	v_add_co_u32 v76, vcc_lo, v74, v136
	s_wait_alu 0xfffd
	v_add_co_ci_u32_e64 v77, null, 0, v75, vcc_lo
	s_clause 0x1
	global_load_b128 v[72:75], v[72:73], off
	global_load_b128 v[137:140], v[76:77], off
	s_wait_loadcnt 0x1
	ds_store_b128 v96, v[72:75]
	s_wait_loadcnt 0x0
	ds_store_b128 v100, v[137:140]
	v_add_co_u32 v72, vcc_lo, s4, v39
	s_wait_alu 0xfffd
	v_add_co_ci_u32_e64 v73, null, s5, v40, vcc_lo
	s_delay_alu instid0(VALU_DEP_2) | instskip(SKIP_1) | instid1(VALU_DEP_2)
	v_add_co_u32 v72, vcc_lo, v72, v136
	s_wait_alu 0xfffd
	v_add_co_ci_u32_e64 v73, null, 0, v73, vcc_lo
	v_add_co_u32 v74, vcc_lo, s4, v41
	s_wait_alu 0xfffd
	v_add_co_ci_u32_e64 v75, null, s5, v42, vcc_lo
	s_delay_alu instid0(VALU_DEP_2) | instskip(SKIP_1) | instid1(VALU_DEP_2)
	v_add_co_u32 v76, vcc_lo, v74, v136
	s_wait_alu 0xfffd
	v_add_co_ci_u32_e64 v77, null, 0, v75, vcc_lo
	s_clause 0x1
	global_load_b128 v[72:75], v[72:73], off
	global_load_b128 v[137:140], v[76:77], off
	s_wait_loadcnt 0x1
	ds_store_b128 v101, v[72:75]
	s_wait_loadcnt 0x0
	ds_store_b128 v102, v[137:140]
	s_wait_dscnt 0x0
	s_barrier_signal -1
	s_barrier_wait -1
	global_inv scope:SCOPE_SE
	ds_load_2addr_b32 v[75:76], v111 offset0:72 offset1:88
	ds_load_2addr_b32 v[77:78], v111 offset0:108 offset1:124
	;; [unrolled: 1-line block ×4, first 2 shown]
	s_wait_dscnt 0x2
	v_perm_b32 v73, v77, v75, 0x7060302
	v_perm_b32 v138, v77, v75, 0x5040100
	;; [unrolled: 1-line block ×4, first 2 shown]
	ds_load_2addr_b32 v[75:76], v111 offset1:16
	ds_load_2addr_b32 v[77:78], v111 offset0:36 offset1:52
	s_wait_dscnt 0x2
	v_perm_b32 v74, v150, v139, 0x7060302
	v_perm_b32 v139, v150, v139, 0x5040100
	;; [unrolled: 1-line block ×4, first 2 shown]
	s_wait_dscnt 0x0
	v_perm_b32 v72, v77, v75, 0x7060302
	v_perm_b32 v137, v77, v75, 0x5040100
	;; [unrolled: 1-line block ×4, first 2 shown]
	ds_load_2addr_b32 v[76:77], v191 offset1:16
	ds_load_2addr_b32 v[78:79], v192 offset1:16
	s_wait_dscnt 0x0
	v_perm_b32 v75, v78, v76, 0x7060302
	v_perm_b32 v140, v78, v76, 0x5040100
	v_sub_f32_e32 v76, v190, v24
	v_perm_b32 v155, v79, v77, 0x5040100
	v_perm_b32 v151, v79, v77, 0x7060302
	s_delay_alu instid0(VALU_DEP_3)
	v_mul_f32_e32 v77, 0x3fb8aa3b, v76
	v_sub_f32_e32 v71, v71, v24
	v_sub_f32_e32 v65, v65, v24
	;; [unrolled: 1-line block ×4, first 2 shown]
	v_fma_f32 v78, 0x3fb8aa3b, v76, -v77
	v_rndne_f32_e32 v79, v77
	v_sub_f32_e32 v64, v64, v24
	v_sub_f32_e32 v70, v70, v24
	;; [unrolled: 1-line block ×3, first 2 shown]
	s_delay_alu instid0(VALU_DEP_4) | instskip(SKIP_3) | instid1(VALU_DEP_4)
	v_dual_fmac_f32 v78, 0x32a5705f, v76 :: v_dual_sub_f32 v77, v77, v79
	v_sub_f32_e32 v69, v69, v24
	v_cvt_i32_f32_e32 v79, v79
	v_sub_f32_e32 v67, v67, v24
	v_dual_sub_f32 v62, v62, v24 :: v_dual_add_f32 v77, v77, v78
	v_mul_f32_e32 v78, 0x3fb8aa3b, v71
	v_cmp_ngt_f32_e32 vcc_lo, 0xc2ce8ed0, v71
	v_sub_f32_e32 v60, v60, v24
	v_sub_f32_e32 v54, v54, v24
	v_exp_f32_e32 v77, v77
	v_fma_f32 v156, 0x3fb8aa3b, v71, -v78
	v_rndne_f32_e32 v157, v78
	v_sub_f32_e32 v66, v66, v24
	v_sub_f32_e32 v59, v59, v24
	v_cmp_ngt_f32_e64 s3, 0xc2ce8ed0, v70
	v_fmac_f32_e32 v156, 0x32a5705f, v71
	v_sub_f32_e32 v78, v78, v157
	v_cmp_ngt_f32_e64 s4, 0xc2ce8ed0, v69
	v_cmp_ngt_f32_e64 s5, 0xc2ce8ed0, v76
	v_ldexp_f32 v77, v77, v79
	v_cvt_i32_f32_e32 v79, v157
	v_add_f32_e32 v78, v78, v156
	v_mul_f32_e32 v156, 0x3fb8aa3b, v70
	v_sub_f32_e32 v58, v58, v24
	v_sub_f32_e32 v68, v68, v24
	;; [unrolled: 1-line block ×3, first 2 shown]
	v_exp_f32_e32 v78, v78
	v_fma_f32 v158, 0x3fb8aa3b, v70, -v156
	v_rndne_f32_e32 v159, v156
	v_sub_f32_e32 v56, v56, v24
	v_sub_f32_e32 v28, v28, v24
	;; [unrolled: 1-line block ×3, first 2 shown]
	v_fmac_f32_e32 v158, 0x32a5705f, v70
	v_sub_f32_e32 v156, v156, v159
	v_sub_f32_e32 v26, v26, v24
	;; [unrolled: 1-line block ×3, first 2 shown]
	v_ldexp_f32 v78, v78, v79
	s_delay_alu instid0(VALU_DEP_4) | instskip(SKIP_2) | instid1(VALU_DEP_3)
	v_dual_sub_f32 v27, v27, v24 :: v_dual_add_f32 v156, v156, v158
	v_dual_mul_f32 v158, 0x3fb8aa3b, v69 :: v_dual_sub_f32 v25, v25, v24
	s_wait_alu 0xfffd
	v_cndmask_b32_e32 v78, 0, v78, vcc_lo
	v_cmp_nlt_f32_e32 vcc_lo, 0x42b17218, v71
	v_exp_f32_e32 v79, v156
	v_fma_f32 v160, 0x3fb8aa3b, v69, -v158
	v_rndne_f32_e32 v161, v158
	v_cvt_i32_f32_e32 v156, v159
	s_wait_alu 0xfffd
	v_cndmask_b32_e32 v190, 0x7f800000, v78, vcc_lo
	v_cmp_ngt_f32_e32 vcc_lo, 0xc2ce8ed0, v68
	v_fmac_f32_e32 v160, 0x32a5705f, v69
	v_sub_f32_e32 v158, v158, v161
	v_cvt_i32_f32_e32 v157, v161
	v_sub_f32_e32 v23, v23, v24
	v_ldexp_f32 v79, v79, v156
	v_sub_f32_e32 v21, v21, v24
	v_add_f32_e32 v158, v158, v160
	v_sub_f32_e32 v19, v19, v24
	v_sub_f32_e32 v17, v17, v24
	s_wait_alu 0xf1ff
	v_cndmask_b32_e64 v79, 0, v79, s3
	v_cmp_nlt_f32_e64 s3, 0x42b17218, v70
	v_exp_f32_e32 v156, v158
	s_delay_alu instid0(TRANS32_DEP_1) | instskip(NEXT) | instid1(VALU_DEP_1)
	v_ldexp_f32 v156, v156, v157
	v_cndmask_b32_e64 v70, 0, v156, s4
	v_cmp_nlt_f32_e64 s4, 0x42b17218, v69
	v_cndmask_b32_e64 v69, 0, v77, s5
	v_cmp_nlt_f32_e64 s5, 0x42b17218, v76
	s_wait_alu 0xf1ff
	s_delay_alu instid0(VALU_DEP_3) | instskip(SKIP_1) | instid1(VALU_DEP_3)
	v_cndmask_b32_e64 v70, 0x7f800000, v70, s4
	v_cmp_ngt_f32_e64 s4, 0xc2ce8ed0, v60
	v_cndmask_b32_e64 v71, 0x7f800000, v69, s5
	v_cndmask_b32_e64 v69, 0x7f800000, v79, s3
	v_cvt_f16_f32_e64 v79, v190
	v_cvt_f16_f32_e32 v78, v70
	v_cmp_ngt_f32_e64 s3, 0xc2ce8ed0, v67
	v_cvt_f16_f32_e32 v76, v71
	v_cvt_f16_f32_e32 v77, v69
	v_cmp_ngt_f32_e64 s5, 0xc2ce8ed0, v66
	v_sub_f32_e32 v20, v20, v24
	s_delay_alu instid0(VALU_DEP_4) | instskip(SKIP_2) | instid1(VALU_DEP_2)
	v_pack_b32_f16 v158, v76, v79
	v_mul_f32_e32 v76, 0x3fb8aa3b, v68
	v_pack_b32_f16 v159, v77, v78
	v_fma_f32 v77, 0x3fb8aa3b, v68, -v76
	v_rndne_f32_e32 v78, v76
	s_delay_alu instid0(VALU_DEP_1) | instskip(SKIP_1) | instid1(VALU_DEP_2)
	v_dual_fmac_f32 v77, 0x32a5705f, v68 :: v_dual_sub_f32 v76, v76, v78
	v_cvt_i32_f32_e32 v78, v78
	v_dual_add_f32 v76, v76, v77 :: v_dual_mul_f32 v77, 0x3fb8aa3b, v67
	s_delay_alu instid0(VALU_DEP_1) | instskip(NEXT) | instid1(VALU_DEP_1)
	v_exp_f32_e32 v76, v76
	v_fma_f32 v79, 0x3fb8aa3b, v67, -v77
	v_rndne_f32_e32 v156, v77
	s_delay_alu instid0(VALU_DEP_2) | instskip(NEXT) | instid1(VALU_DEP_2)
	v_fmac_f32_e32 v79, 0x32a5705f, v67
	v_sub_f32_e32 v77, v77, v156
	s_delay_alu instid0(TRANS32_DEP_1) | instskip(SKIP_2) | instid1(VALU_DEP_2)
	v_ldexp_f32 v76, v76, v78
	v_cvt_i32_f32_e32 v78, v156
	s_wait_alu 0xfffd
	v_dual_add_f32 v77, v77, v79 :: v_dual_cndmask_b32 v76, 0, v76
	v_cmp_nlt_f32_e32 vcc_lo, 0x42b17218, v68
	s_delay_alu instid0(VALU_DEP_2) | instskip(NEXT) | instid1(TRANS32_DEP_1)
	v_exp_f32_e32 v77, v77
	v_ldexp_f32 v77, v77, v78
	s_wait_alu 0xf1ff
	s_delay_alu instid0(VALU_DEP_1) | instskip(SKIP_2) | instid1(VALU_DEP_1)
	v_cndmask_b32_e64 v68, 0, v77, s3
	v_cmp_nlt_f32_e64 s3, 0x42b17218, v67
	s_wait_alu 0xf1ff
	v_cndmask_b32_e64 v67, 0x7f800000, v68, s3
	s_wait_alu 0xfffd
	v_cndmask_b32_e32 v68, 0x7f800000, v76, vcc_lo
	v_cmp_ngt_f32_e64 s3, 0xc2ce8ed0, v64
	v_sub_f32_e32 v22, v22, v24
	v_cvt_f16_f32_e32 v76, v67
	s_delay_alu instid0(VALU_DEP_4) | instskip(NEXT) | instid1(VALU_DEP_1)
	v_cvt_f16_f32_e32 v77, v68
	v_pack_b32_f16 v157, v76, v77
	v_mul_f32_e32 v76, 0x3fb8aa3b, v65
	s_delay_alu instid0(VALU_DEP_1) | instskip(SKIP_1) | instid1(VALU_DEP_1)
	v_fma_f32 v77, 0x3fb8aa3b, v65, -v76
	v_rndne_f32_e32 v78, v76
	v_dual_sub_f32 v76, v76, v78 :: v_dual_fmac_f32 v77, 0x32a5705f, v65
	v_cvt_i32_f32_e32 v78, v78
	v_cmp_ngt_f32_e32 vcc_lo, 0xc2ce8ed0, v65
	s_delay_alu instid0(VALU_DEP_3) | instskip(NEXT) | instid1(VALU_DEP_1)
	v_dual_add_f32 v76, v76, v77 :: v_dual_mul_f32 v77, 0x3fb8aa3b, v64
	v_exp_f32_e32 v76, v76
	s_delay_alu instid0(VALU_DEP_1) | instskip(SKIP_1) | instid1(VALU_DEP_2)
	v_fma_f32 v79, 0x3fb8aa3b, v64, -v77
	v_rndne_f32_e32 v156, v77
	v_fmac_f32_e32 v79, 0x32a5705f, v64
	s_delay_alu instid0(VALU_DEP_2) | instskip(NEXT) | instid1(TRANS32_DEP_1)
	v_sub_f32_e32 v77, v77, v156
	v_ldexp_f32 v76, v76, v78
	v_cvt_i32_f32_e32 v78, v156
	s_delay_alu instid0(VALU_DEP_3) | instskip(SKIP_1) | instid1(VALU_DEP_3)
	v_add_f32_e32 v77, v77, v79
	s_wait_alu 0xfffd
	v_dual_cndmask_b32 v76, 0, v76 :: v_dual_add_nc_u32 v79, 0x800, v111
	v_cmp_nlt_f32_e32 vcc_lo, 0x42b17218, v65
	s_delay_alu instid0(VALU_DEP_3) | instskip(NEXT) | instid1(TRANS32_DEP_1)
	v_exp_f32_e32 v77, v77
	v_ldexp_f32 v77, v77, v78
	s_wait_alu 0xf1ff
	s_delay_alu instid0(VALU_DEP_1) | instskip(SKIP_2) | instid1(VALU_DEP_1)
	v_cndmask_b32_e64 v65, 0, v77, s3
	v_cmp_nlt_f32_e64 s3, 0x42b17218, v64
	s_wait_alu 0xf1ff
	v_cndmask_b32_e64 v64, 0x7f800000, v65, s3
	s_wait_alu 0xfffd
	v_cndmask_b32_e32 v65, 0x7f800000, v76, vcc_lo
	v_cmp_ngt_f32_e32 vcc_lo, 0xc2ce8ed0, v62
	v_cmp_ngt_f32_e64 s3, 0xc2ce8ed0, v61
	v_cvt_f16_f32_e32 v76, v64
	s_delay_alu instid0(VALU_DEP_4) | instskip(NEXT) | instid1(VALU_DEP_1)
	v_cvt_f16_f32_e32 v77, v65
	v_pack_b32_f16 v156, v76, v77
	s_delay_alu instid0(VALU_DEP_1)
	v_wmma_f16_16x16x16_f16 v[12:15], v[72:75], v[156:159], v[12:15]
	v_add_nc_u32_e32 v72, 0xa00, v111
	v_wmma_f16_16x16x16_f16 v[0:3], v[137:140], v[156:159], v[0:3]
	v_wmma_f16_16x16x16_f16 v[4:7], v[148:151], v[156:159], v[4:7]
	ds_load_2addr_b32 v[75:76], v72 offset0:116 offset1:132
	ds_load_2addr_b32 v[77:78], v79 offset0:136 offset1:152
	;; [unrolled: 1-line block ×4, first 2 shown]
	v_wmma_f16_16x16x16_f16 v[8:11], v[152:155], v[156:159], v[8:11]
	s_wait_dscnt 0x1
	v_perm_b32 v73, v150, v77, 0x7060302
	s_wait_dscnt 0x0
	v_perm_b32 v74, v75, v139, 0x7060302
	v_perm_b32 v139, v75, v139, 0x5040100
	;; [unrolled: 1-line block ×7, first 2 shown]
	ds_load_2addr_b32 v[75:76], v79 offset0:64 offset1:80
	ds_load_2addr_b32 v[77:78], v79 offset0:100 offset1:116
	s_wait_dscnt 0x0
	v_perm_b32 v72, v77, v75, 0x7060302
	v_perm_b32 v137, v77, v75, 0x5040100
	v_add_nc_u32_e32 v75, 0x800, v191
	v_add_nc_u32_e32 v77, 0x800, v192
	v_perm_b32 v148, v78, v76, 0x7060302
	v_perm_b32 v152, v78, v76, 0x5040100
	ds_load_2addr_b32 v[75:76], v75 offset0:64 offset1:80
	ds_load_2addr_b32 v[77:78], v77 offset0:64 offset1:80
	s_wait_dscnt 0x0
	v_perm_b32 v155, v78, v76, 0x5040100
	v_perm_b32 v151, v78, v76, 0x7060302
	v_mul_f32_e32 v76, 0x3fb8aa3b, v66
	v_perm_b32 v140, v77, v75, 0x5040100
	v_perm_b32 v75, v77, v75, 0x7060302
	s_delay_alu instid0(VALU_DEP_3) | instskip(SKIP_1) | instid1(VALU_DEP_2)
	v_fma_f32 v77, 0x3fb8aa3b, v66, -v76
	v_rndne_f32_e32 v78, v76
	v_fmac_f32_e32 v77, 0x32a5705f, v66
	s_delay_alu instid0(VALU_DEP_2) | instskip(SKIP_1) | instid1(VALU_DEP_2)
	v_sub_f32_e32 v76, v76, v78
	v_cvt_i32_f32_e32 v78, v78
	v_dual_add_f32 v76, v76, v77 :: v_dual_mul_f32 v77, 0x3fb8aa3b, v62
	s_delay_alu instid0(VALU_DEP_1) | instskip(NEXT) | instid1(VALU_DEP_1)
	v_exp_f32_e32 v76, v76
	v_fma_f32 v79, 0x3fb8aa3b, v62, -v77
	v_rndne_f32_e32 v156, v77
	s_delay_alu instid0(VALU_DEP_2) | instskip(NEXT) | instid1(VALU_DEP_2)
	v_fmac_f32_e32 v79, 0x32a5705f, v62
	v_sub_f32_e32 v77, v77, v156
	s_delay_alu instid0(TRANS32_DEP_1) | instskip(SKIP_1) | instid1(VALU_DEP_3)
	v_ldexp_f32 v76, v76, v78
	v_cvt_i32_f32_e32 v78, v156
	v_add_f32_e32 v77, v77, v79
	v_mul_f32_e32 v79, 0x3fb8aa3b, v61
	s_delay_alu instid0(VALU_DEP_2) | instskip(NEXT) | instid1(VALU_DEP_1)
	v_exp_f32_e32 v77, v77
	v_fma_f32 v157, 0x3fb8aa3b, v61, -v79
	v_rndne_f32_e32 v158, v79
	s_delay_alu instid0(VALU_DEP_2) | instskip(NEXT) | instid1(VALU_DEP_2)
	v_fmac_f32_e32 v157, 0x32a5705f, v61
	v_sub_f32_e32 v79, v79, v158
	s_delay_alu instid0(TRANS32_DEP_1) | instskip(NEXT) | instid1(VALU_DEP_2)
	v_ldexp_f32 v77, v77, v78
	v_add_f32_e32 v79, v79, v157
	v_mul_f32_e32 v157, 0x3fb8aa3b, v60
	s_wait_alu 0xfffd
	s_delay_alu instid0(VALU_DEP_3)
	v_cndmask_b32_e32 v77, 0, v77, vcc_lo
	v_cmp_nlt_f32_e32 vcc_lo, 0x42b17218, v62
	v_exp_f32_e32 v78, v79
	v_fma_f32 v159, 0x3fb8aa3b, v60, -v157
	v_rndne_f32_e32 v160, v157
	v_cvt_i32_f32_e32 v79, v158
	s_delay_alu instid0(VALU_DEP_3) | instskip(NEXT) | instid1(VALU_DEP_3)
	v_fmac_f32_e32 v159, 0x32a5705f, v60
	v_sub_f32_e32 v157, v157, v160
	v_cvt_i32_f32_e32 v156, v160
	s_delay_alu instid0(TRANS32_DEP_1) | instid1(VALU_DEP_4)
	v_ldexp_f32 v78, v78, v79
	s_delay_alu instid0(VALU_DEP_3) | instskip(SKIP_1) | instid1(VALU_DEP_2)
	v_add_f32_e32 v157, v157, v159
	s_wait_alu 0xf1ff
	v_cndmask_b32_e64 v78, 0, v78, s3
	v_cmp_nlt_f32_e64 s3, 0x42b17218, v61
	s_delay_alu instid0(VALU_DEP_3) | instskip(NEXT) | instid1(TRANS32_DEP_1)
	v_exp_f32_e32 v79, v157
	v_ldexp_f32 v79, v79, v156
	s_delay_alu instid0(VALU_DEP_1)
	v_cndmask_b32_e64 v61, 0, v79, s4
	v_cmp_nlt_f32_e64 s4, 0x42b17218, v60
	v_cndmask_b32_e64 v60, 0, v76, s5
	v_cmp_nlt_f32_e64 s5, 0x42b17218, v66
	s_wait_alu 0xfffd
	v_cndmask_b32_e32 v66, 0x7f800000, v77, vcc_lo
	v_cmp_ngt_f32_e32 vcc_lo, 0xc2ce8ed0, v59
	s_wait_alu 0xf1ff
	v_cndmask_b32_e64 v61, 0x7f800000, v61, s4
	v_cmp_ngt_f32_e64 s4, 0xc2ce8ed0, v30
	v_cndmask_b32_e64 v62, 0x7f800000, v60, s5
	v_cndmask_b32_e64 v60, 0x7f800000, v78, s3
	v_cvt_f16_f32_e32 v79, v66
	v_cvt_f16_f32_e32 v78, v61
	v_cmp_ngt_f32_e64 s3, 0xc2ce8ed0, v58
	v_cvt_f16_f32_e32 v76, v62
	v_cvt_f16_f32_e32 v77, v60
	v_sub_f32_e32 v16, v16, v24
	s_delay_alu instid0(VALU_DEP_3) | instskip(SKIP_1) | instid1(VALU_DEP_4)
	v_pack_b32_f16 v158, v76, v79
	v_mul_f32_e32 v76, 0x3fb8aa3b, v59
	v_pack_b32_f16 v159, v77, v78
	s_delay_alu instid0(VALU_DEP_2) | instskip(SKIP_1) | instid1(VALU_DEP_1)
	v_fma_f32 v77, 0x3fb8aa3b, v59, -v76
	v_rndne_f32_e32 v78, v76
	v_dual_fmac_f32 v77, 0x32a5705f, v59 :: v_dual_sub_f32 v76, v76, v78
	v_cvt_i32_f32_e32 v78, v78
	s_delay_alu instid0(VALU_DEP_2) | instskip(NEXT) | instid1(VALU_DEP_1)
	v_dual_add_f32 v76, v76, v77 :: v_dual_mul_f32 v77, 0x3fb8aa3b, v58
	v_exp_f32_e32 v76, v76
	s_delay_alu instid0(VALU_DEP_1) | instskip(SKIP_1) | instid1(VALU_DEP_2)
	v_fma_f32 v79, 0x3fb8aa3b, v58, -v77
	v_rndne_f32_e32 v156, v77
	v_fmac_f32_e32 v79, 0x32a5705f, v58
	s_delay_alu instid0(VALU_DEP_2) | instskip(NEXT) | instid1(TRANS32_DEP_1)
	v_sub_f32_e32 v77, v77, v156
	v_ldexp_f32 v76, v76, v78
	v_cvt_i32_f32_e32 v78, v156
	s_wait_alu 0xfffd
	s_delay_alu instid0(VALU_DEP_2) | instskip(SKIP_1) | instid1(VALU_DEP_2)
	v_dual_add_f32 v77, v77, v79 :: v_dual_cndmask_b32 v76, 0, v76
	v_cmp_nlt_f32_e32 vcc_lo, 0x42b17218, v59
	v_exp_f32_e32 v77, v77
	s_delay_alu instid0(TRANS32_DEP_1) | instskip(SKIP_1) | instid1(VALU_DEP_1)
	v_ldexp_f32 v77, v77, v78
	s_wait_alu 0xf1ff
	v_cndmask_b32_e64 v59, 0, v77, s3
	v_cmp_nlt_f32_e64 s3, 0x42b17218, v58
	s_wait_alu 0xf1ff
	s_delay_alu instid0(VALU_DEP_1) | instskip(SKIP_3) | instid1(VALU_DEP_3)
	v_cndmask_b32_e64 v58, 0x7f800000, v59, s3
	s_wait_alu 0xfffd
	v_cndmask_b32_e32 v59, 0x7f800000, v76, vcc_lo
	v_cmp_ngt_f32_e64 s3, 0xc2ce8ed0, v56
	v_cvt_f16_f32_e32 v76, v58
	s_delay_alu instid0(VALU_DEP_3) | instskip(NEXT) | instid1(VALU_DEP_1)
	v_cvt_f16_f32_e32 v77, v59
	v_pack_b32_f16 v157, v76, v77
	v_mul_f32_e32 v76, 0x3fb8aa3b, v57
	s_delay_alu instid0(VALU_DEP_1) | instskip(SKIP_1) | instid1(VALU_DEP_1)
	v_fma_f32 v77, 0x3fb8aa3b, v57, -v76
	v_rndne_f32_e32 v78, v76
	v_dual_fmac_f32 v77, 0x32a5705f, v57 :: v_dual_sub_f32 v76, v76, v78
	v_cvt_i32_f32_e32 v78, v78
	s_delay_alu instid0(VALU_DEP_2) | instskip(SKIP_1) | instid1(VALU_DEP_2)
	v_dual_add_f32 v76, v76, v77 :: v_dual_mul_f32 v77, 0x3fb8aa3b, v56
	v_cmp_ngt_f32_e32 vcc_lo, 0xc2ce8ed0, v57
	v_exp_f32_e32 v76, v76
	s_delay_alu instid0(VALU_DEP_2) | instskip(SKIP_1) | instid1(VALU_DEP_2)
	v_fma_f32 v79, 0x3fb8aa3b, v56, -v77
	v_rndne_f32_e32 v156, v77
	v_fmac_f32_e32 v79, 0x32a5705f, v56
	s_delay_alu instid0(VALU_DEP_2) | instskip(NEXT) | instid1(TRANS32_DEP_1)
	v_sub_f32_e32 v77, v77, v156
	v_ldexp_f32 v76, v76, v78
	v_cvt_i32_f32_e32 v78, v156
	s_wait_alu 0xfffd
	s_delay_alu instid0(VALU_DEP_2) | instskip(SKIP_1) | instid1(VALU_DEP_2)
	v_dual_add_f32 v77, v77, v79 :: v_dual_cndmask_b32 v76, 0, v76
	v_cmp_nlt_f32_e32 vcc_lo, 0x42b17218, v57
	v_exp_f32_e32 v77, v77
	s_wait_alu 0xfffd
	s_delay_alu instid0(VALU_DEP_2) | instskip(SKIP_1) | instid1(TRANS32_DEP_1)
	v_cndmask_b32_e32 v161, 0x7f800000, v76, vcc_lo
	v_cmp_ngt_f32_e32 vcc_lo, 0xc2ce8ed0, v54
	v_ldexp_f32 v77, v77, v78
	s_wait_alu 0xf1ff
	s_delay_alu instid0(VALU_DEP_1) | instskip(SKIP_2) | instid1(VALU_DEP_1)
	v_cndmask_b32_e64 v57, 0, v77, s3
	v_cmp_nlt_f32_e64 s3, 0x42b17218, v56
	s_wait_alu 0xf1ff
	v_cndmask_b32_e64 v160, 0x7f800000, v57, s3
	v_cvt_f16_f32_e64 v57, v161
	s_delay_alu instid0(VALU_DEP_2) | instskip(NEXT) | instid1(VALU_DEP_1)
	v_cvt_f16_f32_e64 v56, v160
	v_pack_b32_f16 v156, v56, v57
	v_add_nc_u32_e32 v56, 0x1000, v191
	s_delay_alu instid0(VALU_DEP_2)
	v_wmma_f16_16x16x16_f16 v[12:15], v[72:75], v[156:159], v[12:15]
	v_add_nc_u32_e32 v72, 0x1000, v192
	v_add_nc_u32_e32 v74, 0x1400, v111
	ds_load_2addr_b32 v[56:57], v56 offset0:128 offset1:144
	ds_load_2addr_b32 v[72:73], v72 offset0:128 offset1:144
	;; [unrolled: 1-line block ×4, first 2 shown]
	v_wmma_f16_16x16x16_f16 v[0:3], v[137:140], v[156:159], v[0:3]
	v_wmma_f16_16x16x16_f16 v[8:11], v[152:155], v[156:159], v[8:11]
	;; [unrolled: 1-line block ×3, first 2 shown]
	s_wait_dscnt 0x2
	v_perm_b32 v75, v72, v56, 0x5040100
	v_perm_b32 v140, v72, v56, 0x7060302
	v_add_nc_u32_e32 v72, 0x1000, v111
	s_wait_dscnt 0x0
	v_perm_b32 v74, v78, v76, 0x5040100
	v_perm_b32 v139, v78, v76, 0x7060302
	;; [unrolled: 1-line block ×6, first 2 shown]
	ds_load_2addr_b32 v[56:57], v72 offset0:200 offset1:216
	ds_load_2addr_b32 v[76:77], v72 offset0:236 offset1:252
	s_wait_dscnt 0x0
	v_perm_b32 v138, v76, v56, 0x7060302
	v_perm_b32 v73, v76, v56, 0x5040100
	;; [unrolled: 1-line block ×4, first 2 shown]
	ds_load_2addr_b32 v[56:57], v72 offset0:128 offset1:144
	ds_load_2addr_b32 v[76:77], v72 offset0:164 offset1:180
	s_wait_dscnt 0x0
	v_perm_b32 v137, v76, v56, 0x7060302
	v_perm_b32 v72, v76, v56, 0x5040100
	v_mul_f32_e32 v56, 0x3fb8aa3b, v55
	v_perm_b32 v148, v77, v57, 0x7060302
	v_perm_b32 v152, v77, v57, 0x5040100
	s_delay_alu instid0(VALU_DEP_3) | instskip(SKIP_1) | instid1(VALU_DEP_1)
	v_fma_f32 v57, 0x3fb8aa3b, v55, -v56
	v_rndne_f32_e32 v76, v56
	v_dual_fmac_f32 v57, 0x32a5705f, v55 :: v_dual_sub_f32 v56, v56, v76
	v_cvt_i32_f32_e32 v76, v76
	s_delay_alu instid0(VALU_DEP_2) | instskip(NEXT) | instid1(VALU_DEP_1)
	v_dual_add_f32 v56, v56, v57 :: v_dual_mul_f32 v57, 0x3fb8aa3b, v54
	v_exp_f32_e32 v56, v56
	s_delay_alu instid0(VALU_DEP_1) | instskip(SKIP_1) | instid1(VALU_DEP_2)
	v_fma_f32 v77, 0x3fb8aa3b, v54, -v57
	v_rndne_f32_e32 v78, v57
	v_fmac_f32_e32 v77, 0x32a5705f, v54
	s_delay_alu instid0(VALU_DEP_2) | instskip(NEXT) | instid1(TRANS32_DEP_1)
	v_sub_f32_e32 v57, v57, v78
	v_ldexp_f32 v56, v56, v76
	v_cvt_i32_f32_e32 v76, v78
	s_delay_alu instid0(VALU_DEP_3) | instskip(NEXT) | instid1(VALU_DEP_1)
	v_add_f32_e32 v57, v57, v77
	v_exp_f32_e32 v57, v57
	s_delay_alu instid0(TRANS32_DEP_1) | instskip(SKIP_3) | instid1(VALU_DEP_3)
	v_ldexp_f32 v57, v57, v76
	v_mul_f32_e32 v76, 0x3fb8aa3b, v31
	v_cmp_ngt_f32_e64 s5, 0xc2ce8ed0, v55
	s_wait_alu 0xfffd
	v_cndmask_b32_e32 v57, 0, v57, vcc_lo
	s_delay_alu instid0(VALU_DEP_3) | instskip(SKIP_3) | instid1(VALU_DEP_3)
	v_fma_f32 v77, 0x3fb8aa3b, v31, -v76
	v_rndne_f32_e32 v78, v76
	v_cmp_nlt_f32_e32 vcc_lo, 0x42b17218, v54
	v_mul_f32_e32 v54, 0x3fb8aa3b, v30
	v_dual_sub_f32 v76, v76, v78 :: v_dual_fmac_f32 v77, 0x32a5705f, v31
	s_delay_alu instid0(VALU_DEP_2)
	v_rndne_f32_e32 v79, v54
	v_cmp_ngt_f32_e64 s3, 0xc2ce8ed0, v31
	s_wait_alu 0xfffd
	v_cndmask_b32_e32 v157, 0x7f800000, v57, vcc_lo
	v_cmp_ngt_f32_e32 vcc_lo, 0xc2ce8ed0, v29
	v_add_f32_e32 v76, v76, v77
	v_fma_f32 v77, 0x3fb8aa3b, v30, -v54
	v_sub_f32_e32 v54, v54, v79
	s_delay_alu instid0(VALU_DEP_3) | instskip(NEXT) | instid1(VALU_DEP_2)
	v_exp_f32_e32 v76, v76
	v_fmac_f32_e32 v77, 0x32a5705f, v30
	s_delay_alu instid0(VALU_DEP_1) | instskip(SKIP_1) | instid1(VALU_DEP_2)
	v_add_f32_e32 v54, v54, v77
	v_cvt_i32_f32_e32 v77, v78
	v_exp_f32_e32 v54, v54
	s_delay_alu instid0(TRANS32_DEP_2) | instid1(VALU_DEP_1)
	v_ldexp_f32 v76, v76, v77
	v_cvt_i32_f32_e32 v77, v79
	s_wait_alu 0xf1ff
	s_delay_alu instid0(VALU_DEP_2)
	v_cndmask_b32_e64 v76, 0, v76, s3
	v_cmp_nlt_f32_e64 s3, 0x42b17218, v31
	s_delay_alu instid0(TRANS32_DEP_1) | instid1(VALU_DEP_3)
	v_ldexp_f32 v54, v54, v77
	s_wait_alu 0xf1ff
	s_delay_alu instid0(VALU_DEP_2) | instskip(SKIP_1) | instid1(VALU_DEP_3)
	v_cndmask_b32_e64 v79, 0x7f800000, v76, s3
	v_cmp_ngt_f32_e64 s3, 0xc2ce8ed0, v28
	v_cndmask_b32_e64 v31, 0, v54, s4
	v_cmp_nlt_f32_e64 s4, 0x42b17218, v30
	v_cndmask_b32_e64 v30, 0, v56, s5
	v_cmp_nlt_f32_e64 s5, 0x42b17218, v55
	v_cvt_f16_f32_e64 v55, v157
	s_wait_alu 0xf1ff
	v_cndmask_b32_e64 v156, 0x7f800000, v31, s4
	v_cvt_f16_f32_e32 v31, v79
	v_cndmask_b32_e64 v78, 0x7f800000, v30, s5
	v_cmp_ngt_f32_e64 s4, 0xc2ce8ed0, v21
	v_cmp_ngt_f32_e64 s5, 0xc2ce8ed0, v25
	v_cvt_f16_f32_e64 v54, v156
	s_delay_alu instid0(VALU_DEP_4) | instskip(NEXT) | instid1(VALU_DEP_2)
	v_cvt_f16_f32_e32 v30, v78
	v_pack_b32_f16 v31, v31, v54
	v_mul_f32_e32 v54, 0x3fb8aa3b, v29
	s_delay_alu instid0(VALU_DEP_3) | instskip(NEXT) | instid1(VALU_DEP_2)
	v_pack_b32_f16 v30, v30, v55
	v_fma_f32 v55, 0x3fb8aa3b, v29, -v54
	v_rndne_f32_e32 v56, v54
	s_delay_alu instid0(VALU_DEP_1) | instskip(SKIP_1) | instid1(VALU_DEP_2)
	v_dual_fmac_f32 v55, 0x32a5705f, v29 :: v_dual_sub_f32 v54, v54, v56
	v_cvt_i32_f32_e32 v56, v56
	v_dual_add_f32 v54, v54, v55 :: v_dual_mul_f32 v55, 0x3fb8aa3b, v28
	s_delay_alu instid0(VALU_DEP_1) | instskip(NEXT) | instid1(VALU_DEP_1)
	v_exp_f32_e32 v54, v54
	v_fma_f32 v57, 0x3fb8aa3b, v28, -v55
	v_rndne_f32_e32 v76, v55
	s_delay_alu instid0(VALU_DEP_2) | instskip(NEXT) | instid1(VALU_DEP_2)
	v_fmac_f32_e32 v57, 0x32a5705f, v28
	v_sub_f32_e32 v55, v55, v76
	s_delay_alu instid0(TRANS32_DEP_1) | instskip(SKIP_2) | instid1(VALU_DEP_2)
	v_ldexp_f32 v54, v54, v56
	v_cvt_i32_f32_e32 v56, v76
	s_wait_alu 0xfffd
	v_dual_add_f32 v55, v55, v57 :: v_dual_cndmask_b32 v54, 0, v54
	v_cmp_nlt_f32_e32 vcc_lo, 0x42b17218, v29
	s_delay_alu instid0(VALU_DEP_2) | instskip(SKIP_1) | instid1(VALU_DEP_2)
	v_exp_f32_e32 v55, v55
	s_wait_alu 0xfffd
	v_cndmask_b32_e32 v159, 0x7f800000, v54, vcc_lo
	v_cmp_ngt_f32_e32 vcc_lo, 0xc2ce8ed0, v27
	s_delay_alu instid0(TRANS32_DEP_1) | instskip(NEXT) | instid1(VALU_DEP_1)
	v_ldexp_f32 v55, v55, v56
	v_cndmask_b32_e64 v29, 0, v55, s3
	v_cmp_nlt_f32_e64 s3, 0x42b17218, v28
	s_wait_alu 0xf1ff
	s_delay_alu instid0(VALU_DEP_1) | instskip(SKIP_2) | instid1(VALU_DEP_3)
	v_cndmask_b32_e64 v158, 0x7f800000, v29, s3
	v_cvt_f16_f32_e64 v29, v159
	v_cmp_ngt_f32_e64 s3, 0xc2ce8ed0, v26
	v_cvt_f16_f32_e64 v28, v158
	s_delay_alu instid0(VALU_DEP_1) | instskip(SKIP_1) | instid1(VALU_DEP_1)
	v_pack_b32_f16 v29, v28, v29
	v_mul_f32_e32 v28, 0x3fb8aa3b, v27
	v_fma_f32 v54, 0x3fb8aa3b, v27, -v28
	v_rndne_f32_e32 v55, v28
	s_delay_alu instid0(VALU_DEP_2) | instskip(NEXT) | instid1(VALU_DEP_2)
	v_fmac_f32_e32 v54, 0x32a5705f, v27
	v_sub_f32_e32 v28, v28, v55
	v_cvt_i32_f32_e32 v55, v55
	s_delay_alu instid0(VALU_DEP_2) | instskip(SKIP_1) | instid1(VALU_DEP_2)
	v_add_f32_e32 v28, v28, v54
	v_mul_f32_e32 v54, 0x3fb8aa3b, v26
	v_exp_f32_e32 v28, v28
	s_delay_alu instid0(VALU_DEP_1) | instskip(SKIP_1) | instid1(VALU_DEP_2)
	v_fma_f32 v56, 0x3fb8aa3b, v26, -v54
	v_rndne_f32_e32 v57, v54
	v_fmac_f32_e32 v56, 0x32a5705f, v26
	s_delay_alu instid0(VALU_DEP_2) | instskip(NEXT) | instid1(TRANS32_DEP_1)
	v_sub_f32_e32 v54, v54, v57
	v_ldexp_f32 v28, v28, v55
	v_cvt_i32_f32_e32 v55, v57
	s_delay_alu instid0(VALU_DEP_3) | instskip(SKIP_1) | instid1(VALU_DEP_3)
	v_add_f32_e32 v54, v54, v56
	s_wait_alu 0xfffd
	v_cndmask_b32_e32 v28, 0, v28, vcc_lo
	v_cmp_nlt_f32_e32 vcc_lo, 0x42b17218, v27
	s_delay_alu instid0(VALU_DEP_3) | instskip(SKIP_1) | instid1(VALU_DEP_2)
	v_exp_f32_e32 v54, v54
	s_wait_alu 0xfffd
	v_cndmask_b32_e32 v163, 0x7f800000, v28, vcc_lo
	v_cmp_ngt_f32_e32 vcc_lo, 0xc2ce8ed0, v23
	s_delay_alu instid0(TRANS32_DEP_1) | instskip(SKIP_1) | instid1(VALU_DEP_1)
	v_ldexp_f32 v54, v54, v55
	s_wait_alu 0xf1ff
	v_cndmask_b32_e64 v27, 0, v54, s3
	v_cmp_nlt_f32_e64 s3, 0x42b17218, v26
	s_wait_alu 0xf1ff
	s_delay_alu instid0(VALU_DEP_1) | instskip(SKIP_2) | instid1(VALU_DEP_3)
	v_cndmask_b32_e64 v162, 0x7f800000, v27, s3
	v_cvt_f16_f32_e64 v27, v163
	v_cmp_ngt_f32_e64 s3, 0xc2ce8ed0, v22
	v_cvt_f16_f32_e64 v26, v162
	s_delay_alu instid0(VALU_DEP_1) | instskip(SKIP_1) | instid1(VALU_DEP_2)
	v_pack_b32_f16 v28, v26, v27
	v_add_nc_u32_e32 v26, 0x1c00, v111
	v_wmma_f16_16x16x16_f16 v[0:3], v[72:75], v[28:31], v[0:3]
	v_wmma_f16_16x16x16_f16 v[12:15], v[137:140], v[28:31], v[12:15]
	;; [unrolled: 1-line block ×4, first 2 shown]
	ds_load_2addr_b32 v[29:30], v26 offset0:8 offset1:24
	ds_load_2addr_b32 v[74:75], v26 offset0:44 offset1:60
	;; [unrolled: 1-line block ×4, first 2 shown]
	v_add_nc_u32_e32 v26, 0x1800, v111
	s_wait_dscnt 0x2
	v_perm_b32 v27, v74, v29, 0x7060302
	v_perm_b32 v55, v74, v29, 0x5040100
	s_wait_dscnt 0x0
	v_perm_b32 v28, v76, v56, 0x7060302
	v_perm_b32 v56, v76, v56, 0x5040100
	;; [unrolled: 1-line block ×4, first 2 shown]
	ds_load_2addr_b32 v[29:30], v26 offset0:192 offset1:208
	ds_load_2addr_b32 v[75:76], v26 offset0:228 offset1:244
	v_perm_b32 v74, v77, v57, 0x7060302
	v_perm_b32 v139, v77, v57, 0x5040100
	v_add_nc_u32_e32 v57, 0x1800, v192
	s_wait_dscnt 0x0
	v_perm_b32 v26, v75, v29, 0x7060302
	v_perm_b32 v54, v75, v29, 0x5040100
	v_add_nc_u32_e32 v29, 0x1800, v191
	v_perm_b32 v72, v76, v30, 0x7060302
	v_perm_b32 v137, v76, v30, 0x5040100
	ds_load_2addr_b32 v[30:31], v29 offset0:192 offset1:208
	ds_load_2addr_b32 v[75:76], v57 offset0:192 offset1:208
	s_wait_loadcnt_dscnt 0x0
	s_barrier_signal -1
	s_barrier_wait -1
	global_inv scope:SCOPE_SE
	v_perm_b32 v29, v75, v30, 0x7060302
	v_perm_b32 v57, v75, v30, 0x5040100
	v_mul_f32_e32 v30, 0x3fb8aa3b, v25
	v_perm_b32 v140, v76, v31, 0x5040100
	v_perm_b32 v75, v76, v31, 0x7060302
	s_delay_alu instid0(VALU_DEP_3) | instskip(SKIP_1) | instid1(VALU_DEP_1)
	v_fma_f32 v31, 0x3fb8aa3b, v25, -v30
	v_rndne_f32_e32 v76, v30
	v_dual_fmac_f32 v31, 0x32a5705f, v25 :: v_dual_sub_f32 v30, v30, v76
	v_cvt_i32_f32_e32 v76, v76
	s_delay_alu instid0(VALU_DEP_2) | instskip(SKIP_1) | instid1(VALU_DEP_2)
	v_add_f32_e32 v30, v30, v31
	v_mul_f32_e32 v31, 0x3fb8aa3b, v23
	v_exp_f32_e32 v30, v30
	s_delay_alu instid0(VALU_DEP_1) | instskip(SKIP_1) | instid1(VALU_DEP_2)
	v_fma_f32 v77, 0x3fb8aa3b, v23, -v31
	v_rndne_f32_e32 v148, v31
	v_fmac_f32_e32 v77, 0x32a5705f, v23
	s_delay_alu instid0(VALU_DEP_2) | instskip(NEXT) | instid1(TRANS32_DEP_1)
	v_sub_f32_e32 v31, v31, v148
	v_ldexp_f32 v30, v30, v76
	v_cvt_i32_f32_e32 v76, v148
	s_delay_alu instid0(VALU_DEP_3) | instskip(NEXT) | instid1(VALU_DEP_1)
	v_add_f32_e32 v31, v31, v77
	v_exp_f32_e32 v31, v31
	s_delay_alu instid0(TRANS32_DEP_1) | instskip(SKIP_1) | instid1(VALU_DEP_1)
	v_ldexp_f32 v31, v31, v76
	s_wait_alu 0xfffd
	v_dual_mul_f32 v76, 0x3fb8aa3b, v22 :: v_dual_cndmask_b32 v31, 0, v31
	s_delay_alu instid0(VALU_DEP_1) | instskip(SKIP_2) | instid1(VALU_DEP_2)
	v_fma_f32 v77, 0x3fb8aa3b, v22, -v76
	v_rndne_f32_e32 v148, v76
	v_cmp_nlt_f32_e32 vcc_lo, 0x42b17218, v23
	v_dual_fmac_f32 v77, 0x32a5705f, v22 :: v_dual_sub_f32 v76, v76, v148
	s_wait_alu 0xfffd
	v_cndmask_b32_e32 v31, 0x7f800000, v31, vcc_lo
	v_cmp_ngt_f32_e32 vcc_lo, 0xc2ce8ed0, v20
	s_delay_alu instid0(VALU_DEP_3) | instskip(SKIP_1) | instid1(VALU_DEP_2)
	v_add_f32_e32 v76, v76, v77
	v_mul_f32_e32 v77, 0x3fb8aa3b, v21
	v_exp_f32_e32 v23, v76
	s_delay_alu instid0(VALU_DEP_1) | instskip(SKIP_2) | instid1(VALU_DEP_3)
	v_fma_f32 v149, 0x3fb8aa3b, v21, -v77
	v_rndne_f32_e32 v150, v77
	v_cvt_i32_f32_e32 v76, v148
	v_fmac_f32_e32 v149, 0x32a5705f, v21
	s_delay_alu instid0(VALU_DEP_3)
	v_sub_f32_e32 v77, v77, v150
	s_delay_alu instid0(TRANS32_DEP_1) | instid1(VALU_DEP_3)
	v_ldexp_f32 v23, v23, v76
	s_delay_alu instid0(VALU_DEP_2) | instskip(SKIP_1) | instid1(VALU_DEP_2)
	v_add_f32_e32 v77, v77, v149
	s_wait_alu 0xf1ff
	v_cndmask_b32_e64 v23, 0, v23, s3
	v_cmp_nlt_f32_e64 s3, 0x42b17218, v22
	s_delay_alu instid0(VALU_DEP_3) | instskip(SKIP_2) | instid1(VALU_DEP_2)
	v_exp_f32_e32 v76, v77
	v_cvt_i32_f32_e32 v77, v150
	s_wait_alu 0xf1ff
	v_cndmask_b32_e64 v23, 0x7f800000, v23, s3
	v_cmp_ngt_f32_e64 s3, 0xc2ce8ed0, v19
	s_delay_alu instid0(TRANS32_DEP_1) | instid1(VALU_DEP_3)
	v_ldexp_f32 v76, v76, v77
	v_cvt_f16_f32_e32 v77, v31
	s_delay_alu instid0(VALU_DEP_2) | instskip(SKIP_4) | instid1(VALU_DEP_3)
	v_cndmask_b32_e64 v22, 0, v76, s4
	v_cmp_nlt_f32_e64 s4, 0x42b17218, v21
	v_cndmask_b32_e64 v21, 0, v30, s5
	v_cmp_nlt_f32_e64 s5, 0x42b17218, v25
	s_wait_alu 0xf1ff
	v_cndmask_b32_e64 v30, 0x7f800000, v22, s4
	v_cvt_f16_f32_e32 v22, v23
	s_delay_alu instid0(VALU_DEP_3) | instskip(NEXT) | instid1(VALU_DEP_3)
	v_cndmask_b32_e64 v25, 0x7f800000, v21, s5
	v_cvt_f16_f32_e32 v76, v30
	s_delay_alu instid0(VALU_DEP_2) | instskip(NEXT) | instid1(VALU_DEP_2)
	v_cvt_f16_f32_e32 v21, v25
	v_pack_b32_f16 v22, v22, v76
	v_mul_f32_e32 v76, 0x3fb8aa3b, v20
	s_delay_alu instid0(VALU_DEP_3) | instskip(NEXT) | instid1(VALU_DEP_2)
	v_pack_b32_f16 v21, v21, v77
	v_fma_f32 v77, 0x3fb8aa3b, v20, -v76
	v_rndne_f32_e32 v148, v76
	s_delay_alu instid0(VALU_DEP_2) | instskip(NEXT) | instid1(VALU_DEP_2)
	v_fmac_f32_e32 v77, 0x32a5705f, v20
	v_sub_f32_e32 v76, v76, v148
	v_cvt_i32_f32_e32 v148, v148
	s_delay_alu instid0(VALU_DEP_2) | instskip(NEXT) | instid1(VALU_DEP_1)
	v_dual_add_f32 v76, v76, v77 :: v_dual_mul_f32 v77, 0x3fb8aa3b, v19
	v_exp_f32_e32 v76, v76
	s_delay_alu instid0(VALU_DEP_1) | instskip(SKIP_1) | instid1(VALU_DEP_2)
	v_fma_f32 v149, 0x3fb8aa3b, v19, -v77
	v_rndne_f32_e32 v150, v77
	v_fmac_f32_e32 v149, 0x32a5705f, v19
	s_delay_alu instid0(VALU_DEP_2) | instskip(NEXT) | instid1(TRANS32_DEP_1)
	v_sub_f32_e32 v77, v77, v150
	v_ldexp_f32 v76, v76, v148
	v_cvt_i32_f32_e32 v148, v150
	s_wait_alu 0xfffd
	s_delay_alu instid0(VALU_DEP_2) | instskip(SKIP_1) | instid1(VALU_DEP_2)
	v_dual_add_f32 v77, v77, v149 :: v_dual_cndmask_b32 v76, 0, v76
	v_cmp_nlt_f32_e32 vcc_lo, 0x42b17218, v20
	v_exp_f32_e32 v77, v77
	s_wait_alu 0xfffd
	s_delay_alu instid0(VALU_DEP_2) | instskip(SKIP_1) | instid1(TRANS32_DEP_1)
	v_cndmask_b32_e32 v76, 0x7f800000, v76, vcc_lo
	v_cmp_ngt_f32_e32 vcc_lo, 0xc2ce8ed0, v17
	v_ldexp_f32 v77, v77, v148
	s_delay_alu instid0(VALU_DEP_1) | instskip(SKIP_2) | instid1(VALU_DEP_1)
	v_cndmask_b32_e64 v20, 0, v77, s3
	v_cmp_nlt_f32_e64 s3, 0x42b17218, v19
	s_wait_alu 0xf1ff
	v_cndmask_b32_e64 v77, 0x7f800000, v20, s3
	v_cvt_f16_f32_e32 v20, v76
	v_cmp_ngt_f32_e64 s3, 0xc2ce8ed0, v16
	s_delay_alu instid0(VALU_DEP_3) | instskip(NEXT) | instid1(VALU_DEP_1)
	v_cvt_f16_f32_e32 v19, v77
	v_pack_b32_f16 v20, v19, v20
	v_mul_f32_e32 v19, 0x3fb8aa3b, v17
	s_delay_alu instid0(VALU_DEP_1) | instskip(SKIP_1) | instid1(VALU_DEP_2)
	v_fma_f32 v148, 0x3fb8aa3b, v17, -v19
	v_rndne_f32_e32 v149, v19
	v_fmac_f32_e32 v148, 0x32a5705f, v17
	s_delay_alu instid0(VALU_DEP_2) | instskip(SKIP_1) | instid1(VALU_DEP_2)
	v_sub_f32_e32 v19, v19, v149
	v_cvt_i32_f32_e32 v149, v149
	v_add_f32_e32 v19, v19, v148
	v_mul_f32_e32 v148, 0x3fb8aa3b, v16
	s_delay_alu instid0(VALU_DEP_2) | instskip(NEXT) | instid1(VALU_DEP_1)
	v_exp_f32_e32 v19, v19
	v_fma_f32 v150, 0x3fb8aa3b, v16, -v148
	v_rndne_f32_e32 v151, v148
	s_delay_alu instid0(VALU_DEP_2) | instskip(NEXT) | instid1(VALU_DEP_2)
	v_fmac_f32_e32 v150, 0x32a5705f, v16
	v_sub_f32_e32 v148, v148, v151
	s_delay_alu instid0(TRANS32_DEP_1) | instskip(SKIP_2) | instid1(VALU_DEP_2)
	v_ldexp_f32 v19, v19, v149
	v_cvt_i32_f32_e32 v149, v151
	s_wait_alu 0xfffd
	v_dual_add_f32 v148, v148, v150 :: v_dual_cndmask_b32 v19, 0, v19
	v_cmp_nlt_f32_e32 vcc_lo, 0x42b17218, v17
	s_delay_alu instid0(VALU_DEP_2) | instskip(NEXT) | instid1(TRANS32_DEP_1)
	v_exp_f32_e32 v148, v148
	v_ldexp_f32 v148, v148, v149
	s_wait_alu 0xf1ff
	s_delay_alu instid0(VALU_DEP_1) | instskip(SKIP_2) | instid1(VALU_DEP_1)
	v_cndmask_b32_e64 v17, 0, v148, s3
	v_cmp_nlt_f32_e64 s3, 0x42b17218, v16
	s_wait_alu 0xf1ff
	v_cndmask_b32_e64 v16, 0x7f800000, v17, s3
	s_wait_alu 0xfffd
	v_cndmask_b32_e32 v17, 0x7f800000, v19, vcc_lo
	s_delay_alu instid0(VALU_DEP_2) | instskip(NEXT) | instid1(VALU_DEP_2)
	v_cvt_f16_f32_e32 v19, v16
	v_cvt_f16_f32_e64 v148, v17
	s_delay_alu instid0(VALU_DEP_1) | instskip(NEXT) | instid1(VALU_DEP_1)
	v_pack_b32_f16 v19, v19, v148
	v_wmma_f16_16x16x16_f16 v[0:3], v[54:57], v[19:22], v[0:3]
	v_wmma_f16_16x16x16_f16 v[12:15], v[26:29], v[19:22], v[12:15]
	;; [unrolled: 1-line block ×4, first 2 shown]
	v_add_f32_e32 v19, v64, v65
	s_delay_alu instid0(VALU_DEP_1) | instskip(NEXT) | instid1(VALU_DEP_1)
	v_add_f32_e32 v19, v67, v19
	v_add_f32_e32 v19, v68, v19
	s_delay_alu instid0(VALU_DEP_1) | instskip(NEXT) | instid1(VALU_DEP_1)
	v_add_f32_e32 v19, v71, v19
	;; [unrolled: 3-line block ×15, first 2 shown]
	v_add_f32_e32 v16, v30, v16
	s_delay_alu instid0(VALU_DEP_1)
	v_fmac_f32_e32 v16, v189, v63
	ds_bpermute_b32 v17, v18, v16
	s_wait_dscnt 0x0
	v_add_f32_e32 v25, v16, v17
	s_cbranch_scc0 .LBB0_353
; %bb.253:                              ;   in Loop: Header=BB0_9 Depth=1
	v_dual_max_num_f32 v17, v24, v24 :: v_dual_lshlrev_b32 v16, 2, v114
	global_load_b32 v16, v16, s[74:75]
	s_wait_loadcnt 0x0
	v_max_num_f32_e32 v18, v16, v16
	s_delay_alu instid0(VALU_DEP_1) | instskip(NEXT) | instid1(VALU_DEP_1)
	v_max_num_f32_e32 v26, v17, v18
	v_sub_f32_e32 v17, v24, v26
	v_sub_f32_e32 v16, v16, v26
	s_delay_alu instid0(VALU_DEP_2) | instskip(NEXT) | instid1(VALU_DEP_1)
	v_mul_f32_e32 v18, 0x3fb8aa3b, v17
	v_fma_f32 v19, 0x3fb8aa3b, v17, -v18
	v_rndne_f32_e32 v20, v18
	s_delay_alu instid0(VALU_DEP_1) | instskip(SKIP_2) | instid1(VALU_DEP_3)
	v_dual_sub_f32 v18, v18, v20 :: v_dual_fmac_f32 v19, 0x32a5705f, v17
	v_cvt_i32_f32_e32 v20, v20
	v_cmp_ngt_f32_e32 vcc_lo, 0xc2ce8ed0, v17
	v_dual_add_f32 v18, v18, v19 :: v_dual_mul_f32 v19, 0x3fb8aa3b, v16
	s_delay_alu instid0(VALU_DEP_1) | instskip(SKIP_1) | instid1(VALU_DEP_2)
	v_fma_f32 v21, 0x3fb8aa3b, v16, -v19
	v_rndne_f32_e32 v22, v19
	v_fmac_f32_e32 v21, 0x32a5705f, v16
	s_delay_alu instid0(VALU_DEP_4) | instskip(NEXT) | instid1(VALU_DEP_2)
	v_exp_f32_e32 v18, v18
	v_sub_f32_e32 v19, v19, v22
	s_delay_alu instid0(VALU_DEP_1) | instskip(NEXT) | instid1(TRANS32_DEP_1)
	v_add_f32_e32 v19, v19, v21
	v_ldexp_f32 v18, v18, v20
	s_delay_alu instid0(VALU_DEP_2) | instskip(SKIP_1) | instid1(VALU_DEP_1)
	v_exp_f32_e32 v19, v19
	s_wait_alu 0xfffd
	v_cndmask_b32_e32 v18, 0, v18, vcc_lo
	v_cmp_nlt_f32_e32 vcc_lo, 0x42b17218, v17
	s_wait_alu 0xfffd
	s_delay_alu instid0(VALU_DEP_2) | instskip(SKIP_3) | instid1(VALU_DEP_3)
	v_cndmask_b32_e32 v18, 0x7f800000, v18, vcc_lo
	v_cmp_le_f32_e32 vcc_lo, 0xc1a00000, v17
	v_cvt_i32_f32_e32 v17, v22
	s_wait_alu 0xfffd
	v_cndmask_b32_e32 v58, 0, v18, vcc_lo
	s_delay_alu instid0(VALU_DEP_2) | instskip(SKIP_1) | instid1(VALU_DEP_3)
	v_ldexp_f32 v17, v19, v17
	v_cmp_ngt_f32_e32 vcc_lo, 0xc2ce8ed0, v16
	v_cvt_f16_f32_e32 v18, v58
	s_wait_alu 0xfffd
	s_delay_alu instid0(VALU_DEP_3) | instskip(SKIP_1) | instid1(VALU_DEP_3)
	v_cndmask_b32_e32 v17, 0, v17, vcc_lo
	v_cmp_nlt_f32_e32 vcc_lo, 0x42b17218, v16
	v_and_b32_e32 v18, 0xffff, v18
	s_wait_alu 0xfffd
	s_delay_alu instid0(VALU_DEP_3) | instskip(NEXT) | instid1(VALU_DEP_2)
	v_cndmask_b32_e32 v57, 0x7f800000, v17, vcc_lo
	v_mul_u32_u24_e32 v19, 0x10001, v18
	s_delay_alu instid0(VALU_DEP_2) | instskip(NEXT) | instid1(VALU_DEP_2)
	v_fmac_f32_e32 v57, v25, v58
	v_pk_mul_f16 v56, v0, v19
	v_pk_mul_f16 v55, v1, v19
	;; [unrolled: 1-line block ×16, first 2 shown]
	s_cbranch_execnz .LBB0_255
.LBB0_254:                              ;   in Loop: Header=BB0_9 Depth=1
	v_dual_mov_b32 v23, v15 :: v_dual_mov_b32 v22, v14
	v_dual_mov_b32 v19, v7 :: v_dual_mov_b32 v18, v6
	;; [unrolled: 1-line block ×9, first 2 shown]
.LBB0_255:                              ;   in Loop: Header=BB0_9 Depth=1
	s_and_saveexec_b32 s3, s2
	s_cbranch_execz .LBB0_257
; %bb.256:                              ;   in Loop: Header=BB0_9 Depth=1
	scratch_load_b32 v0, off, off offset:8  ; 4-byte Folded Reload
	s_wait_loadcnt 0x0
	ds_store_2addr_b32 v0, v26, v57 offset0:32 offset1:33
.LBB0_257:                              ;   in Loop: Header=BB0_9 Depth=1
	s_wait_alu 0xfffe
	s_or_b32 exec_lo, exec_lo, s3
	v_perm_b32 v0, v20, v56, 0x5040100
	v_perm_b32 v1, v20, v56, 0x7060302
	v_add_nc_u32_e32 v8, v129, v130
	v_perm_b32 v2, v21, v55, 0x5040100
	v_perm_b32 v3, v21, v55, 0x7060302
	;; [unrolled: 1-line block ×8, first 2 shown]
	s_wait_loadcnt_dscnt 0x0
	s_barrier_signal -1
	s_barrier_wait -1
	global_inv scope:SCOPE_SE
	v_perm_b32 v11, v17, v29, 0x5040100
	v_perm_b32 v12, v17, v29, 0x7060302
	;; [unrolled: 1-line block ×6, first 2 shown]
	ds_store_2addr_b32 v8, v0, v1 offset1:1
	ds_store_2addr_b32 v8, v2, v3 offset0:2 offset1:3
	ds_store_2addr_b32 v8, v4, v5 offset0:4 offset1:5
	;; [unrolled: 1-line block ×7, first 2 shown]
	v_mov_b32_e32 v0, 50
	s_wait_loadcnt_dscnt 0x0
	s_barrier_signal -1
	s_barrier_wait -1
	global_inv scope:SCOPE_SE
	s_and_saveexec_b32 s4, s50
	s_cbranch_execz .LBB0_259
; %bb.258:                              ;   in Loop: Header=BB0_9 Depth=1
	v_add_nc_u32_e32 v0, v131, v88
	ds_load_b32 v0, v0
	ds_load_b32 v3, v131 offset:132
	s_wait_dscnt 0x1
	v_lshrrev_b32_e32 v1, 16, v0
	v_cvt_f32_f16_e32 v0, v0
	s_delay_alu instid0(VALU_DEP_2) | instskip(NEXT) | instid1(VALU_DEP_2)
	v_cvt_f32_f16_e32 v1, v1
	v_add_f32_e32 v2, 0, v0
	s_wait_dscnt 0x0
	s_delay_alu instid0(VALU_DEP_1) | instskip(NEXT) | instid1(VALU_DEP_1)
	v_div_scale_f32 v5, null, v3, v3, v2
	v_rcp_f32_e32 v7, v5
	s_delay_alu instid0(TRANS32_DEP_1) | instskip(NEXT) | instid1(VALU_DEP_1)
	v_fma_f32 v0, -v5, v7, 1.0
	v_fmac_f32_e32 v7, v0, v7
	v_div_scale_f32 v9, vcc_lo, v2, v3, v2
	s_delay_alu instid0(VALU_DEP_1) | instskip(NEXT) | instid1(VALU_DEP_1)
	v_dual_mul_f32 v11, v9, v7 :: v_dual_add_f32 v4, 0, v1
	v_div_scale_f32 v6, null, v3, v3, v4
	s_delay_alu instid0(VALU_DEP_1) | instskip(NEXT) | instid1(TRANS32_DEP_1)
	v_rcp_f32_e32 v8, v6
	v_fma_f32 v1, -v6, v8, 1.0
	s_delay_alu instid0(VALU_DEP_1) | instskip(SKIP_2) | instid1(VALU_DEP_1)
	v_fmac_f32_e32 v8, v1, v8
	v_mad_co_u64_u32 v[0:1], null, v188, s25, v[32:33]
	v_fma_f32 v1, -v5, v11, v9
	v_fmac_f32_e32 v11, v1, v7
	v_div_scale_f32 v10, s3, v4, v3, v4
	s_delay_alu instid0(VALU_DEP_4) | instskip(NEXT) | instid1(VALU_DEP_3)
	v_lshl_add_u32 v0, v0, 5, v48
	v_fma_f32 v5, -v5, v11, v9
	s_delay_alu instid0(VALU_DEP_3) | instskip(NEXT) | instid1(VALU_DEP_3)
	v_mul_f32_e32 v12, v10, v8
	v_ashrrev_i32_e32 v1, 31, v0
	s_wait_alu 0xfffd
	s_delay_alu instid0(VALU_DEP_3) | instskip(NEXT) | instid1(VALU_DEP_3)
	v_div_fmas_f32 v5, v5, v7, v11
	v_fma_f32 v13, -v6, v12, v10
	s_mov_b32 vcc_lo, s3
	v_lshlrev_b64_e32 v[0:1], 3, v[0:1]
	s_delay_alu instid0(VALU_DEP_3) | instskip(NEXT) | instid1(VALU_DEP_3)
	v_div_fixup_f32 v2, v5, v3, v2
	v_fmac_f32_e32 v12, v13, v8
	s_delay_alu instid0(VALU_DEP_1) | instskip(SKIP_1) | instid1(VALU_DEP_1)
	v_fma_f32 v6, -v6, v12, v10
	s_wait_alu 0xfffe
	v_div_fmas_f32 v6, v6, v8, v12
	s_delay_alu instid0(VALU_DEP_1)
	v_div_fixup_f32 v3, v6, v3, v4
	v_add_co_u32 v4, vcc_lo, s72, v0
	s_wait_alu 0xfffd
	v_add_co_ci_u32_e64 v5, null, s73, v1, vcc_lo
	v_mov_b32_e32 v0, 0
	global_store_b64 v[4:5], v[2:3], off
.LBB0_259:                              ;   in Loop: Header=BB0_9 Depth=1
	s_wait_alu 0xfffe
	s_or_b32 exec_lo, exec_lo, s4
	s_mov_b32 s3, -1
	s_mov_b32 s4, exec_lo
	v_cmpx_gt_i32_e32 50, v0
; %bb.260:                              ;   in Loop: Header=BB0_9 Depth=1
	v_cmp_eq_u32_e32 vcc_lo, 0, v0
	s_or_not1_b32 s3, vcc_lo, exec_lo
; %bb.261:                              ;   in Loop: Header=BB0_9 Depth=1
	s_wait_alu 0xfffe
	s_or_b32 exec_lo, exec_lo, s4
                                        ; implicit-def: $vgpr1
	s_and_saveexec_b32 s4, s3
	s_cbranch_execz .LBB0_349
; %bb.262:                              ;   in Loop: Header=BB0_9 Depth=1
	v_mov_b32_e32 v0, 50
	s_and_saveexec_b32 s5, s30
	s_cbranch_execz .LBB0_264
; %bb.263:                              ;   in Loop: Header=BB0_9 Depth=1
	v_mov_b32_e32 v1, v34
	s_delay_alu instid0(VALU_DEP_1)
	v_add_nc_u32_e32 v0, v1, v88
	ds_load_b32 v0, v0
	ds_load_b32 v3, v34 offset:132
	s_wait_dscnt 0x1
	v_lshrrev_b32_e32 v1, 16, v0
	v_cvt_f32_f16_e32 v0, v0
	s_delay_alu instid0(VALU_DEP_2) | instskip(NEXT) | instid1(VALU_DEP_2)
	v_cvt_f32_f16_e32 v1, v1
	v_add_f32_e32 v2, 0, v0
	s_wait_dscnt 0x0
	s_delay_alu instid0(VALU_DEP_1) | instskip(SKIP_1) | instid1(VALU_DEP_2)
	v_div_scale_f32 v5, null, v3, v3, v2
	v_div_scale_f32 v9, vcc_lo, v2, v3, v2
	v_rcp_f32_e32 v7, v5
	s_delay_alu instid0(TRANS32_DEP_1) | instskip(NEXT) | instid1(VALU_DEP_1)
	v_fma_f32 v0, -v5, v7, 1.0
	v_dual_add_f32 v4, 0, v1 :: v_dual_fmac_f32 v7, v0, v7
	s_delay_alu instid0(VALU_DEP_1) | instskip(SKIP_1) | instid1(VALU_DEP_2)
	v_div_scale_f32 v6, null, v3, v3, v4
	v_div_scale_f32 v10, s3, v4, v3, v4
	v_rcp_f32_e32 v8, v6
	s_delay_alu instid0(TRANS32_DEP_1) | instskip(NEXT) | instid1(VALU_DEP_1)
	v_fma_f32 v1, -v6, v8, 1.0
	v_fmac_f32_e32 v8, v1, v8
	v_mul_f32_e32 v11, v9, v7
	v_mad_co_u64_u32 v[0:1], null, v187, s25, v[32:33]
	s_delay_alu instid0(VALU_DEP_3) | instskip(NEXT) | instid1(VALU_DEP_3)
	v_mul_f32_e32 v12, v10, v8
	v_fma_f32 v1, -v5, v11, v9
	s_delay_alu instid0(VALU_DEP_3) | instskip(NEXT) | instid1(VALU_DEP_3)
	v_lshl_add_u32 v0, v0, 5, v48
	v_fma_f32 v13, -v6, v12, v10
	s_delay_alu instid0(VALU_DEP_3) | instskip(NEXT) | instid1(VALU_DEP_3)
	v_fmac_f32_e32 v11, v1, v7
	v_ashrrev_i32_e32 v1, 31, v0
	s_delay_alu instid0(VALU_DEP_3) | instskip(NEXT) | instid1(VALU_DEP_3)
	v_fmac_f32_e32 v12, v13, v8
	v_fma_f32 v5, -v5, v11, v9
	s_delay_alu instid0(VALU_DEP_3) | instskip(NEXT) | instid1(VALU_DEP_3)
	v_lshlrev_b64_e32 v[0:1], 3, v[0:1]
	v_fma_f32 v6, -v6, v12, v10
	s_wait_alu 0xfffd
	s_delay_alu instid0(VALU_DEP_3) | instskip(SKIP_3) | instid1(VALU_DEP_2)
	v_div_fmas_f32 v5, v5, v7, v11
	s_mov_b32 vcc_lo, s3
	s_wait_alu 0xfffe
	v_div_fmas_f32 v6, v6, v8, v12
	v_div_fixup_f32 v2, v5, v3, v2
	s_delay_alu instid0(VALU_DEP_2)
	v_div_fixup_f32 v3, v6, v3, v4
	v_add_co_u32 v4, vcc_lo, s72, v0
	s_wait_alu 0xfffd
	v_add_co_ci_u32_e64 v5, null, s73, v1, vcc_lo
	v_mov_b32_e32 v0, 0
	global_store_b64 v[4:5], v[2:3], off
.LBB0_264:                              ;   in Loop: Header=BB0_9 Depth=1
	s_wait_alu 0xfffe
	s_or_b32 exec_lo, exec_lo, s5
	s_mov_b32 s30, -1
	s_mov_b32 s3, exec_lo
	v_cmpx_gt_i32_e32 50, v0
; %bb.265:                              ;   in Loop: Header=BB0_9 Depth=1
	v_cmp_eq_u32_e32 vcc_lo, 0, v0
	s_or_not1_b32 s30, vcc_lo, exec_lo
; %bb.266:                              ;   in Loop: Header=BB0_9 Depth=1
	s_wait_alu 0xfffe
	s_or_b32 exec_lo, exec_lo, s3
	s_mov_b32 s3, s39
                                        ; implicit-def: $vgpr1
	s_and_saveexec_b32 s5, s30
	s_cbranch_execz .LBB0_348
; %bb.267:                              ;   in Loop: Header=BB0_9 Depth=1
	v_mov_b32_e32 v0, 50
	s_and_saveexec_b32 s30, vcc_hi
	s_cbranch_execz .LBB0_269
; %bb.268:                              ;   in Loop: Header=BB0_9 Depth=1
	v_add_nc_u32_e32 v1, 0x480, v131
	s_delay_alu instid0(VALU_DEP_1)
	v_add_nc_u32_e32 v0, v1, v88
	ds_load_b32 v0, v0
	ds_load_b32 v3, v1 offset:132
	s_wait_dscnt 0x1
	v_lshrrev_b32_e32 v1, 16, v0
	v_cvt_f32_f16_e32 v0, v0
	s_delay_alu instid0(VALU_DEP_2) | instskip(NEXT) | instid1(VALU_DEP_2)
	v_cvt_f32_f16_e32 v1, v1
	v_add_f32_e32 v2, 0, v0
	s_wait_dscnt 0x0
	s_delay_alu instid0(VALU_DEP_1) | instskip(SKIP_1) | instid1(VALU_DEP_2)
	v_div_scale_f32 v5, null, v3, v3, v2
	v_div_scale_f32 v9, vcc_lo, v2, v3, v2
	v_rcp_f32_e32 v7, v5
	s_delay_alu instid0(TRANS32_DEP_1) | instskip(NEXT) | instid1(VALU_DEP_1)
	v_fma_f32 v0, -v5, v7, 1.0
	v_dual_add_f32 v4, 0, v1 :: v_dual_fmac_f32 v7, v0, v7
	s_delay_alu instid0(VALU_DEP_1) | instskip(SKIP_1) | instid1(VALU_DEP_2)
	v_div_scale_f32 v6, null, v3, v3, v4
	v_div_scale_f32 v10, s3, v4, v3, v4
	v_rcp_f32_e32 v8, v6
	s_delay_alu instid0(TRANS32_DEP_1) | instskip(NEXT) | instid1(VALU_DEP_1)
	v_fma_f32 v1, -v6, v8, 1.0
	v_fmac_f32_e32 v8, v1, v8
	v_mul_f32_e32 v11, v9, v7
	v_mad_co_u64_u32 v[0:1], null, v186, s25, v[32:33]
	s_delay_alu instid0(VALU_DEP_3) | instskip(NEXT) | instid1(VALU_DEP_3)
	v_mul_f32_e32 v12, v10, v8
	v_fma_f32 v1, -v5, v11, v9
	s_delay_alu instid0(VALU_DEP_3) | instskip(NEXT) | instid1(VALU_DEP_3)
	v_lshl_add_u32 v0, v0, 5, v48
	v_fma_f32 v13, -v6, v12, v10
	s_delay_alu instid0(VALU_DEP_3) | instskip(NEXT) | instid1(VALU_DEP_3)
	v_fmac_f32_e32 v11, v1, v7
	v_ashrrev_i32_e32 v1, 31, v0
	s_delay_alu instid0(VALU_DEP_3) | instskip(NEXT) | instid1(VALU_DEP_3)
	v_fmac_f32_e32 v12, v13, v8
	v_fma_f32 v5, -v5, v11, v9
	s_delay_alu instid0(VALU_DEP_3) | instskip(NEXT) | instid1(VALU_DEP_3)
	v_lshlrev_b64_e32 v[0:1], 3, v[0:1]
	v_fma_f32 v6, -v6, v12, v10
	s_wait_alu 0xfffd
	s_delay_alu instid0(VALU_DEP_3)
	v_div_fmas_f32 v5, v5, v7, v11
	s_wait_alu 0xfffe
	s_mov_b32 vcc_lo, s3
	s_wait_alu 0xfffe
	v_div_fmas_f32 v6, v6, v8, v12
	v_div_fixup_f32 v2, v5, v3, v2
	s_delay_alu instid0(VALU_DEP_2)
	v_div_fixup_f32 v3, v6, v3, v4
	v_add_co_u32 v4, vcc_lo, s72, v0
	s_wait_alu 0xfffd
	v_add_co_ci_u32_e64 v5, null, s73, v1, vcc_lo
	v_mov_b32_e32 v0, 0
	global_store_b64 v[4:5], v[2:3], off
.LBB0_269:                              ;   in Loop: Header=BB0_9 Depth=1
	s_wait_alu 0xfffe
	s_or_b32 exec_lo, exec_lo, s30
	s_mov_b32 s33, -1
	s_mov_b32 s3, exec_lo
	v_cmpx_gt_i32_e32 50, v0
; %bb.270:                              ;   in Loop: Header=BB0_9 Depth=1
	v_cmp_eq_u32_e32 vcc_lo, 0, v0
	s_or_not1_b32 s33, vcc_lo, exec_lo
; %bb.271:                              ;   in Loop: Header=BB0_9 Depth=1
	s_wait_alu 0xfffe
	s_or_b32 exec_lo, exec_lo, s3
	s_mov_b32 s3, s39
                                        ; implicit-def: $vgpr1
	s_and_saveexec_b32 s30, s33
	s_cbranch_execz .LBB0_347
; %bb.272:                              ;   in Loop: Header=BB0_9 Depth=1
	v_mov_b32_e32 v0, 50
	s_and_saveexec_b32 s33, s43
	s_cbranch_execz .LBB0_274
; %bb.273:                              ;   in Loop: Header=BB0_9 Depth=1
	v_add_nc_u32_e32 v1, 0x6c0, v131
	s_delay_alu instid0(VALU_DEP_1)
	v_add_nc_u32_e32 v0, v1, v88
	ds_load_b32 v0, v0
	ds_load_b32 v3, v1 offset:132
	s_wait_dscnt 0x1
	v_lshrrev_b32_e32 v1, 16, v0
	v_cvt_f32_f16_e32 v0, v0
	s_delay_alu instid0(VALU_DEP_2) | instskip(NEXT) | instid1(VALU_DEP_2)
	v_cvt_f32_f16_e32 v1, v1
	v_add_f32_e32 v2, 0, v0
	s_wait_dscnt 0x0
	s_delay_alu instid0(VALU_DEP_1) | instskip(SKIP_1) | instid1(VALU_DEP_2)
	v_div_scale_f32 v5, null, v3, v3, v2
	v_div_scale_f32 v9, vcc_lo, v2, v3, v2
	v_rcp_f32_e32 v7, v5
	s_delay_alu instid0(TRANS32_DEP_1) | instskip(NEXT) | instid1(VALU_DEP_1)
	v_fma_f32 v0, -v5, v7, 1.0
	v_dual_add_f32 v4, 0, v1 :: v_dual_fmac_f32 v7, v0, v7
	s_delay_alu instid0(VALU_DEP_1) | instskip(SKIP_1) | instid1(VALU_DEP_2)
	v_div_scale_f32 v6, null, v3, v3, v4
	v_div_scale_f32 v10, s3, v4, v3, v4
	v_rcp_f32_e32 v8, v6
	s_delay_alu instid0(TRANS32_DEP_1) | instskip(NEXT) | instid1(VALU_DEP_1)
	v_fma_f32 v1, -v6, v8, 1.0
	v_fmac_f32_e32 v8, v1, v8
	v_mul_f32_e32 v11, v9, v7
	v_mad_co_u64_u32 v[0:1], null, v185, s25, v[32:33]
	s_delay_alu instid0(VALU_DEP_3) | instskip(NEXT) | instid1(VALU_DEP_3)
	v_mul_f32_e32 v12, v10, v8
	v_fma_f32 v1, -v5, v11, v9
	s_delay_alu instid0(VALU_DEP_3) | instskip(NEXT) | instid1(VALU_DEP_3)
	v_lshl_add_u32 v0, v0, 5, v48
	v_fma_f32 v13, -v6, v12, v10
	s_delay_alu instid0(VALU_DEP_3) | instskip(NEXT) | instid1(VALU_DEP_3)
	v_fmac_f32_e32 v11, v1, v7
	v_ashrrev_i32_e32 v1, 31, v0
	s_delay_alu instid0(VALU_DEP_3) | instskip(NEXT) | instid1(VALU_DEP_3)
	v_fmac_f32_e32 v12, v13, v8
	v_fma_f32 v5, -v5, v11, v9
	s_delay_alu instid0(VALU_DEP_3) | instskip(NEXT) | instid1(VALU_DEP_3)
	v_lshlrev_b64_e32 v[0:1], 3, v[0:1]
	v_fma_f32 v6, -v6, v12, v10
	s_wait_alu 0xfffd
	s_delay_alu instid0(VALU_DEP_3)
	v_div_fmas_f32 v5, v5, v7, v11
	s_wait_alu 0xfffe
	s_mov_b32 vcc_lo, s3
	s_wait_alu 0xfffe
	v_div_fmas_f32 v6, v6, v8, v12
	v_div_fixup_f32 v2, v5, v3, v2
	s_delay_alu instid0(VALU_DEP_2)
	v_div_fixup_f32 v3, v6, v3, v4
	v_add_co_u32 v4, vcc_lo, s72, v0
	s_wait_alu 0xfffd
	v_add_co_ci_u32_e64 v5, null, s73, v1, vcc_lo
	v_mov_b32_e32 v0, 0
	global_store_b64 v[4:5], v[2:3], off
.LBB0_274:                              ;   in Loop: Header=BB0_9 Depth=1
	s_or_b32 exec_lo, exec_lo, s33
	s_mov_b32 s43, -1
	s_mov_b32 s3, exec_lo
	v_cmpx_gt_i32_e32 50, v0
; %bb.275:                              ;   in Loop: Header=BB0_9 Depth=1
	v_cmp_eq_u32_e32 vcc_lo, 0, v0
	s_or_not1_b32 s43, vcc_lo, exec_lo
; %bb.276:                              ;   in Loop: Header=BB0_9 Depth=1
	s_wait_alu 0xfffe
	s_or_b32 exec_lo, exec_lo, s3
	s_mov_b32 s3, s39
                                        ; implicit-def: $vgpr1
	s_and_saveexec_b32 s33, s43
	s_cbranch_execz .LBB0_346
; %bb.277:                              ;   in Loop: Header=BB0_9 Depth=1
	v_mov_b32_e32 v0, 50
	s_and_saveexec_b32 s43, s42
	s_cbranch_execz .LBB0_279
; %bb.278:                              ;   in Loop: Header=BB0_9 Depth=1
	scratch_load_b32 v1, off, off offset:80 ; 4-byte Folded Reload
	s_wait_loadcnt 0x0
	v_add_nc_u32_e32 v0, v1, v88
	ds_load_b32 v0, v0
	ds_load_b32 v3, v1 offset:132
	s_wait_dscnt 0x1
	v_lshrrev_b32_e32 v1, 16, v0
	v_cvt_f32_f16_e32 v0, v0
	s_delay_alu instid0(VALU_DEP_2) | instskip(NEXT) | instid1(VALU_DEP_2)
	v_cvt_f32_f16_e32 v1, v1
	v_add_f32_e32 v2, 0, v0
	s_wait_dscnt 0x0
	s_delay_alu instid0(VALU_DEP_1) | instskip(NEXT) | instid1(VALU_DEP_1)
	v_div_scale_f32 v5, null, v3, v3, v2
	v_rcp_f32_e32 v7, v5
	s_delay_alu instid0(TRANS32_DEP_1) | instskip(NEXT) | instid1(VALU_DEP_1)
	v_fma_f32 v0, -v5, v7, 1.0
	v_fmac_f32_e32 v7, v0, v7
	v_div_scale_f32 v9, vcc_lo, v2, v3, v2
	s_delay_alu instid0(VALU_DEP_1) | instskip(NEXT) | instid1(VALU_DEP_1)
	v_dual_add_f32 v4, 0, v1 :: v_dual_mul_f32 v11, v9, v7
	v_div_scale_f32 v6, null, v3, v3, v4
	v_div_scale_f32 v10, s3, v4, v3, v4
	s_delay_alu instid0(VALU_DEP_2) | instskip(NEXT) | instid1(TRANS32_DEP_1)
	v_rcp_f32_e32 v8, v6
	v_fma_f32 v1, -v6, v8, 1.0
	s_delay_alu instid0(VALU_DEP_1) | instskip(SKIP_2) | instid1(VALU_DEP_1)
	v_fmac_f32_e32 v8, v1, v8
	v_mad_co_u64_u32 v[0:1], null, v184, s25, v[32:33]
	v_fma_f32 v1, -v5, v11, v9
	v_dual_mul_f32 v12, v10, v8 :: v_dual_fmac_f32 v11, v1, v7
	s_delay_alu instid0(VALU_DEP_3) | instskip(NEXT) | instid1(VALU_DEP_2)
	v_lshl_add_u32 v0, v0, 5, v48
	v_fma_f32 v13, -v6, v12, v10
	s_delay_alu instid0(VALU_DEP_3) | instskip(NEXT) | instid1(VALU_DEP_3)
	v_fma_f32 v5, -v5, v11, v9
	v_ashrrev_i32_e32 v1, 31, v0
	s_delay_alu instid0(VALU_DEP_3) | instskip(SKIP_1) | instid1(VALU_DEP_3)
	v_fmac_f32_e32 v12, v13, v8
	s_wait_alu 0xfffd
	v_div_fmas_f32 v5, v5, v7, v11
	s_wait_alu 0xfffe
	s_mov_b32 vcc_lo, s3
	v_fma_f32 v6, -v6, v12, v10
	v_lshlrev_b64_e32 v[0:1], 3, v[0:1]
	v_div_fixup_f32 v2, v5, v3, v2
	s_wait_alu 0xfffe
	s_delay_alu instid0(VALU_DEP_3) | instskip(NEXT) | instid1(VALU_DEP_1)
	v_div_fmas_f32 v6, v6, v8, v12
	v_div_fixup_f32 v3, v6, v3, v4
	s_delay_alu instid0(VALU_DEP_4)
	v_add_co_u32 v4, vcc_lo, s72, v0
	s_wait_alu 0xfffd
	v_add_co_ci_u32_e64 v5, null, s73, v1, vcc_lo
	v_mov_b32_e32 v0, 0
	global_store_b64 v[4:5], v[2:3], off
.LBB0_279:                              ;   in Loop: Header=BB0_9 Depth=1
	s_or_b32 exec_lo, exec_lo, s43
	s_mov_b32 s43, -1
	s_mov_b32 s3, exec_lo
	v_cmpx_gt_i32_e32 50, v0
; %bb.280:                              ;   in Loop: Header=BB0_9 Depth=1
	v_cmp_eq_u32_e32 vcc_lo, 0, v0
	s_or_not1_b32 s43, vcc_lo, exec_lo
; %bb.281:                              ;   in Loop: Header=BB0_9 Depth=1
	s_wait_alu 0xfffe
	s_or_b32 exec_lo, exec_lo, s3
	s_mov_b32 s3, s39
                                        ; implicit-def: $vgpr1
	s_and_saveexec_b32 s42, s43
	s_cbranch_execz .LBB0_345
; %bb.282:                              ;   in Loop: Header=BB0_9 Depth=1
	v_mov_b32_e32 v0, 50
	s_and_saveexec_b32 s43, s41
	s_cbranch_execz .LBB0_284
; %bb.283:                              ;   in Loop: Header=BB0_9 Depth=1
	v_add_nc_u32_e32 v1, 0xb40, v131
	s_delay_alu instid0(VALU_DEP_1)
	v_add_nc_u32_e32 v0, v1, v88
	ds_load_b32 v0, v0
	ds_load_b32 v3, v1 offset:132
	s_wait_dscnt 0x1
	v_lshrrev_b32_e32 v1, 16, v0
	v_cvt_f32_f16_e32 v0, v0
	s_delay_alu instid0(VALU_DEP_2) | instskip(NEXT) | instid1(VALU_DEP_2)
	v_cvt_f32_f16_e32 v1, v1
	v_add_f32_e32 v2, 0, v0
	s_wait_dscnt 0x0
	s_delay_alu instid0(VALU_DEP_1) | instskip(SKIP_1) | instid1(VALU_DEP_2)
	v_div_scale_f32 v5, null, v3, v3, v2
	v_div_scale_f32 v9, vcc_lo, v2, v3, v2
	v_rcp_f32_e32 v7, v5
	s_delay_alu instid0(TRANS32_DEP_1) | instskip(NEXT) | instid1(VALU_DEP_1)
	v_fma_f32 v0, -v5, v7, 1.0
	v_dual_add_f32 v4, 0, v1 :: v_dual_fmac_f32 v7, v0, v7
	s_delay_alu instid0(VALU_DEP_1) | instskip(SKIP_1) | instid1(VALU_DEP_2)
	v_div_scale_f32 v6, null, v3, v3, v4
	v_div_scale_f32 v10, s3, v4, v3, v4
	v_rcp_f32_e32 v8, v6
	s_delay_alu instid0(TRANS32_DEP_1) | instskip(NEXT) | instid1(VALU_DEP_1)
	v_fma_f32 v1, -v6, v8, 1.0
	v_fmac_f32_e32 v8, v1, v8
	v_mul_f32_e32 v11, v9, v7
	v_mad_co_u64_u32 v[0:1], null, v183, s25, v[32:33]
	s_delay_alu instid0(VALU_DEP_3) | instskip(NEXT) | instid1(VALU_DEP_3)
	v_mul_f32_e32 v12, v10, v8
	v_fma_f32 v1, -v5, v11, v9
	s_delay_alu instid0(VALU_DEP_3) | instskip(NEXT) | instid1(VALU_DEP_3)
	v_lshl_add_u32 v0, v0, 5, v48
	v_fma_f32 v13, -v6, v12, v10
	s_delay_alu instid0(VALU_DEP_3) | instskip(NEXT) | instid1(VALU_DEP_3)
	v_fmac_f32_e32 v11, v1, v7
	v_ashrrev_i32_e32 v1, 31, v0
	s_delay_alu instid0(VALU_DEP_3) | instskip(NEXT) | instid1(VALU_DEP_3)
	v_fmac_f32_e32 v12, v13, v8
	v_fma_f32 v5, -v5, v11, v9
	s_delay_alu instid0(VALU_DEP_3) | instskip(NEXT) | instid1(VALU_DEP_3)
	v_lshlrev_b64_e32 v[0:1], 3, v[0:1]
	v_fma_f32 v6, -v6, v12, v10
	s_wait_alu 0xfffd
	s_delay_alu instid0(VALU_DEP_3)
	v_div_fmas_f32 v5, v5, v7, v11
	s_wait_alu 0xfffe
	s_mov_b32 vcc_lo, s3
	s_wait_alu 0xfffe
	v_div_fmas_f32 v6, v6, v8, v12
	v_div_fixup_f32 v2, v5, v3, v2
	s_delay_alu instid0(VALU_DEP_2)
	v_div_fixup_f32 v3, v6, v3, v4
	v_add_co_u32 v4, vcc_lo, s72, v0
	s_wait_alu 0xfffd
	v_add_co_ci_u32_e64 v5, null, s73, v1, vcc_lo
	v_mov_b32_e32 v0, 0
	global_store_b64 v[4:5], v[2:3], off
.LBB0_284:                              ;   in Loop: Header=BB0_9 Depth=1
	s_or_b32 exec_lo, exec_lo, s43
	s_mov_b32 s43, -1
	s_mov_b32 s3, exec_lo
	v_cmpx_gt_i32_e32 50, v0
; %bb.285:                              ;   in Loop: Header=BB0_9 Depth=1
	v_cmp_eq_u32_e32 vcc_lo, 0, v0
	s_or_not1_b32 s43, vcc_lo, exec_lo
; %bb.286:                              ;   in Loop: Header=BB0_9 Depth=1
	s_wait_alu 0xfffe
	s_or_b32 exec_lo, exec_lo, s3
	s_mov_b32 s3, s39
                                        ; implicit-def: $vgpr1
	s_and_saveexec_b32 s41, s43
	s_cbranch_execz .LBB0_344
; %bb.287:                              ;   in Loop: Header=BB0_9 Depth=1
	v_mov_b32_e32 v0, 50
	s_and_saveexec_b32 s43, s40
	s_cbranch_execz .LBB0_289
; %bb.288:                              ;   in Loop: Header=BB0_9 Depth=1
	v_add_nc_u32_e32 v1, 0xd80, v131
	s_delay_alu instid0(VALU_DEP_1)
	v_add_nc_u32_e32 v0, v1, v88
	ds_load_b32 v0, v0
	ds_load_b32 v3, v1 offset:132
	s_wait_dscnt 0x1
	v_lshrrev_b32_e32 v1, 16, v0
	v_cvt_f32_f16_e32 v0, v0
	s_delay_alu instid0(VALU_DEP_2) | instskip(NEXT) | instid1(VALU_DEP_2)
	v_cvt_f32_f16_e32 v1, v1
	v_add_f32_e32 v2, 0, v0
	s_wait_dscnt 0x0
	s_delay_alu instid0(VALU_DEP_1) | instskip(SKIP_1) | instid1(VALU_DEP_2)
	v_div_scale_f32 v5, null, v3, v3, v2
	v_div_scale_f32 v9, vcc_lo, v2, v3, v2
	v_rcp_f32_e32 v7, v5
	s_delay_alu instid0(TRANS32_DEP_1) | instskip(NEXT) | instid1(VALU_DEP_1)
	v_fma_f32 v0, -v5, v7, 1.0
	v_dual_add_f32 v4, 0, v1 :: v_dual_fmac_f32 v7, v0, v7
	s_delay_alu instid0(VALU_DEP_1) | instskip(SKIP_1) | instid1(VALU_DEP_2)
	v_div_scale_f32 v6, null, v3, v3, v4
	v_div_scale_f32 v10, s3, v4, v3, v4
	v_rcp_f32_e32 v8, v6
	s_delay_alu instid0(TRANS32_DEP_1) | instskip(NEXT) | instid1(VALU_DEP_1)
	v_fma_f32 v1, -v6, v8, 1.0
	v_fmac_f32_e32 v8, v1, v8
	v_mul_f32_e32 v11, v9, v7
	v_mad_co_u64_u32 v[0:1], null, v182, s25, v[32:33]
	s_delay_alu instid0(VALU_DEP_3) | instskip(NEXT) | instid1(VALU_DEP_3)
	v_mul_f32_e32 v12, v10, v8
	v_fma_f32 v1, -v5, v11, v9
	s_delay_alu instid0(VALU_DEP_3) | instskip(NEXT) | instid1(VALU_DEP_3)
	v_lshl_add_u32 v0, v0, 5, v48
	v_fma_f32 v13, -v6, v12, v10
	s_delay_alu instid0(VALU_DEP_3) | instskip(NEXT) | instid1(VALU_DEP_3)
	v_fmac_f32_e32 v11, v1, v7
	v_ashrrev_i32_e32 v1, 31, v0
	s_delay_alu instid0(VALU_DEP_3) | instskip(NEXT) | instid1(VALU_DEP_3)
	v_fmac_f32_e32 v12, v13, v8
	v_fma_f32 v5, -v5, v11, v9
	s_delay_alu instid0(VALU_DEP_3) | instskip(NEXT) | instid1(VALU_DEP_3)
	v_lshlrev_b64_e32 v[0:1], 3, v[0:1]
	v_fma_f32 v6, -v6, v12, v10
	s_wait_alu 0xfffd
	s_delay_alu instid0(VALU_DEP_3)
	v_div_fmas_f32 v5, v5, v7, v11
	s_wait_alu 0xfffe
	s_mov_b32 vcc_lo, s3
	s_wait_alu 0xfffe
	v_div_fmas_f32 v6, v6, v8, v12
	v_div_fixup_f32 v2, v5, v3, v2
	s_delay_alu instid0(VALU_DEP_2)
	v_div_fixup_f32 v3, v6, v3, v4
	v_add_co_u32 v4, vcc_lo, s72, v0
	s_wait_alu 0xfffd
	v_add_co_ci_u32_e64 v5, null, s73, v1, vcc_lo
	v_mov_b32_e32 v0, 0
	global_store_b64 v[4:5], v[2:3], off
.LBB0_289:                              ;   in Loop: Header=BB0_9 Depth=1
	s_or_b32 exec_lo, exec_lo, s43
	s_mov_b32 s43, -1
	s_mov_b32 s3, exec_lo
	v_cmpx_gt_i32_e32 50, v0
; %bb.290:                              ;   in Loop: Header=BB0_9 Depth=1
	v_cmp_eq_u32_e32 vcc_lo, 0, v0
	s_or_not1_b32 s43, vcc_lo, exec_lo
; %bb.291:                              ;   in Loop: Header=BB0_9 Depth=1
	s_wait_alu 0xfffe
	s_or_b32 exec_lo, exec_lo, s3
	s_mov_b32 s3, s39
                                        ; implicit-def: $vgpr1
	s_and_saveexec_b32 s40, s43
	s_cbranch_execz .LBB0_343
; %bb.292:                              ;   in Loop: Header=BB0_9 Depth=1
	v_mov_b32_e32 v0, 50
	s_and_saveexec_b32 s43, s51
	s_cbranch_execz .LBB0_294
; %bb.293:                              ;   in Loop: Header=BB0_9 Depth=1
	v_add_nc_u32_e32 v1, 0xfc0, v131
	s_delay_alu instid0(VALU_DEP_1)
	v_add_nc_u32_e32 v0, v1, v88
	ds_load_b32 v0, v0
	ds_load_b32 v3, v1 offset:132
	s_wait_dscnt 0x1
	v_lshrrev_b32_e32 v1, 16, v0
	v_cvt_f32_f16_e32 v0, v0
	s_delay_alu instid0(VALU_DEP_2) | instskip(NEXT) | instid1(VALU_DEP_2)
	v_cvt_f32_f16_e32 v1, v1
	v_add_f32_e32 v2, 0, v0
	s_wait_dscnt 0x0
	s_delay_alu instid0(VALU_DEP_1) | instskip(SKIP_1) | instid1(VALU_DEP_2)
	v_div_scale_f32 v5, null, v3, v3, v2
	v_div_scale_f32 v9, vcc_lo, v2, v3, v2
	v_rcp_f32_e32 v7, v5
	s_delay_alu instid0(TRANS32_DEP_1) | instskip(NEXT) | instid1(VALU_DEP_1)
	v_fma_f32 v0, -v5, v7, 1.0
	v_dual_add_f32 v4, 0, v1 :: v_dual_fmac_f32 v7, v0, v7
	s_delay_alu instid0(VALU_DEP_1) | instskip(SKIP_1) | instid1(VALU_DEP_2)
	v_div_scale_f32 v6, null, v3, v3, v4
	v_div_scale_f32 v10, s3, v4, v3, v4
	v_rcp_f32_e32 v8, v6
	s_delay_alu instid0(TRANS32_DEP_1) | instskip(NEXT) | instid1(VALU_DEP_1)
	v_fma_f32 v1, -v6, v8, 1.0
	v_fmac_f32_e32 v8, v1, v8
	v_mul_f32_e32 v11, v9, v7
	v_mad_co_u64_u32 v[0:1], null, v181, s25, v[32:33]
	s_delay_alu instid0(VALU_DEP_3) | instskip(NEXT) | instid1(VALU_DEP_3)
	v_mul_f32_e32 v12, v10, v8
	v_fma_f32 v1, -v5, v11, v9
	s_delay_alu instid0(VALU_DEP_3) | instskip(NEXT) | instid1(VALU_DEP_3)
	v_lshl_add_u32 v0, v0, 5, v48
	v_fma_f32 v13, -v6, v12, v10
	s_delay_alu instid0(VALU_DEP_3) | instskip(NEXT) | instid1(VALU_DEP_3)
	v_fmac_f32_e32 v11, v1, v7
	v_ashrrev_i32_e32 v1, 31, v0
	s_delay_alu instid0(VALU_DEP_3) | instskip(NEXT) | instid1(VALU_DEP_3)
	v_fmac_f32_e32 v12, v13, v8
	v_fma_f32 v5, -v5, v11, v9
	s_delay_alu instid0(VALU_DEP_3) | instskip(NEXT) | instid1(VALU_DEP_3)
	v_lshlrev_b64_e32 v[0:1], 3, v[0:1]
	v_fma_f32 v6, -v6, v12, v10
	s_wait_alu 0xfffd
	s_delay_alu instid0(VALU_DEP_3)
	v_div_fmas_f32 v5, v5, v7, v11
	s_wait_alu 0xfffe
	s_mov_b32 vcc_lo, s3
	s_wait_alu 0xfffe
	v_div_fmas_f32 v6, v6, v8, v12
	v_div_fixup_f32 v2, v5, v3, v2
	s_delay_alu instid0(VALU_DEP_2)
	v_div_fixup_f32 v3, v6, v3, v4
	v_add_co_u32 v4, vcc_lo, s72, v0
	s_wait_alu 0xfffd
	v_add_co_ci_u32_e64 v5, null, s73, v1, vcc_lo
	v_mov_b32_e32 v0, 0
	global_store_b64 v[4:5], v[2:3], off
.LBB0_294:                              ;   in Loop: Header=BB0_9 Depth=1
	s_or_b32 exec_lo, exec_lo, s43
	s_mov_b32 s50, -1
	s_mov_b32 s3, exec_lo
	v_cmpx_gt_i32_e32 50, v0
; %bb.295:                              ;   in Loop: Header=BB0_9 Depth=1
	v_cmp_eq_u32_e32 vcc_lo, 0, v0
	s_or_not1_b32 s50, vcc_lo, exec_lo
; %bb.296:                              ;   in Loop: Header=BB0_9 Depth=1
	s_wait_alu 0xfffe
	s_or_b32 exec_lo, exec_lo, s3
	s_mov_b32 s3, s39
                                        ; implicit-def: $vgpr1
	s_and_saveexec_b32 s43, s50
	s_cbranch_execz .LBB0_342
; %bb.297:                              ;   in Loop: Header=BB0_9 Depth=1
	v_mov_b32_e32 v0, 50
	s_and_saveexec_b32 s50, s0
	s_cbranch_execz .LBB0_299
; %bb.298:                              ;   in Loop: Header=BB0_9 Depth=1
	scratch_load_b32 v1, off, off offset:88 ; 4-byte Folded Reload
	s_wait_loadcnt 0x0
	v_add_nc_u32_e32 v0, v1, v88
	ds_load_b32 v0, v0
	ds_load_b32 v3, v1 offset:132
	s_wait_dscnt 0x1
	v_lshrrev_b32_e32 v1, 16, v0
	v_cvt_f32_f16_e32 v0, v0
	s_delay_alu instid0(VALU_DEP_2) | instskip(NEXT) | instid1(VALU_DEP_2)
	v_cvt_f32_f16_e32 v1, v1
	v_add_f32_e32 v2, 0, v0
	s_wait_dscnt 0x0
	s_delay_alu instid0(VALU_DEP_1) | instskip(NEXT) | instid1(VALU_DEP_1)
	v_div_scale_f32 v5, null, v3, v3, v2
	v_rcp_f32_e32 v7, v5
	s_delay_alu instid0(TRANS32_DEP_1) | instskip(NEXT) | instid1(VALU_DEP_1)
	v_fma_f32 v0, -v5, v7, 1.0
	v_fmac_f32_e32 v7, v0, v7
	v_div_scale_f32 v9, vcc_lo, v2, v3, v2
	s_delay_alu instid0(VALU_DEP_1) | instskip(NEXT) | instid1(VALU_DEP_1)
	v_dual_add_f32 v4, 0, v1 :: v_dual_mul_f32 v11, v9, v7
	v_div_scale_f32 v6, null, v3, v3, v4
	v_div_scale_f32 v10, s3, v4, v3, v4
	s_delay_alu instid0(VALU_DEP_2) | instskip(NEXT) | instid1(TRANS32_DEP_1)
	v_rcp_f32_e32 v8, v6
	v_fma_f32 v1, -v6, v8, 1.0
	s_delay_alu instid0(VALU_DEP_1) | instskip(SKIP_2) | instid1(VALU_DEP_1)
	v_fmac_f32_e32 v8, v1, v8
	v_mad_co_u64_u32 v[0:1], null, v180, s25, v[32:33]
	v_fma_f32 v1, -v5, v11, v9
	v_dual_mul_f32 v12, v10, v8 :: v_dual_fmac_f32 v11, v1, v7
	s_delay_alu instid0(VALU_DEP_3) | instskip(NEXT) | instid1(VALU_DEP_2)
	v_lshl_add_u32 v0, v0, 5, v48
	v_fma_f32 v13, -v6, v12, v10
	s_delay_alu instid0(VALU_DEP_3) | instskip(NEXT) | instid1(VALU_DEP_3)
	v_fma_f32 v5, -v5, v11, v9
	v_ashrrev_i32_e32 v1, 31, v0
	s_delay_alu instid0(VALU_DEP_3) | instskip(SKIP_1) | instid1(VALU_DEP_3)
	v_fmac_f32_e32 v12, v13, v8
	s_wait_alu 0xfffd
	v_div_fmas_f32 v5, v5, v7, v11
	s_wait_alu 0xfffe
	s_mov_b32 vcc_lo, s3
	v_fma_f32 v6, -v6, v12, v10
	v_lshlrev_b64_e32 v[0:1], 3, v[0:1]
	v_div_fixup_f32 v2, v5, v3, v2
	s_wait_alu 0xfffe
	s_delay_alu instid0(VALU_DEP_3) | instskip(NEXT) | instid1(VALU_DEP_1)
	v_div_fmas_f32 v6, v6, v8, v12
	v_div_fixup_f32 v3, v6, v3, v4
	s_delay_alu instid0(VALU_DEP_4)
	v_add_co_u32 v4, vcc_lo, s72, v0
	s_wait_alu 0xfffd
	v_add_co_ci_u32_e64 v5, null, s73, v1, vcc_lo
	v_mov_b32_e32 v0, 0
	global_store_b64 v[4:5], v[2:3], off
.LBB0_299:                              ;   in Loop: Header=BB0_9 Depth=1
	s_or_b32 exec_lo, exec_lo, s50
	s_mov_b32 s50, -1
	s_mov_b32 s0, exec_lo
	v_cmpx_gt_i32_e32 50, v0
; %bb.300:                              ;   in Loop: Header=BB0_9 Depth=1
	v_cmp_eq_u32_e32 vcc_lo, 0, v0
	s_or_not1_b32 s50, vcc_lo, exec_lo
; %bb.301:                              ;   in Loop: Header=BB0_9 Depth=1
	s_wait_alu 0xfffe
	s_or_b32 exec_lo, exec_lo, s0
	s_mov_b32 s3, s39
                                        ; implicit-def: $vgpr1
	s_and_saveexec_b32 s0, s50
	s_cbranch_execz .LBB0_341
; %bb.302:                              ;   in Loop: Header=BB0_9 Depth=1
	v_mov_b32_e32 v0, 50
	s_and_saveexec_b32 s50, s1
	s_cbranch_execz .LBB0_304
; %bb.303:                              ;   in Loop: Header=BB0_9 Depth=1
	v_add_nc_u32_e32 v1, 0x1440, v131
	s_delay_alu instid0(VALU_DEP_1)
	v_add_nc_u32_e32 v0, v1, v88
	ds_load_b32 v0, v0
	ds_load_b32 v3, v1 offset:132
	s_wait_dscnt 0x1
	v_lshrrev_b32_e32 v1, 16, v0
	v_cvt_f32_f16_e32 v0, v0
	s_delay_alu instid0(VALU_DEP_2) | instskip(NEXT) | instid1(VALU_DEP_2)
	v_cvt_f32_f16_e32 v1, v1
	v_add_f32_e32 v2, 0, v0
	s_wait_dscnt 0x0
	s_delay_alu instid0(VALU_DEP_1) | instskip(SKIP_1) | instid1(VALU_DEP_2)
	v_div_scale_f32 v5, null, v3, v3, v2
	v_div_scale_f32 v9, vcc_lo, v2, v3, v2
	v_rcp_f32_e32 v7, v5
	s_delay_alu instid0(TRANS32_DEP_1) | instskip(NEXT) | instid1(VALU_DEP_1)
	v_fma_f32 v0, -v5, v7, 1.0
	v_dual_add_f32 v4, 0, v1 :: v_dual_fmac_f32 v7, v0, v7
	s_delay_alu instid0(VALU_DEP_1) | instskip(SKIP_1) | instid1(VALU_DEP_2)
	v_div_scale_f32 v6, null, v3, v3, v4
	v_div_scale_f32 v10, s3, v4, v3, v4
	v_rcp_f32_e32 v8, v6
	s_delay_alu instid0(TRANS32_DEP_1) | instskip(NEXT) | instid1(VALU_DEP_1)
	v_fma_f32 v1, -v6, v8, 1.0
	v_fmac_f32_e32 v8, v1, v8
	v_mul_f32_e32 v11, v9, v7
	v_mad_co_u64_u32 v[0:1], null, v179, s25, v[32:33]
	s_delay_alu instid0(VALU_DEP_3) | instskip(NEXT) | instid1(VALU_DEP_3)
	v_mul_f32_e32 v12, v10, v8
	v_fma_f32 v1, -v5, v11, v9
	s_delay_alu instid0(VALU_DEP_3) | instskip(NEXT) | instid1(VALU_DEP_3)
	v_lshl_add_u32 v0, v0, 5, v48
	v_fma_f32 v13, -v6, v12, v10
	s_delay_alu instid0(VALU_DEP_3) | instskip(NEXT) | instid1(VALU_DEP_3)
	v_fmac_f32_e32 v11, v1, v7
	v_ashrrev_i32_e32 v1, 31, v0
	s_delay_alu instid0(VALU_DEP_3) | instskip(NEXT) | instid1(VALU_DEP_3)
	v_fmac_f32_e32 v12, v13, v8
	v_fma_f32 v5, -v5, v11, v9
	s_delay_alu instid0(VALU_DEP_3) | instskip(NEXT) | instid1(VALU_DEP_3)
	v_lshlrev_b64_e32 v[0:1], 3, v[0:1]
	v_fma_f32 v6, -v6, v12, v10
	s_wait_alu 0xfffd
	s_delay_alu instid0(VALU_DEP_3)
	v_div_fmas_f32 v5, v5, v7, v11
	s_wait_alu 0xfffe
	s_mov_b32 vcc_lo, s3
	s_wait_alu 0xfffe
	v_div_fmas_f32 v6, v6, v8, v12
	v_div_fixup_f32 v2, v5, v3, v2
	s_delay_alu instid0(VALU_DEP_2)
	v_div_fixup_f32 v3, v6, v3, v4
	v_add_co_u32 v4, vcc_lo, s72, v0
	s_wait_alu 0xfffd
	v_add_co_ci_u32_e64 v5, null, s73, v1, vcc_lo
	v_mov_b32_e32 v0, 0
	global_store_b64 v[4:5], v[2:3], off
.LBB0_304:                              ;   in Loop: Header=BB0_9 Depth=1
	s_or_b32 exec_lo, exec_lo, s50
	s_mov_b32 s50, -1
	s_mov_b32 s1, exec_lo
	v_cmpx_gt_i32_e32 50, v0
; %bb.305:                              ;   in Loop: Header=BB0_9 Depth=1
	v_cmp_eq_u32_e32 vcc_lo, 0, v0
	s_or_not1_b32 s50, vcc_lo, exec_lo
; %bb.306:                              ;   in Loop: Header=BB0_9 Depth=1
	s_wait_alu 0xfffe
	s_or_b32 exec_lo, exec_lo, s1
	s_mov_b32 s3, s39
                                        ; implicit-def: $vgpr1
	s_and_saveexec_b32 s1, s50
	s_cbranch_execz .LBB0_340
; %bb.307:                              ;   in Loop: Header=BB0_9 Depth=1
	v_mov_b32_e32 v0, 50
	s_and_saveexec_b32 s50, s44
	s_cbranch_execz .LBB0_309
; %bb.308:                              ;   in Loop: Header=BB0_9 Depth=1
	v_add_nc_u32_e32 v1, 0x1680, v131
	s_delay_alu instid0(VALU_DEP_1)
	v_add_nc_u32_e32 v0, v1, v88
	ds_load_b32 v0, v0
	ds_load_b32 v3, v1 offset:132
	s_wait_dscnt 0x1
	v_lshrrev_b32_e32 v1, 16, v0
	v_cvt_f32_f16_e32 v0, v0
	s_delay_alu instid0(VALU_DEP_2) | instskip(NEXT) | instid1(VALU_DEP_2)
	v_cvt_f32_f16_e32 v1, v1
	v_add_f32_e32 v2, 0, v0
	s_wait_dscnt 0x0
	s_delay_alu instid0(VALU_DEP_1) | instskip(SKIP_1) | instid1(VALU_DEP_2)
	v_div_scale_f32 v5, null, v3, v3, v2
	v_div_scale_f32 v9, vcc_lo, v2, v3, v2
	v_rcp_f32_e32 v7, v5
	s_delay_alu instid0(TRANS32_DEP_1) | instskip(NEXT) | instid1(VALU_DEP_1)
	v_fma_f32 v0, -v5, v7, 1.0
	v_dual_add_f32 v4, 0, v1 :: v_dual_fmac_f32 v7, v0, v7
	s_delay_alu instid0(VALU_DEP_1) | instskip(SKIP_1) | instid1(VALU_DEP_2)
	v_div_scale_f32 v6, null, v3, v3, v4
	v_div_scale_f32 v10, s3, v4, v3, v4
	v_rcp_f32_e32 v8, v6
	s_delay_alu instid0(TRANS32_DEP_1) | instskip(NEXT) | instid1(VALU_DEP_1)
	v_fma_f32 v1, -v6, v8, 1.0
	v_fmac_f32_e32 v8, v1, v8
	v_mul_f32_e32 v11, v9, v7
	v_mad_co_u64_u32 v[0:1], null, v178, s25, v[32:33]
	s_delay_alu instid0(VALU_DEP_3) | instskip(NEXT) | instid1(VALU_DEP_3)
	v_mul_f32_e32 v12, v10, v8
	v_fma_f32 v1, -v5, v11, v9
	s_delay_alu instid0(VALU_DEP_3) | instskip(NEXT) | instid1(VALU_DEP_3)
	v_lshl_add_u32 v0, v0, 5, v48
	v_fma_f32 v13, -v6, v12, v10
	s_delay_alu instid0(VALU_DEP_3) | instskip(NEXT) | instid1(VALU_DEP_3)
	v_fmac_f32_e32 v11, v1, v7
	v_ashrrev_i32_e32 v1, 31, v0
	s_delay_alu instid0(VALU_DEP_3) | instskip(NEXT) | instid1(VALU_DEP_3)
	v_fmac_f32_e32 v12, v13, v8
	v_fma_f32 v5, -v5, v11, v9
	s_delay_alu instid0(VALU_DEP_3) | instskip(NEXT) | instid1(VALU_DEP_3)
	v_lshlrev_b64_e32 v[0:1], 3, v[0:1]
	v_fma_f32 v6, -v6, v12, v10
	s_wait_alu 0xfffd
	s_delay_alu instid0(VALU_DEP_3)
	v_div_fmas_f32 v5, v5, v7, v11
	s_wait_alu 0xfffe
	s_mov_b32 vcc_lo, s3
	s_wait_alu 0xfffe
	v_div_fmas_f32 v6, v6, v8, v12
	v_div_fixup_f32 v2, v5, v3, v2
	s_delay_alu instid0(VALU_DEP_2)
	v_div_fixup_f32 v3, v6, v3, v4
	v_add_co_u32 v4, vcc_lo, s72, v0
	s_wait_alu 0xfffd
	v_add_co_ci_u32_e64 v5, null, s73, v1, vcc_lo
	v_mov_b32_e32 v0, 0
	global_store_b64 v[4:5], v[2:3], off
.LBB0_309:                              ;   in Loop: Header=BB0_9 Depth=1
	s_or_b32 exec_lo, exec_lo, s50
	s_mov_b32 s50, -1
	s_mov_b32 s3, exec_lo
	v_cmpx_gt_i32_e32 50, v0
; %bb.310:                              ;   in Loop: Header=BB0_9 Depth=1
	v_cmp_eq_u32_e32 vcc_lo, 0, v0
	s_or_not1_b32 s50, vcc_lo, exec_lo
; %bb.311:                              ;   in Loop: Header=BB0_9 Depth=1
	s_wait_alu 0xfffe
	s_or_b32 exec_lo, exec_lo, s3
	s_mov_b32 s3, s39
                                        ; implicit-def: $vgpr1
	s_and_saveexec_b32 s44, s50
	s_cbranch_execz .LBB0_339
; %bb.312:                              ;   in Loop: Header=BB0_9 Depth=1
	v_mov_b32_e32 v0, 50
	s_and_saveexec_b32 s50, s6
	s_cbranch_execz .LBB0_314
; %bb.313:                              ;   in Loop: Header=BB0_9 Depth=1
	v_add_nc_u32_e32 v1, 0x18c0, v131
	s_delay_alu instid0(VALU_DEP_1)
	v_add_nc_u32_e32 v0, v1, v88
	ds_load_b32 v0, v0
	ds_load_b32 v3, v1 offset:132
	s_wait_dscnt 0x1
	v_lshrrev_b32_e32 v1, 16, v0
	v_cvt_f32_f16_e32 v0, v0
	s_delay_alu instid0(VALU_DEP_2) | instskip(NEXT) | instid1(VALU_DEP_2)
	v_cvt_f32_f16_e32 v1, v1
	v_add_f32_e32 v2, 0, v0
	s_wait_dscnt 0x0
	s_delay_alu instid0(VALU_DEP_1) | instskip(SKIP_1) | instid1(VALU_DEP_2)
	v_div_scale_f32 v5, null, v3, v3, v2
	v_div_scale_f32 v9, vcc_lo, v2, v3, v2
	v_rcp_f32_e32 v7, v5
	s_delay_alu instid0(TRANS32_DEP_1) | instskip(NEXT) | instid1(VALU_DEP_1)
	v_fma_f32 v0, -v5, v7, 1.0
	v_dual_add_f32 v4, 0, v1 :: v_dual_fmac_f32 v7, v0, v7
	s_delay_alu instid0(VALU_DEP_1) | instskip(SKIP_1) | instid1(VALU_DEP_2)
	v_div_scale_f32 v6, null, v3, v3, v4
	v_div_scale_f32 v10, s3, v4, v3, v4
	v_rcp_f32_e32 v8, v6
	s_delay_alu instid0(TRANS32_DEP_1) | instskip(NEXT) | instid1(VALU_DEP_1)
	v_fma_f32 v1, -v6, v8, 1.0
	v_fmac_f32_e32 v8, v1, v8
	v_mul_f32_e32 v11, v9, v7
	v_mad_co_u64_u32 v[0:1], null, v177, s25, v[32:33]
	s_delay_alu instid0(VALU_DEP_3) | instskip(NEXT) | instid1(VALU_DEP_3)
	v_mul_f32_e32 v12, v10, v8
	v_fma_f32 v1, -v5, v11, v9
	s_delay_alu instid0(VALU_DEP_3) | instskip(NEXT) | instid1(VALU_DEP_3)
	v_lshl_add_u32 v0, v0, 5, v48
	v_fma_f32 v13, -v6, v12, v10
	s_delay_alu instid0(VALU_DEP_3) | instskip(NEXT) | instid1(VALU_DEP_3)
	v_fmac_f32_e32 v11, v1, v7
	v_ashrrev_i32_e32 v1, 31, v0
	s_delay_alu instid0(VALU_DEP_3) | instskip(NEXT) | instid1(VALU_DEP_3)
	v_fmac_f32_e32 v12, v13, v8
	v_fma_f32 v5, -v5, v11, v9
	s_delay_alu instid0(VALU_DEP_3) | instskip(NEXT) | instid1(VALU_DEP_3)
	v_lshlrev_b64_e32 v[0:1], 3, v[0:1]
	v_fma_f32 v6, -v6, v12, v10
	s_wait_alu 0xfffd
	s_delay_alu instid0(VALU_DEP_3)
	v_div_fmas_f32 v5, v5, v7, v11
	s_wait_alu 0xfffe
	s_mov_b32 vcc_lo, s3
	s_wait_alu 0xfffe
	v_div_fmas_f32 v6, v6, v8, v12
	v_div_fixup_f32 v2, v5, v3, v2
	s_delay_alu instid0(VALU_DEP_2)
	v_div_fixup_f32 v3, v6, v3, v4
	v_add_co_u32 v4, vcc_lo, s72, v0
	s_wait_alu 0xfffd
	v_add_co_ci_u32_e64 v5, null, s73, v1, vcc_lo
	v_mov_b32_e32 v0, 0
	global_store_b64 v[4:5], v[2:3], off
.LBB0_314:                              ;   in Loop: Header=BB0_9 Depth=1
	s_or_b32 exec_lo, exec_lo, s50
	s_mov_b32 s50, -1
	s_mov_b32 s3, exec_lo
	v_cmpx_gt_i32_e32 50, v0
; %bb.315:                              ;   in Loop: Header=BB0_9 Depth=1
	v_cmp_eq_u32_e32 vcc_lo, 0, v0
	s_or_not1_b32 s50, vcc_lo, exec_lo
; %bb.316:                              ;   in Loop: Header=BB0_9 Depth=1
	s_wait_alu 0xfffe
	s_or_b32 exec_lo, exec_lo, s3
	s_mov_b32 s3, s39
                                        ; implicit-def: $vgpr1
	s_and_saveexec_b32 s6, s50
	s_cbranch_execz .LBB0_338
; %bb.317:                              ;   in Loop: Header=BB0_9 Depth=1
	v_mov_b32_e32 v0, 50
	s_and_saveexec_b32 s50, s95
	s_cbranch_execz .LBB0_319
; %bb.318:                              ;   in Loop: Header=BB0_9 Depth=1
	scratch_load_b32 v1, off, off offset:96 ; 4-byte Folded Reload
	s_wait_loadcnt 0x0
	v_add_nc_u32_e32 v0, v1, v88
	ds_load_b32 v0, v0
	ds_load_b32 v3, v1 offset:132
	s_wait_dscnt 0x1
	v_lshrrev_b32_e32 v1, 16, v0
	v_cvt_f32_f16_e32 v0, v0
	s_delay_alu instid0(VALU_DEP_2) | instskip(NEXT) | instid1(VALU_DEP_2)
	v_cvt_f32_f16_e32 v1, v1
	v_add_f32_e32 v2, 0, v0
	s_wait_dscnt 0x0
	s_delay_alu instid0(VALU_DEP_1) | instskip(NEXT) | instid1(VALU_DEP_1)
	v_div_scale_f32 v5, null, v3, v3, v2
	v_rcp_f32_e32 v7, v5
	s_delay_alu instid0(TRANS32_DEP_1) | instskip(NEXT) | instid1(VALU_DEP_1)
	v_fma_f32 v0, -v5, v7, 1.0
	v_fmac_f32_e32 v7, v0, v7
	v_div_scale_f32 v9, vcc_lo, v2, v3, v2
	s_delay_alu instid0(VALU_DEP_1) | instskip(NEXT) | instid1(VALU_DEP_1)
	v_dual_add_f32 v4, 0, v1 :: v_dual_mul_f32 v11, v9, v7
	v_div_scale_f32 v6, null, v3, v3, v4
	v_div_scale_f32 v10, s3, v4, v3, v4
	s_delay_alu instid0(VALU_DEP_2) | instskip(NEXT) | instid1(TRANS32_DEP_1)
	v_rcp_f32_e32 v8, v6
	v_fma_f32 v1, -v6, v8, 1.0
	s_delay_alu instid0(VALU_DEP_1) | instskip(SKIP_2) | instid1(VALU_DEP_1)
	v_fmac_f32_e32 v8, v1, v8
	v_mad_co_u64_u32 v[0:1], null, v176, s25, v[32:33]
	v_fma_f32 v1, -v5, v11, v9
	v_dual_mul_f32 v12, v10, v8 :: v_dual_fmac_f32 v11, v1, v7
	s_delay_alu instid0(VALU_DEP_3) | instskip(NEXT) | instid1(VALU_DEP_2)
	v_lshl_add_u32 v0, v0, 5, v48
	v_fma_f32 v13, -v6, v12, v10
	s_delay_alu instid0(VALU_DEP_3) | instskip(NEXT) | instid1(VALU_DEP_3)
	v_fma_f32 v5, -v5, v11, v9
	v_ashrrev_i32_e32 v1, 31, v0
	s_delay_alu instid0(VALU_DEP_3) | instskip(SKIP_1) | instid1(VALU_DEP_3)
	v_fmac_f32_e32 v12, v13, v8
	s_wait_alu 0xfffd
	v_div_fmas_f32 v5, v5, v7, v11
	s_wait_alu 0xfffe
	s_mov_b32 vcc_lo, s3
	v_fma_f32 v6, -v6, v12, v10
	v_lshlrev_b64_e32 v[0:1], 3, v[0:1]
	v_div_fixup_f32 v2, v5, v3, v2
	s_wait_alu 0xfffe
	s_delay_alu instid0(VALU_DEP_3) | instskip(NEXT) | instid1(VALU_DEP_1)
	v_div_fmas_f32 v6, v6, v8, v12
	v_div_fixup_f32 v3, v6, v3, v4
	s_delay_alu instid0(VALU_DEP_4)
	v_add_co_u32 v4, vcc_lo, s72, v0
	s_wait_alu 0xfffd
	v_add_co_ci_u32_e64 v5, null, s73, v1, vcc_lo
	v_mov_b32_e32 v0, 0
	global_store_b64 v[4:5], v[2:3], off
.LBB0_319:                              ;   in Loop: Header=BB0_9 Depth=1
	s_or_b32 exec_lo, exec_lo, s50
	s_mov_b32 s51, -1
	s_mov_b32 s3, exec_lo
	v_cmpx_gt_i32_e32 50, v0
; %bb.320:                              ;   in Loop: Header=BB0_9 Depth=1
	v_cmp_eq_u32_e32 vcc_lo, 0, v0
	s_or_not1_b32 s51, vcc_lo, exec_lo
; %bb.321:                              ;   in Loop: Header=BB0_9 Depth=1
	s_wait_alu 0xfffe
	s_or_b32 exec_lo, exec_lo, s3
	s_mov_b32 s3, s39
                                        ; implicit-def: $vgpr1
	s_and_saveexec_b32 s50, s51
	s_cbranch_execz .LBB0_337
; %bb.322:                              ;   in Loop: Header=BB0_9 Depth=1
	v_mov_b32_e32 v0, 50
	s_and_saveexec_b32 s51, s93
	s_cbranch_execz .LBB0_324
; %bb.323:                              ;   in Loop: Header=BB0_9 Depth=1
	v_add_nc_u32_e32 v1, 0x1d40, v131
	s_delay_alu instid0(VALU_DEP_1)
	v_add_nc_u32_e32 v0, v1, v88
	ds_load_b32 v0, v0
	ds_load_b32 v3, v1 offset:132
	s_wait_dscnt 0x1
	v_lshrrev_b32_e32 v1, 16, v0
	v_cvt_f32_f16_e32 v0, v0
	s_delay_alu instid0(VALU_DEP_2) | instskip(NEXT) | instid1(VALU_DEP_2)
	v_cvt_f32_f16_e32 v1, v1
	v_add_f32_e32 v2, 0, v0
	s_wait_dscnt 0x0
	s_delay_alu instid0(VALU_DEP_1) | instskip(SKIP_1) | instid1(VALU_DEP_2)
	v_div_scale_f32 v5, null, v3, v3, v2
	v_div_scale_f32 v9, vcc_lo, v2, v3, v2
	v_rcp_f32_e32 v7, v5
	s_delay_alu instid0(TRANS32_DEP_1) | instskip(NEXT) | instid1(VALU_DEP_1)
	v_fma_f32 v0, -v5, v7, 1.0
	v_dual_add_f32 v4, 0, v1 :: v_dual_fmac_f32 v7, v0, v7
	s_delay_alu instid0(VALU_DEP_1) | instskip(SKIP_1) | instid1(VALU_DEP_2)
	v_div_scale_f32 v6, null, v3, v3, v4
	v_div_scale_f32 v10, s3, v4, v3, v4
	v_rcp_f32_e32 v8, v6
	s_delay_alu instid0(TRANS32_DEP_1) | instskip(NEXT) | instid1(VALU_DEP_1)
	v_fma_f32 v1, -v6, v8, 1.0
	v_fmac_f32_e32 v8, v1, v8
	v_mul_f32_e32 v11, v9, v7
	v_mad_co_u64_u32 v[0:1], null, v175, s25, v[32:33]
	s_delay_alu instid0(VALU_DEP_3) | instskip(NEXT) | instid1(VALU_DEP_3)
	v_mul_f32_e32 v12, v10, v8
	v_fma_f32 v1, -v5, v11, v9
	s_delay_alu instid0(VALU_DEP_3) | instskip(NEXT) | instid1(VALU_DEP_3)
	v_lshl_add_u32 v0, v0, 5, v48
	v_fma_f32 v13, -v6, v12, v10
	s_delay_alu instid0(VALU_DEP_3) | instskip(NEXT) | instid1(VALU_DEP_3)
	v_fmac_f32_e32 v11, v1, v7
	v_ashrrev_i32_e32 v1, 31, v0
	s_delay_alu instid0(VALU_DEP_3) | instskip(NEXT) | instid1(VALU_DEP_3)
	v_fmac_f32_e32 v12, v13, v8
	v_fma_f32 v5, -v5, v11, v9
	s_delay_alu instid0(VALU_DEP_3) | instskip(NEXT) | instid1(VALU_DEP_3)
	v_lshlrev_b64_e32 v[0:1], 3, v[0:1]
	v_fma_f32 v6, -v6, v12, v10
	s_wait_alu 0xfffd
	s_delay_alu instid0(VALU_DEP_3)
	v_div_fmas_f32 v5, v5, v7, v11
	s_wait_alu 0xfffe
	s_mov_b32 vcc_lo, s3
	s_wait_alu 0xfffe
	v_div_fmas_f32 v6, v6, v8, v12
	v_div_fixup_f32 v2, v5, v3, v2
	s_delay_alu instid0(VALU_DEP_2)
	v_div_fixup_f32 v3, v6, v3, v4
	v_add_co_u32 v4, vcc_lo, s72, v0
	s_wait_alu 0xfffd
	v_add_co_ci_u32_e64 v5, null, s73, v1, vcc_lo
	v_mov_b32_e32 v0, 0
	global_store_b64 v[4:5], v[2:3], off
.LBB0_324:                              ;   in Loop: Header=BB0_9 Depth=1
	s_or_b32 exec_lo, exec_lo, s51
	s_mov_b32 s56, -1
	s_mov_b32 s3, exec_lo
	v_cmpx_gt_i32_e32 50, v0
; %bb.325:                              ;   in Loop: Header=BB0_9 Depth=1
	v_cmp_eq_u32_e32 vcc_lo, 0, v0
	s_or_not1_b32 s56, vcc_lo, exec_lo
; %bb.326:                              ;   in Loop: Header=BB0_9 Depth=1
	s_wait_alu 0xfffe
	s_or_b32 exec_lo, exec_lo, s3
	s_mov_b32 s3, s39
                                        ; implicit-def: $vgpr1
	s_and_saveexec_b32 s51, s56
	s_cbranch_execz .LBB0_336
; %bb.327:                              ;   in Loop: Header=BB0_9 Depth=1
	v_mov_b32_e32 v0, 50
	s_and_saveexec_b32 s56, s92
	s_cbranch_execz .LBB0_329
; %bb.328:                              ;   in Loop: Header=BB0_9 Depth=1
	v_add_nc_u32_e32 v1, 0x1f80, v131
	s_delay_alu instid0(VALU_DEP_1)
	v_add_nc_u32_e32 v0, v1, v88
	ds_load_b32 v0, v0
	ds_load_b32 v3, v1 offset:132
	s_wait_dscnt 0x1
	v_lshrrev_b32_e32 v1, 16, v0
	v_cvt_f32_f16_e32 v0, v0
	s_delay_alu instid0(VALU_DEP_2) | instskip(NEXT) | instid1(VALU_DEP_2)
	v_cvt_f32_f16_e32 v1, v1
	v_add_f32_e32 v2, 0, v0
	s_wait_dscnt 0x0
	s_delay_alu instid0(VALU_DEP_1) | instskip(SKIP_1) | instid1(VALU_DEP_2)
	v_div_scale_f32 v5, null, v3, v3, v2
	v_div_scale_f32 v9, vcc_lo, v2, v3, v2
	v_rcp_f32_e32 v7, v5
	s_delay_alu instid0(TRANS32_DEP_1) | instskip(NEXT) | instid1(VALU_DEP_1)
	v_fma_f32 v0, -v5, v7, 1.0
	v_dual_add_f32 v4, 0, v1 :: v_dual_fmac_f32 v7, v0, v7
	s_delay_alu instid0(VALU_DEP_1) | instskip(SKIP_1) | instid1(VALU_DEP_2)
	v_div_scale_f32 v6, null, v3, v3, v4
	v_div_scale_f32 v10, s3, v4, v3, v4
	v_rcp_f32_e32 v8, v6
	s_delay_alu instid0(TRANS32_DEP_1) | instskip(NEXT) | instid1(VALU_DEP_1)
	v_fma_f32 v1, -v6, v8, 1.0
	v_fmac_f32_e32 v8, v1, v8
	v_mul_f32_e32 v11, v9, v7
	v_mad_co_u64_u32 v[0:1], null, v174, s25, v[32:33]
	s_delay_alu instid0(VALU_DEP_3) | instskip(NEXT) | instid1(VALU_DEP_3)
	v_mul_f32_e32 v12, v10, v8
	v_fma_f32 v1, -v5, v11, v9
	s_delay_alu instid0(VALU_DEP_3) | instskip(NEXT) | instid1(VALU_DEP_3)
	v_lshl_add_u32 v0, v0, 5, v48
	v_fma_f32 v13, -v6, v12, v10
	s_delay_alu instid0(VALU_DEP_3) | instskip(NEXT) | instid1(VALU_DEP_3)
	v_fmac_f32_e32 v11, v1, v7
	v_ashrrev_i32_e32 v1, 31, v0
	s_delay_alu instid0(VALU_DEP_3) | instskip(NEXT) | instid1(VALU_DEP_3)
	v_fmac_f32_e32 v12, v13, v8
	v_fma_f32 v5, -v5, v11, v9
	s_delay_alu instid0(VALU_DEP_3) | instskip(NEXT) | instid1(VALU_DEP_3)
	v_lshlrev_b64_e32 v[0:1], 3, v[0:1]
	v_fma_f32 v6, -v6, v12, v10
	s_wait_alu 0xfffd
	s_delay_alu instid0(VALU_DEP_3)
	v_div_fmas_f32 v5, v5, v7, v11
	s_wait_alu 0xfffe
	s_mov_b32 vcc_lo, s3
	s_wait_alu 0xfffe
	v_div_fmas_f32 v6, v6, v8, v12
	v_div_fixup_f32 v2, v5, v3, v2
	s_delay_alu instid0(VALU_DEP_2)
	v_div_fixup_f32 v3, v6, v3, v4
	v_add_co_u32 v4, vcc_lo, s72, v0
	s_wait_alu 0xfffd
	v_add_co_ci_u32_e64 v5, null, s73, v1, vcc_lo
	v_mov_b32_e32 v0, 0
	global_store_b64 v[4:5], v[2:3], off
.LBB0_329:                              ;   in Loop: Header=BB0_9 Depth=1
	s_or_b32 exec_lo, exec_lo, s56
	s_mov_b32 s74, -1
	s_mov_b32 s3, exec_lo
	v_cmpx_gt_i32_e32 50, v0
; %bb.330:                              ;   in Loop: Header=BB0_9 Depth=1
	v_cmp_eq_u32_e32 vcc_lo, 0, v0
	s_or_not1_b32 s74, vcc_lo, exec_lo
; %bb.331:                              ;   in Loop: Header=BB0_9 Depth=1
	s_wait_alu 0xfffe
	s_or_b32 exec_lo, exec_lo, s3
	s_mov_b32 s3, s39
                                        ; implicit-def: $vgpr1
	s_and_saveexec_b32 s56, s74
	s_cbranch_execz .LBB0_335
; %bb.332:                              ;   in Loop: Header=BB0_9 Depth=1
	s_mov_b32 s3, s39
                                        ; implicit-def: $vgpr1
	s_and_saveexec_b32 s74, s67
	s_cbranch_execz .LBB0_334
; %bb.333:                              ;   in Loop: Header=BB0_9 Depth=1
	v_add_nc_u32_e32 v1, 0x21c0, v131
	s_delay_alu instid0(VALU_DEP_1)
	v_add_nc_u32_e32 v0, v1, v88
	ds_load_b32 v0, v0
	ds_load_b32 v1, v1 offset:132
	s_wait_dscnt 0x1
	v_lshrrev_b32_e32 v2, 16, v0
	v_cvt_f32_f16_e32 v0, v0
	s_delay_alu instid0(VALU_DEP_2) | instskip(NEXT) | instid1(VALU_DEP_2)
	v_cvt_f32_f16_e32 v2, v2
	v_add_f32_e32 v0, 0, v0
	s_delay_alu instid0(VALU_DEP_2) | instskip(SKIP_1) | instid1(VALU_DEP_2)
	v_add_f32_e32 v2, 0, v2
	s_wait_dscnt 0x0
	v_div_scale_f32 v3, null, v1, v1, v0
	v_div_scale_f32 v9, vcc_lo, v0, v1, v0
	s_delay_alu instid0(VALU_DEP_3) | instskip(NEXT) | instid1(VALU_DEP_3)
	v_div_scale_f32 v4, null, v1, v1, v2
	v_rcp_f32_e32 v5, v3
	s_delay_alu instid0(VALU_DEP_1) | instskip(NEXT) | instid1(TRANS32_DEP_2)
	v_rcp_f32_e32 v6, v4
	v_fma_f32 v7, -v3, v5, 1.0
	s_delay_alu instid0(TRANS32_DEP_1) | instskip(NEXT) | instid1(VALU_DEP_2)
	v_fma_f32 v8, -v4, v6, 1.0
	v_fmac_f32_e32 v5, v7, v5
	v_div_scale_f32 v7, s3, v2, v1, v2
	s_delay_alu instid0(VALU_DEP_3) | instskip(NEXT) | instid1(VALU_DEP_3)
	v_fmac_f32_e32 v6, v8, v6
	v_mul_f32_e32 v8, v9, v5
	s_delay_alu instid0(VALU_DEP_2) | instskip(NEXT) | instid1(VALU_DEP_2)
	v_mul_f32_e32 v10, v7, v6
	v_fma_f32 v11, -v3, v8, v9
	s_delay_alu instid0(VALU_DEP_2) | instskip(NEXT) | instid1(VALU_DEP_2)
	v_fma_f32 v12, -v4, v10, v7
	v_fmac_f32_e32 v8, v11, v5
	s_delay_alu instid0(VALU_DEP_2) | instskip(NEXT) | instid1(VALU_DEP_2)
	v_fmac_f32_e32 v10, v12, v6
	v_fma_f32 v3, -v3, v8, v9
	s_delay_alu instid0(VALU_DEP_2) | instskip(SKIP_1) | instid1(VALU_DEP_2)
	v_fma_f32 v4, -v4, v10, v7
	s_wait_alu 0xfffd
	v_div_fmas_f32 v3, v3, v5, v8
	s_wait_alu 0xfffe
	s_mov_b32 vcc_lo, s3
	s_or_b32 s3, s39, exec_lo
	s_wait_alu 0xfffe
	v_div_fmas_f32 v4, v4, v6, v10
	v_div_fixup_f32 v0, v3, v1, v0
	s_delay_alu instid0(VALU_DEP_2)
	v_div_fixup_f32 v1, v4, v1, v2
.LBB0_334:                              ;   in Loop: Header=BB0_9 Depth=1
	s_or_b32 exec_lo, exec_lo, s74
	s_delay_alu instid0(SALU_CYCLE_1)
	s_and_not1_b32 s67, s39, exec_lo
	s_wait_alu 0xfffe
	s_and_b32 s3, s3, exec_lo
	s_wait_alu 0xfffe
	s_or_b32 s3, s67, s3
.LBB0_335:                              ;   in Loop: Header=BB0_9 Depth=1
	s_or_b32 exec_lo, exec_lo, s56
	s_delay_alu instid0(SALU_CYCLE_1)
	s_and_not1_b32 s56, s39, exec_lo
	s_wait_alu 0xfffe
	s_and_b32 s3, s3, exec_lo
	s_wait_alu 0xfffe
	s_or_b32 s3, s56, s3
.LBB0_336:                              ;   in Loop: Header=BB0_9 Depth=1
	s_or_b32 exec_lo, exec_lo, s51
	s_delay_alu instid0(SALU_CYCLE_1)
	s_and_not1_b32 s51, s39, exec_lo
	s_wait_alu 0xfffe
	s_and_b32 s3, s3, exec_lo
	s_wait_alu 0xfffe
	s_or_b32 s3, s51, s3
.LBB0_337:                              ;   in Loop: Header=BB0_9 Depth=1
	s_or_b32 exec_lo, exec_lo, s50
	s_delay_alu instid0(SALU_CYCLE_1)
	s_and_not1_b32 s50, s39, exec_lo
	s_wait_alu 0xfffe
	s_and_b32 s3, s3, exec_lo
	s_wait_alu 0xfffe
	s_or_b32 s3, s50, s3
.LBB0_338:                              ;   in Loop: Header=BB0_9 Depth=1
	s_wait_alu 0xfffe
	s_or_b32 exec_lo, exec_lo, s6
	s_delay_alu instid0(SALU_CYCLE_1)
	s_and_not1_b32 s6, s39, exec_lo
	s_and_b32 s3, s3, exec_lo
	s_wait_alu 0xfffe
	s_or_b32 s3, s6, s3
.LBB0_339:                              ;   in Loop: Header=BB0_9 Depth=1
	s_or_b32 exec_lo, exec_lo, s44
	s_delay_alu instid0(SALU_CYCLE_1)
	s_and_not1_b32 s6, s39, exec_lo
	s_wait_alu 0xfffe
	s_and_b32 s3, s3, exec_lo
	s_wait_alu 0xfffe
	s_or_b32 s3, s6, s3
.LBB0_340:                              ;   in Loop: Header=BB0_9 Depth=1
	s_wait_alu 0xfffe
	s_or_b32 exec_lo, exec_lo, s1
	s_delay_alu instid0(SALU_CYCLE_1)
	s_and_not1_b32 s1, s39, exec_lo
	s_and_b32 s3, s3, exec_lo
	s_wait_alu 0xfffe
	s_or_b32 s3, s1, s3
.LBB0_341:                              ;   in Loop: Header=BB0_9 Depth=1
	s_wait_alu 0xfffe
	s_or_b32 exec_lo, exec_lo, s0
	s_delay_alu instid0(SALU_CYCLE_1)
	s_and_not1_b32 s0, s39, exec_lo
	s_and_b32 s1, s3, exec_lo
	s_wait_alu 0xfffe
	s_or_b32 s3, s0, s1
.LBB0_342:                              ;   in Loop: Header=BB0_9 Depth=1
	s_or_b32 exec_lo, exec_lo, s43
	s_delay_alu instid0(SALU_CYCLE_1)
	s_and_not1_b32 s0, s39, exec_lo
	s_wait_alu 0xfffe
	s_and_b32 s1, s3, exec_lo
	s_wait_alu 0xfffe
	s_or_b32 s3, s0, s1
.LBB0_343:                              ;   in Loop: Header=BB0_9 Depth=1
	s_wait_alu 0xfffe
	s_or_b32 exec_lo, exec_lo, s40
	s_delay_alu instid0(SALU_CYCLE_1)
	s_and_not1_b32 s0, s39, exec_lo
	s_and_b32 s1, s3, exec_lo
	s_wait_alu 0xfffe
	s_or_b32 s3, s0, s1
.LBB0_344:                              ;   in Loop: Header=BB0_9 Depth=1
	s_wait_alu 0xfffe
	s_or_b32 exec_lo, exec_lo, s41
	s_delay_alu instid0(SALU_CYCLE_1)
	s_and_not1_b32 s0, s39, exec_lo
	s_and_b32 s1, s3, exec_lo
	s_wait_alu 0xfffe
	s_or_b32 s3, s0, s1
.LBB0_345:                              ;   in Loop: Header=BB0_9 Depth=1
	s_or_b32 exec_lo, exec_lo, s42
	s_delay_alu instid0(SALU_CYCLE_1)
	s_and_not1_b32 s0, s39, exec_lo
	s_wait_alu 0xfffe
	s_and_b32 s1, s3, exec_lo
	s_wait_alu 0xfffe
	s_or_b32 s3, s0, s1
.LBB0_346:                              ;   in Loop: Header=BB0_9 Depth=1
	s_or_b32 exec_lo, exec_lo, s33
	s_delay_alu instid0(SALU_CYCLE_1)
	s_and_not1_b32 s0, s39, exec_lo
	s_wait_alu 0xfffe
	s_and_b32 s1, s3, exec_lo
	s_wait_alu 0xfffe
	s_or_b32 s3, s0, s1
.LBB0_347:                              ;   in Loop: Header=BB0_9 Depth=1
	s_wait_alu 0xfffe
	s_or_b32 exec_lo, exec_lo, s30
	s_delay_alu instid0(SALU_CYCLE_1)
	s_and_not1_b32 s0, s39, exec_lo
	s_and_b32 s1, s3, exec_lo
	s_wait_alu 0xfffe
	s_or_b32 s3, s0, s1
.LBB0_348:                              ;   in Loop: Header=BB0_9 Depth=1
	s_wait_alu 0xfffe
	s_or_b32 exec_lo, exec_lo, s5
	s_delay_alu instid0(SALU_CYCLE_1)
	s_and_not1_b32 s0, s39, exec_lo
	s_and_b32 s1, s3, exec_lo
	s_wait_alu 0xfffe
	s_or_b32 s39, s0, s1
.LBB0_349:                              ;   in Loop: Header=BB0_9 Depth=1
	s_wait_alu 0xfffe
	s_or_b32 exec_lo, exec_lo, s4
.LBB0_350:                              ;   in Loop: Header=BB0_9 Depth=1
	s_wait_alu 0xfffe
	s_and_saveexec_b32 s0, s39
	s_cbranch_execz .LBB0_8
; %bb.351:                              ;   in Loop: Header=BB0_9 Depth=1
	v_mad_co_u64_u32 v[2:3], null, v173, s25, v[32:33]
	s_delay_alu instid0(VALU_DEP_1) | instskip(NEXT) | instid1(VALU_DEP_1)
	v_lshl_add_u32 v2, v2, 5, v48
	v_ashrrev_i32_e32 v3, 31, v2
	s_delay_alu instid0(VALU_DEP_1) | instskip(NEXT) | instid1(VALU_DEP_1)
	v_lshlrev_b64_e32 v[2:3], 3, v[2:3]
	v_add_co_u32 v2, vcc_lo, s72, v2
	s_wait_alu 0xfffd
	s_delay_alu instid0(VALU_DEP_2)
	v_add_co_ci_u32_e64 v3, null, s73, v3, vcc_lo
	global_store_b64 v[2:3], v[0:1], off
	s_branch .LBB0_8
.LBB0_352:                              ;   in Loop: Header=BB0_9 Depth=1
                                        ; implicit-def: $vgpr28
                                        ; implicit-def: $vgpr29
                                        ; implicit-def: $vgpr30
                                        ; implicit-def: $vgpr31
                                        ; implicit-def: $vgpr55
                                        ; implicit-def: $vgpr56
                                        ; implicit-def: $vgpr57
                                        ; implicit-def: $vgpr58
                                        ; implicit-def: $vgpr25
                                        ; implicit-def: $vgpr16_vgpr17_vgpr18_vgpr19
                                        ; implicit-def: $vgpr20_vgpr21_vgpr22_vgpr23
	s_branch .LBB0_85
.LBB0_353:                              ;   in Loop: Header=BB0_9 Depth=1
                                        ; implicit-def: $vgpr27
                                        ; implicit-def: $vgpr28
                                        ; implicit-def: $vgpr29
                                        ; implicit-def: $vgpr30
                                        ; implicit-def: $vgpr31
                                        ; implicit-def: $vgpr54
                                        ; implicit-def: $vgpr55
                                        ; implicit-def: $vgpr56
                                        ; implicit-def: $vgpr57
                                        ; implicit-def: $vgpr26
                                        ; implicit-def: $vgpr16_vgpr17_vgpr18_vgpr19
                                        ; implicit-def: $vgpr20_vgpr21_vgpr22_vgpr23
	s_branch .LBB0_254
.LBB0_354:
	s_and_not1_b32 vcc_lo, exec_lo, s0
	v_readlane_b32 s0, v255, 8
	s_add_nc_u64 s[4:5], s[58:59], 0xd0
	v_readlane_b32 s1, v255, 9
	s_wait_alu 0xfffe
	s_cbranch_vccnz .LBB0_434
; %bb.355:
	s_mov_b32 s30, s0
	s_abs_i32 s0, s98
	s_abs_i32 s3, s48
	s_wait_alu 0xfffe
	s_cvt_f32_u32 s1, s0
	s_sub_co_i32 s2, 0, s0
	v_mov_b32_e32 v17, s33
	s_wait_alu 0xfffe
	v_rcp_iflag_f32_e32 v0, s1
	s_delay_alu instid0(TRANS32_DEP_1) | instskip(SKIP_2) | instid1(SALU_CYCLE_2)
	v_readfirstlane_b32 s1, v0
	s_mul_f32 s1, s1, 0x4f7ffffe
	s_wait_alu 0xfffe
	s_cvt_u32_f32 s1, s1
	s_wait_alu 0xfffe
	s_delay_alu instid0(SALU_CYCLE_2)
	s_mul_i32 s2, s2, s1
	s_wait_alu 0xfffe
	s_mul_hi_u32 s2, s1, s2
	s_wait_alu 0xfffe
	s_add_co_i32 s1, s1, s2
	s_xor_b32 s2, s48, s98
	s_wait_alu 0xfffe
	s_mul_hi_u32 s1, s3, s1
	s_ashr_i32 s2, s2, 31
	s_wait_alu 0xfffe
	s_mul_i32 s6, s1, s0
	s_wait_alu 0xfffe
	s_sub_co_i32 s3, s3, s6
	s_add_co_i32 s6, s1, 1
	s_wait_alu 0xfffe
	s_sub_co_i32 s16, s3, s0
	s_cmp_ge_u32 s3, s0
	s_cselect_b32 s1, s6, s1
	s_cselect_b32 s3, s16, s3
	s_wait_alu 0xfffe
	s_add_co_i32 s6, s1, 1
	s_cmp_ge_u32 s3, s0
	s_wait_alu 0xfffe
	s_cselect_b32 s0, s6, s1
	s_abs_i32 s1, s97
	s_wait_alu 0xfffe
	s_xor_b32 s0, s0, s2
	s_cvt_f32_u32 s3, s1
	s_wait_alu 0xfffe
	s_sub_co_i32 s2, s0, s2
	s_sub_co_i32 s0, 0, s1
	s_wait_alu 0xfffe
	s_mul_i32 s6, s2, s98
	v_rcp_iflag_f32_e32 v0, s3
	s_wait_alu 0xfffe
	s_sub_co_i32 s6, s48, s6
	s_wait_alu 0xfffe
	s_abs_i32 s16, s6
	s_delay_alu instid0(TRANS32_DEP_1) | instskip(SKIP_2) | instid1(SALU_CYCLE_2)
	v_readfirstlane_b32 s3, v0
	s_mul_f32 s3, s3, 0x4f7ffffe
	s_wait_alu 0xfffe
	s_cvt_u32_f32 s3, s3
	s_wait_alu 0xfffe
	s_delay_alu instid0(SALU_CYCLE_2)
	s_mul_i32 s0, s0, s3
	s_wait_alu 0xfffe
	s_mul_hi_u32 s0, s3, s0
	s_wait_alu 0xfffe
	s_add_co_i32 s3, s3, s0
	s_wait_alu 0xfffe
	s_mul_hi_u32 s0, s16, s3
	s_xor_b32 s3, s6, s97
	s_wait_alu 0xfffe
	s_mul_i32 s17, s0, s1
	s_ashr_i32 s3, s3, 31
	s_sub_co_i32 s16, s16, s17
	s_add_co_i32 s17, s0, 1
	s_sub_co_i32 s20, s16, s1
	s_cmp_ge_u32 s16, s1
	s_cselect_b32 s0, s17, s0
	s_cselect_b32 s16, s20, s16
	s_wait_alu 0xfffe
	s_add_co_i32 s17, s0, 1
	s_cmp_ge_u32 s16, s1
	s_cselect_b32 s0, s17, s0
	s_abs_i32 s1, s96
	s_wait_alu 0xfffe
	s_xor_b32 s0, s0, s3
	s_cvt_f32_u32 s16, s1
	s_wait_alu 0xfffe
	s_sub_co_i32 s20, s0, s3
	s_sub_co_i32 s0, 0, s1
	s_mul_i32 s3, s20, s97
	v_rcp_iflag_f32_e32 v0, s16
	s_wait_alu 0xfffe
	s_sub_co_i32 s3, s6, s3
	s_wait_alu 0xfffe
	s_abs_i32 s6, s3
	s_delay_alu instid0(TRANS32_DEP_1) | instskip(SKIP_2) | instid1(SALU_CYCLE_2)
	v_readfirstlane_b32 s16, v0
	s_mul_f32 s16, s16, 0x4f7ffffe
	s_wait_alu 0xfffe
	s_cvt_u32_f32 s16, s16
	s_wait_alu 0xfffe
	s_delay_alu instid0(SALU_CYCLE_2)
	s_mul_i32 s0, s0, s16
	s_wait_alu 0xfffe
	s_mul_hi_u32 s0, s16, s0
	s_wait_alu 0xfffe
	s_add_co_i32 s16, s16, s0
	s_wait_alu 0xfffe
	s_mul_hi_u32 s0, s6, s16
	s_xor_b32 s16, s3, s96
	s_wait_alu 0xfffe
	s_mul_i32 s17, s0, s1
	s_ashr_i32 s16, s16, 31
	s_wait_alu 0xfffe
	s_sub_co_i32 s6, s6, s17
	s_add_co_i32 s17, s0, 1
	s_wait_alu 0xfffe
	s_sub_co_i32 s21, s6, s1
	s_cmp_ge_u32 s6, s1
	s_cselect_b32 s0, s17, s0
	s_cselect_b32 s6, s21, s6
	s_wait_alu 0xfffe
	s_add_co_i32 s17, s0, 1
	s_cmp_ge_u32 s6, s1
	s_wait_alu 0xfffe
	s_cselect_b32 s0, s17, s0
	s_mov_b32 s17, 0
	s_wait_alu 0xfffe
	s_xor_b32 s0, s0, s16
	s_wait_alu 0xfffe
	s_sub_co_i32 s0, s0, s16
	s_wait_alu 0xfffe
	s_mul_i32 s1, s0, s96
	s_wait_alu 0xfffe
	s_sub_co_i32 s1, s3, s1
	s_wait_alu 0xfffe
	s_abs_i32 s16, s1
	s_ashr_i32 s1, s1, 31
	s_wait_alu 0xfffe
	s_mul_u64 s[40:41], s[16:17], s[52:53]
	s_xor_b32 s1, s1, s55
	s_wait_alu 0xfffe
	s_mul_i32 s3, s41, s49
	s_add_co_i32 s6, s41, 1
	s_wait_alu 0xfffe
	s_sub_co_i32 s3, s16, s3
	s_wait_alu 0xfffe
	s_sub_co_i32 s16, s3, s49
	s_cmp_ge_u32 s3, s49
	s_cselect_b32 s6, s6, s41
	s_wait_alu 0xfffe
	s_cselect_b32 s3, s16, s3
	s_add_co_i32 s16, s6, 1
	s_wait_alu 0xfffe
	s_cmp_ge_u32 s3, s49
	s_cselect_b32 s3, s16, s6
	s_abs_i32 s21, s30
	s_wait_alu 0xfffe
	s_xor_b32 s3, s3, s1
	s_cvt_f32_u32 s6, s21
	s_wait_alu 0xfffe
	s_sub_co_i32 s1, s3, s1
	s_cmp_eq_u64 s[18:19], 0
	v_rcp_iflag_f32_e32 v0, s6
	s_delay_alu instid0(TRANS32_DEP_1)
	v_readfirstlane_b32 s16, v0
	s_cbranch_scc1 .LBB0_357
; %bb.356:
	v_readlane_b32 s3, v255, 0
	v_mov_b32_e32 v0, 0
	s_mul_i32 s3, s2, s3
	s_wait_alu 0xfffe
	s_add_co_i32 s40, s1, s3
	s_wait_alu 0xfffe
	s_ashr_i32 s41, s40, 31
	s_wait_alu 0xfffe
	s_lshl_b64 s[40:41], s[40:41], 2
	s_wait_alu 0xfffe
	s_add_nc_u64 s[18:19], s[18:19], s[40:41]
	global_load_b32 v0, v0, s[18:19]
	s_wait_loadcnt 0x0
	v_ashrrev_i32_e32 v1, 31, v0
	s_delay_alu instid0(VALU_DEP_1) | instskip(NEXT) | instid1(VALU_DEP_1)
	v_lshrrev_b32_e32 v1, 26, v1
	v_add_nc_u32_e32 v0, v0, v1
	s_delay_alu instid0(VALU_DEP_1) | instskip(NEXT) | instid1(VALU_DEP_1)
	v_ashrrev_i32_e32 v0, 6, v0
	v_min_i32_e32 v17, s33, v0
.LBB0_357:
	v_bfe_u32 v0, v33, 1, 9
	s_lshl_b32 s18, s0, 1
	s_wait_alu 0xfffe
	s_lshl_b32 s6, s1, 5
	v_or_b32_e32 v1, s18, v32
	s_mul_i32 s3, s20, s94
	s_wait_alu 0xfffe
	v_add_nc_u32_e32 v0, s6, v0
	s_mul_i32 s0, s2, s47
	v_lshl_add_u32 v88, v48, 2, 0
	s_add_co_i32 s3, s18, s3
	s_wait_alu 0xfffe
	s_ashr_i32 s1, s0, 31
	s_mul_i32 s18, s3, s46
	s_wait_alu 0xfffe
	s_add_nc_u64 s[8:9], s[8:9], s[0:1]
	v_cmp_le_i32_e64 s0, s24, v0
	v_cmp_le_i32_e64 s1, s94, v1
	v_readlane_b32 s3, v255, 10
	v_mad_u32_u24 v71, 0x90, v85, v88
	s_ashr_i32 s19, s18, 31
	v_cmp_gt_i32_e32 vcc_lo, s94, v1
	s_or_b32 s0, s0, s1
	s_and_b32 s3, 0xffff, s3
	s_wait_alu 0xfffe
	s_and_saveexec_b32 s1, s0
	s_wait_alu 0xfffe
	s_xor_b32 s0, exec_lo, s1
; %bb.358:
	v_mov_b32_e32 v0, 0
	ds_store_b32 v71, v0
                                        ; implicit-def: $vgpr0
; %bb.359:
	s_wait_alu 0xfffe
	s_or_saveexec_b32 s1, s0
	v_readlane_b32 s27, v255, 7
	s_add_nc_u64 s[8:9], s[8:9], s[18:19]
	s_mul_i32 s18, s3, 0x10001
	s_wait_alu 0xfffe
	s_xor_b32 exec_lo, exec_lo, s1
	s_cbranch_execz .LBB0_361
; %bb.360:
	v_mul_lo_u32 v0, v0, s7
	v_mul_lo_u32 v1, v32, s27
	s_delay_alu instid0(VALU_DEP_1) | instskip(NEXT) | instid1(VALU_DEP_1)
	v_add3_u32 v0, v1, v48, v0
	v_ashrrev_i32_e32 v1, 31, v0
	s_delay_alu instid0(VALU_DEP_1) | instskip(NEXT) | instid1(VALU_DEP_1)
	v_lshlrev_b64_e32 v[0:1], 3, v[0:1]
	v_add_co_u32 v0, s0, s8, v0
	s_wait_alu 0xf1ff
	s_delay_alu instid0(VALU_DEP_2) | instskip(SKIP_4) | instid1(VALU_DEP_1)
	v_add_co_ci_u32_e64 v1, null, s9, v1, s0
	global_load_b64 v[0:1], v[0:1], off
	s_wait_loadcnt 0x0
	v_cvt_f16_f32_e32 v0, v0
	v_cvt_f16_f32_e32 v1, v1
	v_pack_b32_f16 v0, v0, v1
	s_delay_alu instid0(VALU_DEP_1)
	v_pk_mul_f16 v0, v0, s18
	ds_store_b32 v71, v0
.LBB0_361:
	s_or_b32 exec_lo, exec_lo, s1
	v_lshrrev_b32_e32 v0, 1, v87
	s_xor_b32 s3, vcc_lo, -1
	s_delay_alu instid0(VALU_DEP_1) | instskip(NEXT) | instid1(VALU_DEP_1)
	v_add_nc_u32_e32 v0, s6, v0
	v_cmp_le_i32_e64 s0, s24, v0
	s_wait_alu 0xfffe
	s_or_b32 s0, s0, s3
	s_wait_alu 0xfffe
	s_and_saveexec_b32 s1, s0
	s_wait_alu 0xfffe
	s_xor_b32 s0, exec_lo, s1
; %bb.362:
	v_mad_u32_u24 v0, 0x90, v87, v88
	v_mov_b32_e32 v1, 0
	ds_store_b32 v0, v1
                                        ; implicit-def: $vgpr0
; %bb.363:
	s_wait_alu 0xfffe
	s_and_not1_saveexec_b32 s0, s0
	s_cbranch_execz .LBB0_365
; %bb.364:
	v_mul_lo_u32 v0, v0, s7
	v_mul_lo_u32 v1, v32, s27
	s_delay_alu instid0(VALU_DEP_1) | instskip(NEXT) | instid1(VALU_DEP_1)
	v_add3_u32 v0, v1, v48, v0
	v_ashrrev_i32_e32 v1, 31, v0
	s_delay_alu instid0(VALU_DEP_1) | instskip(NEXT) | instid1(VALU_DEP_1)
	v_lshlrev_b64_e32 v[0:1], 3, v[0:1]
	v_add_co_u32 v0, vcc_lo, s8, v0
	s_wait_alu 0xfffd
	s_delay_alu instid0(VALU_DEP_2) | instskip(SKIP_4) | instid1(VALU_DEP_1)
	v_add_co_ci_u32_e64 v1, null, s9, v1, vcc_lo
	global_load_b64 v[0:1], v[0:1], off
	s_wait_loadcnt 0x0
	v_cvt_f16_f32_e32 v0, v0
	v_cvt_f16_f32_e32 v1, v1
	v_pack_b32_f16 v0, v0, v1
	v_mad_u32_u24 v1, 0x90, v87, v88
	s_delay_alu instid0(VALU_DEP_2)
	v_pk_mul_f16 v0, v0, s18
	ds_store_b32 v1, v0
.LBB0_365:
	s_wait_alu 0xfffe
	s_or_b32 exec_lo, exec_lo, s0
	v_lshrrev_b32_e32 v0, 1, v86
	s_delay_alu instid0(VALU_DEP_1) | instskip(NEXT) | instid1(VALU_DEP_1)
	v_add_nc_u32_e32 v0, s6, v0
	v_cmp_le_i32_e32 vcc_lo, s24, v0
	s_or_b32 s0, vcc_lo, s3
	s_wait_alu 0xfffe
	s_and_saveexec_b32 s1, s0
	s_wait_alu 0xfffe
	s_xor_b32 s0, exec_lo, s1
; %bb.366:
	v_mad_u32_u24 v0, 0x90, v86, v88
	v_mov_b32_e32 v1, 0
	ds_store_b32 v0, v1
                                        ; implicit-def: $vgpr0
; %bb.367:
	s_wait_alu 0xfffe
	s_and_not1_saveexec_b32 s0, s0
	s_cbranch_execz .LBB0_369
; %bb.368:
	v_mul_lo_u32 v0, v0, s7
	v_mul_lo_u32 v1, v32, s27
	s_delay_alu instid0(VALU_DEP_1) | instskip(NEXT) | instid1(VALU_DEP_1)
	v_add3_u32 v0, v1, v48, v0
	v_ashrrev_i32_e32 v1, 31, v0
	s_delay_alu instid0(VALU_DEP_1) | instskip(NEXT) | instid1(VALU_DEP_1)
	v_lshlrev_b64_e32 v[0:1], 3, v[0:1]
	v_add_co_u32 v0, vcc_lo, s8, v0
	s_wait_alu 0xfffd
	s_delay_alu instid0(VALU_DEP_2) | instskip(SKIP_4) | instid1(VALU_DEP_1)
	v_add_co_ci_u32_e64 v1, null, s9, v1, vcc_lo
	global_load_b64 v[0:1], v[0:1], off
	s_wait_loadcnt 0x0
	v_cvt_f16_f32_e32 v0, v0
	v_cvt_f16_f32_e32 v1, v1
	v_pack_b32_f16 v0, v0, v1
	v_mad_u32_u24 v1, 0x90, v86, v88
	s_delay_alu instid0(VALU_DEP_2)
	v_pk_mul_f16 v0, v0, s18
	ds_store_b32 v1, v0
.LBB0_369:
	s_wait_alu 0xfffe
	s_or_b32 exec_lo, exec_lo, s0
	v_lshrrev_b32_e32 v0, 1, v84
	s_delay_alu instid0(VALU_DEP_1) | instskip(NEXT) | instid1(VALU_DEP_1)
	v_add_nc_u32_e32 v0, s6, v0
	v_cmp_le_i32_e32 vcc_lo, s24, v0
	s_or_b32 s0, vcc_lo, s3
	;; [unrolled: 42-line block ×11, first 2 shown]
	s_wait_alu 0xfffe
	s_and_saveexec_b32 s1, s0
	s_wait_alu 0xfffe
	s_xor_b32 s0, exec_lo, s1
; %bb.406:
	v_mad_u32_u24 v0, 0x90, v244, v88
	v_mov_b32_e32 v1, 0
	ds_store_b32 v0, v1
                                        ; implicit-def: $vgpr0
; %bb.407:
	s_wait_alu 0xfffe
	s_or_saveexec_b32 s1, s0
	s_mul_f32 s0, s16, 0x4f7ffffe
	s_wait_alu 0xfffe
	s_xor_b32 exec_lo, exec_lo, s1
	s_cbranch_execz .LBB0_409
; %bb.408:
	v_mul_lo_u32 v0, v0, s7
	v_mul_lo_u32 v1, v32, s27
	s_delay_alu instid0(VALU_DEP_1) | instskip(NEXT) | instid1(VALU_DEP_1)
	v_add3_u32 v0, v1, v48, v0
	v_ashrrev_i32_e32 v1, 31, v0
	s_delay_alu instid0(VALU_DEP_1) | instskip(NEXT) | instid1(VALU_DEP_1)
	v_lshlrev_b64_e32 v[0:1], 3, v[0:1]
	v_add_co_u32 v0, vcc_lo, s8, v0
	s_wait_alu 0xfffd
	s_delay_alu instid0(VALU_DEP_2) | instskip(SKIP_4) | instid1(VALU_DEP_1)
	v_add_co_ci_u32_e64 v1, null, s9, v1, vcc_lo
	global_load_b64 v[0:1], v[0:1], off
	s_wait_loadcnt 0x0
	v_cvt_f16_f32_e32 v0, v0
	v_cvt_f16_f32_e32 v1, v1
	v_pack_b32_f16 v0, v0, v1
	v_mad_u32_u24 v1, 0x90, v244, v88
	s_delay_alu instid0(VALU_DEP_2)
	v_pk_mul_f16 v0, v0, s18
	ds_store_b32 v1, v0
.LBB0_409:
	s_or_b32 exec_lo, exec_lo, s1
	v_lshrrev_b32_e32 v0, 1, v243
	s_cvt_u32_f32 s0, s0
	s_sub_co_i32 s1, 0, s21
	s_delay_alu instid0(VALU_DEP_1) | instskip(NEXT) | instid1(VALU_DEP_1)
	v_add_nc_u32_e32 v0, s6, v0
	v_cmp_le_i32_e32 vcc_lo, s24, v0
	s_or_b32 s16, vcc_lo, s3
	s_wait_alu 0xfffe
	s_and_saveexec_b32 s19, s16
	s_wait_alu 0xfffe
	s_xor_b32 s16, exec_lo, s19
; %bb.410:
	v_mad_u32_u24 v0, 0x90, v243, v88
	v_mov_b32_e32 v1, 0
	ds_store_b32 v0, v1
                                        ; implicit-def: $vgpr0
; %bb.411:
	s_wait_alu 0xfffe
	s_or_saveexec_b32 s16, s16
	s_mul_i32 s1, s1, s0
	s_wait_alu 0xfffe
	s_xor_b32 exec_lo, exec_lo, s16
	s_cbranch_execz .LBB0_413
; %bb.412:
	v_mul_lo_u32 v0, v0, s7
	v_mul_lo_u32 v1, v32, s27
	s_delay_alu instid0(VALU_DEP_1) | instskip(NEXT) | instid1(VALU_DEP_1)
	v_add3_u32 v0, v1, v48, v0
	v_ashrrev_i32_e32 v1, 31, v0
	s_delay_alu instid0(VALU_DEP_1) | instskip(NEXT) | instid1(VALU_DEP_1)
	v_lshlrev_b64_e32 v[0:1], 3, v[0:1]
	v_add_co_u32 v0, vcc_lo, s8, v0
	s_wait_alu 0xfffd
	s_delay_alu instid0(VALU_DEP_2) | instskip(SKIP_4) | instid1(VALU_DEP_1)
	v_add_co_ci_u32_e64 v1, null, s9, v1, vcc_lo
	global_load_b64 v[0:1], v[0:1], off
	s_wait_loadcnt 0x0
	v_cvt_f16_f32_e32 v0, v0
	v_cvt_f16_f32_e32 v1, v1
	v_pack_b32_f16 v0, v0, v1
	v_mad_u32_u24 v1, 0x90, v243, v88
	s_delay_alu instid0(VALU_DEP_2)
	v_pk_mul_f16 v0, v0, s18
	ds_store_b32 v1, v0
.LBB0_413:
	s_or_b32 exec_lo, exec_lo, s16
	v_lshrrev_b32_e32 v0, 1, v242
	s_mul_hi_u32 s19, s0, s1
	s_delay_alu instid0(VALU_DEP_1) | instskip(NEXT) | instid1(VALU_DEP_1)
	v_add_nc_u32_e32 v0, s6, v0
	v_cmp_le_i32_e32 vcc_lo, s24, v0
	s_or_b32 s1, vcc_lo, s3
	s_wait_alu 0xfffe
	s_and_saveexec_b32 s16, s1
	s_wait_alu 0xfffe
	s_xor_b32 s1, exec_lo, s16
; %bb.414:
	v_mad_u32_u24 v0, 0x90, v242, v88
	v_mov_b32_e32 v1, 0
	ds_store_b32 v0, v1
                                        ; implicit-def: $vgpr0
; %bb.415:
	s_wait_alu 0xfffe
	s_or_saveexec_b32 s1, s1
	s_abs_i32 s16, s2
	s_add_co_i32 s0, s0, s19
	s_wait_alu 0xfffe
	s_xor_b32 exec_lo, exec_lo, s1
	s_cbranch_execz .LBB0_417
; %bb.416:
	v_mul_lo_u32 v0, v0, s7
	v_mul_lo_u32 v1, v32, s27
	s_delay_alu instid0(VALU_DEP_1) | instskip(NEXT) | instid1(VALU_DEP_1)
	v_add3_u32 v0, v1, v48, v0
	v_ashrrev_i32_e32 v1, 31, v0
	s_delay_alu instid0(VALU_DEP_1) | instskip(NEXT) | instid1(VALU_DEP_1)
	v_lshlrev_b64_e32 v[0:1], 3, v[0:1]
	v_add_co_u32 v0, vcc_lo, s8, v0
	s_wait_alu 0xfffd
	s_delay_alu instid0(VALU_DEP_2) | instskip(SKIP_4) | instid1(VALU_DEP_1)
	v_add_co_ci_u32_e64 v1, null, s9, v1, vcc_lo
	global_load_b64 v[0:1], v[0:1], off
	s_wait_loadcnt 0x0
	v_cvt_f16_f32_e32 v0, v0
	v_cvt_f16_f32_e32 v1, v1
	v_pack_b32_f16 v0, v0, v1
	v_mad_u32_u24 v1, 0x90, v242, v88
	s_delay_alu instid0(VALU_DEP_2)
	v_pk_mul_f16 v0, v0, s18
	ds_store_b32 v1, v0
.LBB0_417:
	s_or_b32 exec_lo, exec_lo, s1
	v_lshrrev_b32_e32 v0, 1, v241
	s_mov_b32 s1, s17
	s_delay_alu instid0(VALU_DEP_1) | instskip(NEXT) | instid1(VALU_DEP_1)
	v_add_nc_u32_e32 v0, s6, v0
	v_cmp_le_i32_e32 vcc_lo, s24, v0
	s_or_b32 s3, vcc_lo, s3
	s_wait_alu 0xfffe
	s_and_saveexec_b32 s19, s3
	s_wait_alu 0xfffe
	s_xor_b32 s3, exec_lo, s19
; %bb.418:
	v_mad_u32_u24 v0, 0x90, v241, v88
	v_mov_b32_e32 v1, 0
                                        ; implicit-def: $vgpr32
	ds_store_b32 v0, v1
                                        ; implicit-def: $vgpr0
; %bb.419:
	s_wait_alu 0xfffe
	s_or_saveexec_b32 s19, s3
	s_mul_u64 s[0:1], s[16:17], s[0:1]
	s_ashr_i32 s3, s2, 31
	s_wait_alu 0xfffe
	s_xor_b32 exec_lo, exec_lo, s19
	s_cbranch_execz .LBB0_421
; %bb.420:
	v_mul_lo_u32 v0, v0, s7
	v_mul_lo_u32 v1, v32, s27
	s_delay_alu instid0(VALU_DEP_1) | instskip(NEXT) | instid1(VALU_DEP_1)
	v_add3_u32 v0, v1, v48, v0
	v_ashrrev_i32_e32 v1, 31, v0
	s_delay_alu instid0(VALU_DEP_1) | instskip(NEXT) | instid1(VALU_DEP_1)
	v_lshlrev_b64_e32 v[0:1], 3, v[0:1]
	v_add_co_u32 v0, vcc_lo, s8, v0
	s_wait_alu 0xfffd
	s_delay_alu instid0(VALU_DEP_2) | instskip(SKIP_4) | instid1(VALU_DEP_1)
	v_add_co_ci_u32_e64 v1, null, s9, v1, vcc_lo
	global_load_b64 v[0:1], v[0:1], off
	s_wait_loadcnt 0x0
	v_cvt_f16_f32_e32 v0, v0
	v_cvt_f16_f32_e32 v1, v1
	v_pack_b32_f16 v0, v0, v1
	v_mad_u32_u24 v1, 0x90, v241, v88
	s_delay_alu instid0(VALU_DEP_2)
	v_pk_mul_f16 v0, v0, s18
	ds_store_b32 v1, v0
.LBB0_421:
	s_or_b32 exec_lo, exec_lo, s19
	v_lshrrev_b32_e32 v16, 2, v48
	v_dual_mov_b32 v92, 0 :: v_dual_and_b32 v89, 15, v48
	v_mad_u32_u24 v1, 0x900, v85, 0
	s_mul_i32 s1, s1, s21
	s_delay_alu instid0(VALU_DEP_3) | instskip(NEXT) | instid1(VALU_DEP_3)
	v_and_b32_e32 v0, 0xfc, v16
	v_mul_u32_u24_e32 v124, 0x90, v89
	s_mul_i32 s0, s20, s45
	s_wait_alu 0xfffe
	s_sub_co_i32 s7, s16, s1
	s_ashr_i32 s1, s0, 31
	v_lshlrev_b32_e32 v125, 2, v0
	s_wait_alu 0xfffe
	s_sub_co_i32 s8, s7, s21
	s_cmp_ge_u32 s7, s21
	s_wait_storecnt 0x0
	s_wait_loadcnt_dscnt 0x0
	s_wait_alu 0xfffe
	s_cselect_b32 s7, s8, s7
	v_add3_u32 v0, v1, v124, v125
	s_barrier_signal -1
	s_barrier_wait -1
	global_inv scope:SCOPE_SE
	s_wait_alu 0xfffe
	s_sub_co_i32 s8, s7, s21
	ds_load_b128 v[12:15], v0
	ds_load_b128 v[8:11], v0 offset:32
	ds_load_b128 v[4:7], v0 offset:64
	;; [unrolled: 1-line block ×3, first 2 shown]
	s_cmp_ge_u32 s7, s21
	s_mul_u64 s[16:17], s[28:29], s[2:3]
	s_wait_alu 0xfffe
	s_cselect_b32 s7, s8, s7
	s_add_nc_u64 s[10:11], s[10:11], s[16:17]
	s_wait_alu 0xfffe
	s_xor_b32 s7, s7, s3
	v_readlane_b32 s16, v255, 5
	v_readlane_b32 s17, v255, 6
	s_wait_alu 0xfffe
	s_sub_co_i32 s8, s7, s3
	v_add_nc_u32_e32 v129, -1, v17
	s_wait_alu 0xfffe
	s_ashr_i32 s9, s8, 31
	v_lshlrev_b32_e32 v17, 1, v48
	s_wait_alu 0xfffe
	s_mul_u64 s[8:9], s[16:17], s[8:9]
	v_readlane_b32 s16, v255, 3
	v_readlane_b32 s17, v255, 4
	v_cmp_lt_i32_e32 vcc_lo, s95, v129
	s_movk_i32 s7, 0x90
	s_mov_b32 s18, -1
	s_wait_loadcnt_dscnt 0x0
	s_mul_u64 s[16:17], s[16:17], s[2:3]
	s_mul_i32 s2, s20, s31
	s_wait_alu 0xfffe
	s_add_nc_u64 s[16:17], s[12:13], s[16:17]
	s_ashr_i32 s3, s2, 31
	s_barrier_signal -1
	s_barrier_wait -1
	global_inv scope:SCOPE_SE
	s_cbranch_vccnz .LBB0_425
; %bb.422:
	s_ashr_i32 s35, s34, 31
	v_add_nc_u32_e32 v18, s6, v85
	s_wait_alu 0xfffe
	v_dual_mov_b32 v68, s35 :: v_dual_add_nc_u32 v27, s6, v81
	v_mov_b32_e32 v67, s34
	v_dual_mov_b32 v58, 0 :: v_dual_add_nc_u32 v19, s6, v87
	v_mul_hi_u32 v21, s36, v18
	s_ashr_i32 s27, s26, 31
	v_add_nc_u32_e32 v20, s6, v86
	s_delay_alu instid0(VALU_DEP_3)
	v_mul_hi_u32 v22, s36, v19
	v_add_nc_u32_e32 v24, s6, v84
	v_dual_mov_b32 v126, 32 :: v_dual_add_nc_u32 v25, s6, v83
	s_wait_alu 0xfffe
	v_dual_mov_b32 v70, s27 :: v_dual_add_nc_u32 v21, v18, v21
	v_mov_b32_e32 v69, s26
	v_mul_hi_u32 v23, s36, v20
	v_add_nc_u32_e32 v22, v19, v22
	v_mul_hi_u32 v28, s36, v24
	v_lshrrev_b32_e32 v21, s37, v21
	v_mul_hi_u32 v29, s36, v25
	v_add_nc_u32_e32 v26, s6, v82
	v_lshrrev_b32_e32 v22, s37, v22
	v_lshlrev_b32_e32 v90, 4, v85
	v_add_nc_u32_e32 v23, v20, v23
	v_mul_lo_u32 v21, v21, s24
	v_add_nc_u32_e32 v28, v24, v28
	v_mul_lo_u32 v22, v22, s24
	v_add_nc_u32_e32 v29, v25, v29
	v_lshrrev_b32_e32 v23, s37, v23
	v_mul_hi_u32 v30, s36, v26
	s_movk_i32 s12, 0x240
	v_mad_u32_u24 v102, v85, s7, 0x900
	v_sub_nc_u32_e32 v18, v18, v21
	v_mul_lo_u32 v23, v23, s24
	v_lshrrev_b32_e32 v21, s37, v28
	v_sub_nc_u32_e32 v19, v19, v22
	s_wait_alu 0xfffe
	v_mad_u32_u24 v98, 0x90, v85, s12
	v_mad_co_i64_i32 v[34:35], null, v18, s38, 0
	v_mul_lo_u32 v18, v21, s24
	v_mul_hi_u32 v21, s36, v27
	v_sub_nc_u32_e32 v20, v20, v23
	v_mad_co_i64_i32 v[32:33], null, v19, s38, 0
	v_lshrrev_b32_e32 v19, s37, v29
	v_add_nc_u32_e32 v22, v26, v30
	s_delay_alu instid0(VALU_DEP_4)
	v_mad_co_i64_i32 v[36:37], null, v20, s38, 0
	v_add_nc_u32_e32 v20, s6, v80
	v_add_nc_u32_e32 v21, v27, v21
	v_mul_lo_u32 v19, v19, s24
	v_sub_nc_u32_e32 v18, v24, v18
	v_lshrrev_b32_e32 v22, s37, v22
	v_mul_hi_u32 v23, s36, v20
	v_lshrrev_b32_e32 v21, s37, v21
	s_movk_i32 s12, 0x6c0
	v_mad_co_i64_i32 v[40:41], null, v18, s38, 0
	v_sub_nc_u32_e32 v18, v25, v19
	s_delay_alu instid0(VALU_DEP_3)
	v_mul_lo_u32 v19, v21, s24
	v_mul_lo_u32 v22, v22, s24
	v_add_nc_u32_e32 v21, v20, v23
	s_wait_alu 0xfffe
	v_mad_u32_u24 v101, 0x90, v85, s12
	v_mad_co_i64_i32 v[42:43], null, v18, s38, 0
	s_movk_i32 s12, 0xb40
	v_lshrrev_b32_e32 v21, s37, v21
	v_sub_nc_u32_e32 v19, v27, v19
	v_sub_nc_u32_e32 v18, v26, v22
	v_lshrrev_b32_e32 v22, 3, v48
	s_wait_alu 0xfffe
	v_mad_u32_u24 v103, 0x90, v85, s12
	v_mul_lo_u32 v21, v21, s24
	v_mad_co_i64_i32 v[44:45], null, v19, s38, 0
	v_mad_co_i64_i32 v[38:39], null, v18, s38, 0
	v_lshl_add_u32 v18, v85, 2, v22
	s_movk_i32 s12, 0xd80
	v_mbcnt_lo_u32_b32 v127, -1, 0
	v_sub_nc_u32_e32 v19, v20, v21
	v_lshlrev_b32_e32 v20, 2, v48
	v_mul_lo_u32 v46, s26, v18
	v_mul_lo_u32 v49, s34, v18
	v_mad_u32_u24 v107, v18, s7, 0x900
	v_mad_co_i64_i32 v[61:62], null, v19, s38, 0
	v_and_b32_e32 v57, 28, v20
	v_and_or_b32 v19, v48, 14, v90
	v_lshrrev_b32_e32 v20, 1, v48
	s_movk_i32 s7, 0x1200
	s_wait_alu 0xfffe
	v_mad_u32_u24 v104, 0x90, v85, s12
	s_movk_i32 s12, 0xfc0
	v_lshrrev_b32_e32 v19, 1, v19
	v_and_b32_e32 v91, 0x1f8, v20
	v_mad_u32_u24 v108, 0x90, v18, s7
	s_movk_i32 s7, 0x1b00
	s_wait_alu 0xfffe
	v_mad_u32_u24 v105, 0x90, v85, s12
	v_mul_u32_u24_e32 v130, 0x90, v19
	v_add_nc_u32_e32 v19, 16, v91
	v_add_nc_u32_e32 v20, 18, v91
	s_lshl_b32 s12, s26, 4
	v_mad_u32_u24 v109, 0x90, v18, s7
	s_lshl_b32 s7, s34, 4
	v_lshrrev_b32_e32 v112, 1, v19
	v_add_nc_u32_e32 v19, 32, v91
	v_mul_u32_u24_e32 v106, 0x90, v18
	s_wait_alu 0xfffe
	v_add_nc_u32_e32 v59, s12, v46
	v_lshrrev_b32_e32 v113, 1, v20
	v_add_nc_u32_e32 v20, 34, v91
	v_lshrrev_b32_e32 v116, 1, v19
	v_add_nc_u32_e32 v19, 38, v91
	v_add_nc_u32_e32 v18, 50, v91
	;; [unrolled: 1-line block ×6, first 2 shown]
	v_lshrrev_b32_e32 v117, 1, v20
	v_lshrrev_b32_e32 v119, 1, v19
	v_add_nc_u32_e32 v19, 52, v91
	v_add_nc_u32_e32 v20, 54, v91
	v_lshrrev_b32_e32 v121, 1, v18
	v_add_nc_u32_e32 v53, s7, v51
	v_lshlrev_b32_e32 v18, 1, v16
	v_add_nc_u32_e32 v65, s12, v63
	v_lshrrev_b32_e32 v114, 1, v21
	v_lshrrev_b32_e32 v115, 1, v22
	v_add_nc_u32_e32 v21, 36, v91
	v_add_nc_u32_e32 v22, 48, v91
	v_lshrrev_b32_e32 v122, 1, v19
	v_lshrrev_b32_e32 v123, 1, v20
	v_add_nc_u32_e32 v55, s7, v53
	v_and_b32_e32 v19, 0x1f8, v18
	v_or_b32_e32 v20, 6, v18
	v_or_b32_e32 v18, 7, v18
	s_movk_i32 s13, 0x480
	v_mul_u32_u24_e32 v97, 0x90, v85
	s_wait_alu 0xfffe
	v_mad_u32_u24 v99, 0x90, v85, s13
	v_ashrrev_i32_e32 v47, 31, v46
	v_ashrrev_i32_e32 v60, 31, v59
	;; [unrolled: 1-line block ×4, first 2 shown]
	v_lshrrev_b32_e32 v110, 1, v91
	v_or_b32_e32 v111, 3, v16
	v_lshrrev_b32_e32 v118, 1, v21
	v_lshrrev_b32_e32 v120, 1, v22
	v_xor_b32_e32 v128, 16, v127
	v_ashrrev_i32_e32 v50, 31, v49
	v_ashrrev_i32_e32 v52, 31, v51
	;; [unrolled: 1-line block ×4, first 2 shown]
	v_mul_u32_u24_e32 v96, 0x90, v19
	v_mul_u32_u24_e32 v94, 0x90, v20
	;; [unrolled: 1-line block ×3, first 2 shown]
	s_mov_b32 s18, 0
	s_branch .LBB0_426
.LBB0_423:
                                        ; implicit-def: $sgpr48_sgpr49
	s_load_b64 s[46:47], s[58:59], 0x74
	v_cvt_f32_u32_e32 v1, s22
	s_branch .LBB0_2
.LBB0_424:
                                        ; implicit-def: $sgpr54_sgpr55
	s_load_b64 s[36:37], s[58:59], 0x5c
	s_branch .LBB0_5
.LBB0_425:
                                        ; implicit-def: $vgpr97
                                        ; implicit-def: $vgpr34_vgpr35
                                        ; implicit-def: $vgpr98
                                        ; implicit-def: $vgpr32_vgpr33
                                        ; implicit-def: $vgpr99
                                        ; implicit-def: $vgpr36_vgpr37
                                        ; implicit-def: $vgpr101
                                        ; implicit-def: $vgpr40_vgpr41
                                        ; implicit-def: $vgpr102
                                        ; implicit-def: $vgpr42_vgpr43
                                        ; implicit-def: $vgpr103
                                        ; implicit-def: $vgpr38_vgpr39
                                        ; implicit-def: $vgpr104
                                        ; implicit-def: $vgpr44_vgpr45
                                        ; implicit-def: $vgpr105
                                        ; implicit-def: $vgpr61_vgpr62
                                        ; implicit-def: $vgpr69_vgpr70
                                        ; implicit-def: $vgpr106
                                        ; implicit-def: $vgpr57
                                        ; implicit-def: $vgpr46_vgpr47
                                        ; implicit-def: $vgpr107
                                        ; implicit-def: $vgpr59_vgpr60
                                        ; implicit-def: $vgpr108
                                        ; implicit-def: $vgpr63_vgpr64
                                        ; implicit-def: $vgpr109
                                        ; implicit-def: $vgpr65_vgpr66
                                        ; implicit-def: $vgpr91
                                        ; implicit-def: $vgpr90
                                        ; implicit-def: $vgpr130
                                        ; implicit-def: $vgpr110
                                        ; implicit-def: $vgpr111
                                        ; implicit-def: $vgpr112
                                        ; implicit-def: $vgpr113
                                        ; implicit-def: $vgpr114
                                        ; implicit-def: $vgpr115
                                        ; implicit-def: $vgpr116
                                        ; implicit-def: $vgpr117
                                        ; implicit-def: $vgpr118
                                        ; implicit-def: $vgpr119
                                        ; implicit-def: $vgpr120
                                        ; implicit-def: $vgpr121
                                        ; implicit-def: $vgpr122
                                        ; implicit-def: $vgpr123
                                        ; implicit-def: $vgpr127
                                        ; implicit-def: $vgpr128
                                        ; implicit-def: $vgpr126
                                        ; implicit-def: $vgpr67_vgpr68
                                        ; implicit-def: $vgpr49_vgpr50
                                        ; implicit-def: $vgpr51_vgpr52
                                        ; implicit-def: $vgpr53_vgpr54
                                        ; implicit-def: $vgpr55_vgpr56
                                        ; implicit-def: $vgpr96
                                        ; implicit-def: $vgpr94
                                        ; implicit-def: $vgpr95
.LBB0_426:
	v_lshlrev_b32_e32 v131, 1, v17
	v_lshlrev_b32_e32 v93, 2, v89
	s_add_nc_u64 s[10:11], s[10:11], s[0:1]
	s_add_nc_u64 s[12:13], s[14:15], s[8:9]
	s_wait_alu 0xfffe
	s_and_not1_b32 vcc_lo, exec_lo, s18
	s_add_nc_u64 s[8:9], s[16:17], s[2:3]
	s_wait_alu 0xfffe
	s_cbranch_vccnz .LBB0_430
; %bb.427:
	v_dual_mov_b32 v58, 0 :: v_dual_add_nc_u32 v17, s6, v85
	v_add_nc_u32_e32 v18, s6, v87
	v_mbcnt_lo_u32_b32 v127, -1, 0
	v_add_nc_u32_e32 v20, s6, v86
	s_delay_alu instid0(VALU_DEP_4)
	v_mul_hi_u32 v19, s36, v17
	v_mov_b32_e32 v29, v58
	v_mul_hi_u32 v21, s36, v18
	v_xor_b32_e32 v128, 16, v127
	v_mov_b32_e32 v31, v58
	v_mul_hi_u32 v22, s36, v20
	v_dual_mov_b32 v92, v58 :: v_dual_add_nc_u32 v23, s6, v84
	s_delay_alu instid0(VALU_DEP_4) | instskip(SKIP_2) | instid1(VALU_DEP_4)
	v_cmp_gt_i32_e32 vcc_lo, 32, v128
	v_add_nc_u32_e32 v19, v17, v19
	v_dual_mov_b32 v100, 0xfeffffff :: v_dual_add_nc_u32 v21, v18, v21
	v_mul_hi_u32 v25, s36, v23
	v_add_nc_u32_e32 v22, v20, v22
	s_delay_alu instid0(VALU_DEP_4) | instskip(NEXT) | instid1(VALU_DEP_4)
	v_lshrrev_b32_e32 v19, s37, v19
	v_lshrrev_b32_e32 v21, s37, v21
	v_add_nc_u32_e32 v24, s6, v83
	v_add_nc_u32_e32 v26, s6, v82
	v_lshrrev_b32_e32 v22, s37, v22
	v_mul_lo_u32 v19, v19, s24
	v_mul_lo_u32 v21, v21, s24
	v_add_nc_u32_e32 v25, v23, v25
	v_mul_hi_u32 v27, s36, v24
	v_mul_hi_u32 v28, s36, v26
	v_add_co_u32 v68, s0, s12, v131
	s_wait_alu 0xf1ff
	v_add_co_ci_u32_e64 v69, null, s13, 0, s0
	v_sub_nc_u32_e32 v17, v17, v19
	v_mul_lo_u32 v19, v22, s24
	v_sub_nc_u32_e32 v18, v18, v21
	v_lshrrev_b32_e32 v21, s37, v25
	v_add_nc_u32_e32 v22, s6, v80
	v_mad_co_i64_i32 v[34:35], null, v17, s38, 0
	s_delay_alu instid0(VALU_DEP_4)
	v_mad_co_i64_i32 v[32:33], null, v18, s38, 0
	v_sub_nc_u32_e32 v17, v20, v19
	v_mul_lo_u32 v18, v21, s24
	v_dual_mov_b32 v30, v58 :: v_dual_add_nc_u32 v19, v24, v27
	v_add_nc_u32_e32 v20, s6, v81
	v_add_nc_u32_e32 v21, v26, v28
	v_mad_co_i64_i32 v[36:37], null, v17, s38, 0
	s_delay_alu instid0(VALU_DEP_4) | instskip(NEXT) | instid1(VALU_DEP_4)
	v_lshrrev_b32_e32 v17, s37, v19
	v_mul_hi_u32 v19, s36, v20
	s_delay_alu instid0(VALU_DEP_4)
	v_lshrrev_b32_e32 v21, s37, v21
	v_sub_nc_u32_e32 v18, v23, v18
	s_movk_i32 s0, 0x240
	v_mul_lo_u32 v17, v17, s24
	s_wait_alu 0xfffe
	v_mad_u32_u24 v98, 0x90, v85, s0
	v_mul_lo_u32 v21, v21, s24
	v_mad_co_i64_i32 v[40:41], null, v18, s38, 0
	v_add_nc_u32_e32 v19, v20, v19
	v_mul_hi_u32 v18, s36, v22
	s_movk_i32 s0, 0x480
	v_sub_nc_u32_e32 v17, v24, v17
	s_wait_alu 0xfffe
	v_mad_u32_u24 v99, 0x90, v85, s0
	v_lshrrev_b32_e32 v19, s37, v19
	v_sub_nc_u32_e32 v21, v26, v21
	v_mov_b32_e32 v26, v58
	v_mad_co_i64_i32 v[42:43], null, v17, s38, 0
	v_add_nc_u32_e32 v18, v22, v18
	v_mul_lo_u32 v19, v19, s24
	v_mad_co_i64_i32 v[38:39], null, v21, s38, 0
	v_lshlrev_b32_e32 v21, 2, v48
	s_delay_alu instid0(VALU_DEP_4)
	v_lshrrev_b32_e32 v17, s37, v18
	v_lshrrev_b32_e32 v18, 3, v48
	s_movk_i32 s0, 0x6c0
	v_lshlrev_b32_e32 v90, 4, v85
	v_sub_nc_u32_e32 v19, v20, v19
	v_and_b32_e32 v57, 28, v21
	v_lshl_add_u32 v18, v85, 2, v18
	v_mul_lo_u32 v17, v17, s24
	s_wait_alu 0xfffe
	v_mad_u32_u24 v101, 0x90, v85, s0
	v_mad_co_i64_i32 v[44:45], null, v19, s38, 0
	v_mul_u32_u24_e32 v106, 0x90, v18
	v_lshlrev_b32_e32 v19, 2, v57
	s_movk_i32 s0, 0x900
	s_movk_i32 s1, 0xb40
	v_sub_nc_u32_e32 v17, v22, v17
	s_wait_alu 0xfffe
	v_mad_u32_u24 v102, 0x90, v85, s0
	v_add3_u32 v70, 0, v106, v19
	v_lshrrev_b32_e32 v19, 1, v48
	v_mad_u32_u24 v107, 0x90, v18, s0
	s_movk_i32 s0, 0x1200
	v_mul_lo_u32 v46, s26, v18
	v_mul_lo_u32 v49, s34, v18
	v_and_b32_e32 v91, 0x1f8, v19
	s_wait_alu 0xfffe
	v_mad_u32_u24 v108, 0x90, v18, s0
	s_movk_i32 s0, 0x1b00
	v_mad_u32_u24 v103, 0x90, v85, s1
	s_movk_i32 s1, 0xd80
	v_add_nc_u32_e32 v24, 38, v91
	v_mad_co_i64_i32 v[61:62], null, v17, s38, 0
	v_and_or_b32 v17, v48, 14, v90
	s_wait_alu 0xfffe
	v_mad_u32_u24 v109, 0x90, v18, s0
	v_lshrrev_b32_e32 v119, 1, v24
	v_add_nc_u32_e32 v24, 50, v91
	v_or_b32_e32 v111, 3, v16
	v_add_nc_u32_e32 v22, 22, v91
	v_add_nc_u32_e32 v18, 54, v91
	v_lshlrev_b32_e32 v16, 1, v16
	v_lshrrev_b32_e32 v121, 1, v24
	s_wait_alu 0xfffd
	v_cndmask_b32_e32 v24, v127, v128, vcc_lo
	v_mad_u32_u24 v104, 0x90, v85, s1
	s_movk_i32 s1, 0xfc0
	s_lshl_b32 s0, s34, 4
	s_wait_alu 0xfffe
	v_mad_u32_u24 v105, 0x90, v85, s1
	s_lshl_b32 s1, s26, 4
	v_lshrrev_b32_e32 v17, 1, v17
	s_wait_alu 0xfffe
	v_add_nc_u32_e32 v59, s1, v46
	v_add_nc_u32_e32 v20, 18, v91
	v_lshrrev_b32_e32 v115, 1, v22
	v_add_nc_u32_e32 v22, 34, v91
	v_add_nc_u32_e32 v51, s0, v49
	v_lshrrev_b32_e32 v123, 1, v18
	v_lshlrev_b32_e32 v138, 2, v24
	v_and_b32_e32 v18, 0x1f8, v16
	v_or_b32_e32 v24, 6, v16
	v_or_b32_e32 v16, 7, v16
	v_mad_u32_u24 v19, 0x90, v17, 0
	v_mul_u32_u24_e32 v130, 0x90, v17
	v_add_nc_u32_e32 v17, 16, v91
	v_add_nc_u32_e32 v21, 20, v91
	v_lshrrev_b32_e32 v113, 1, v20
	v_add_nc_u32_e32 v20, 32, v91
	v_add_nc_u32_e32 v23, 36, v91
	v_lshrrev_b32_e32 v117, 1, v22
	v_add_nc_u32_e32 v22, 48, v91
	v_add_nc_u32_e32 v25, 52, v91
	;; [unrolled: 1-line block ×3, first 2 shown]
	v_mul_u32_u24_e32 v95, 0x90, v16
	v_dual_mov_b32 v16, v58 :: v_dual_add_nc_u32 v63, s1, v59
	v_lshl_add_u32 v136, v91, 1, v19
	v_lshl_add_u32 v137, v111, 2, v19
	v_lshrrev_b32_e32 v112, 1, v17
	v_lshl_add_u32 v17, v17, 1, v19
	v_lshrrev_b32_e32 v114, 1, v21
	;; [unrolled: 2-line block ×5, first 2 shown]
	v_lshl_add_u32 v22, v22, 1, v19
	v_lshl_add_u32 v19, v25, 1, v19
	v_add_nc_u32_e32 v55, s0, v53
	v_mul_u32_u24_e32 v96, 0x90, v18
	v_mul_u32_u24_e32 v94, 0x90, v24
	v_dual_mov_b32 v18, v58 :: v_dual_add_nc_u32 v65, s1, v63
	v_dual_mov_b32 v126, 32 :: v_dual_add_nc_u32 v67, 0, v131
	v_mul_u32_u24_e32 v97, 0x90, v85
	v_ashrrev_i32_e32 v47, 31, v46
	v_add_nc_u32_e32 v132, 0x900, v70
	v_ashrrev_i32_e32 v60, 31, v59
	v_add_nc_u32_e32 v133, 0x1200, v70
	;; [unrolled: 2-line block ×3, first 2 shown]
	v_ashrrev_i32_e32 v66, 31, v65
	v_add3_u32 v135, 0, v124, v125
	v_lshrrev_b32_e32 v110, 1, v91
	v_lshrrev_b32_e32 v122, 1, v25
	v_ashrrev_i32_e32 v50, 31, v49
	v_ashrrev_i32_e32 v52, 31, v51
	;; [unrolled: 1-line block ×4, first 2 shown]
	v_add3_u32 v139, 0, v96, v93
	v_add3_u32 v140, 0, v94, v93
	;; [unrolled: 1-line block ×3, first 2 shown]
	v_add_nc_u32_e32 v143, 0x2400, v17
	v_add_nc_u32_e32 v144, 0x2400, v21
	;; [unrolled: 1-line block ×6, first 2 shown]
	v_mov_b32_e32 v28, v58
	v_dual_mov_b32 v24, v58 :: v_dual_mov_b32 v25, v58
	v_dual_mov_b32 v27, v58 :: v_dual_mov_b32 v20, v58
	v_dual_mov_b32 v21, v58 :: v_dual_lshlrev_b32 v142, 2, v57
	v_dual_mov_b32 v22, v58 :: v_dual_mov_b32 v23, v58
	v_mov_b32_e32 v17, v58
	v_mov_b32_e32 v19, v58
	s_ashr_i32 s27, s26, 31
	s_ashr_i32 s35, s34, 31
	s_lshl_b32 s14, s95, 6
.LBB0_428:                              ; =>This Inner Loop Header: Depth=1
	s_delay_alu instid0(SALU_CYCLE_1)
	s_ashr_i32 s15, s14, 31
	v_lshlrev_b64_e32 v[72:73], 1, v[34:35]
	s_lshl_b64 s[0:1], s[14:15], 1
	v_lshlrev_b64_e32 v[74:75], 1, v[32:33]
	s_wait_alu 0xfffe
	v_add_co_u32 v157, vcc_lo, v68, s0
	s_wait_alu 0xfffd
	v_add_co_ci_u32_e64 v158, null, s1, v69, vcc_lo
	v_lshlrev_b64_e32 v[76:77], 1, v[36:37]
	s_delay_alu instid0(VALU_DEP_3)
	v_add_co_u32 v72, vcc_lo, v157, v72
	v_lshlrev_b64_e32 v[78:79], 1, v[40:41]
	s_wait_alu 0xfffd
	v_add_co_ci_u32_e64 v73, null, v158, v73, vcc_lo
	v_add_co_u32 v74, vcc_lo, v157, v74
	v_lshlrev_b64_e32 v[149:150], 1, v[42:43]
	s_wait_alu 0xfffd
	v_add_co_ci_u32_e64 v75, null, v158, v75, vcc_lo
	;; [unrolled: 4-line block ×5, first 2 shown]
	v_add_co_u32 v151, vcc_lo, v157, v151
	s_wait_alu 0xfffd
	v_add_co_ci_u32_e64 v152, null, v158, v152, vcc_lo
	v_add_co_u32 v153, vcc_lo, v157, v153
	s_wait_alu 0xfffd
	v_add_co_ci_u32_e64 v154, null, v158, v154, vcc_lo
	;; [unrolled: 3-line block ×3, first 2 shown]
	s_clause 0x6
	global_load_b32 v72, v[72:73], off
	global_load_b32 v73, v[74:75], off
	;; [unrolled: 1-line block ×7, first 2 shown]
	v_add_nc_u32_e32 v79, v67, v97
	s_mul_u64 s[0:1], s[14:15], s[26:27]
	s_add_co_i32 s95, s95, 1
	s_wait_alu 0xfffe
	s_lshl_b64 s[0:1], s[0:1], 2
	v_add_nc_u32_e32 v149, 0x2400, v79
	s_wait_alu 0xfffe
	s_add_nc_u64 s[0:1], s[10:11], s[0:1]
	s_wait_loadcnt 0x5
	ds_store_2addr_b32 v149, v72, v73 offset1:144
	v_add_nc_u32_e32 v72, 0x2800, v79
	v_add_nc_u32_e32 v73, v67, v103
	s_wait_loadcnt 0x3
	ds_store_2addr_b32 v72, v74, v75 offset0:32 offset1:176
	global_load_b32 v72, v[151:152], off
	v_add_nc_u32_e32 v74, 0x2400, v73
	s_wait_loadcnt 0x0
	ds_store_2addr_b32 v74, v72, v76 offset1:144
	ds_store_b32 v79, v78 offset:11520
	ds_store_b32 v73, v77 offset:10368
	v_lshlrev_b64_e32 v[72:73], 2, v[46:47]
	s_wait_alu 0xfffe
	s_delay_alu instid0(VALU_DEP_1) | instskip(SKIP_1) | instid1(VALU_DEP_2)
	v_add_co_u32 v74, vcc_lo, s0, v72
	s_wait_alu 0xfffd
	v_add_co_ci_u32_e64 v75, null, s1, v73, vcc_lo
	v_lshlrev_b64_e32 v[72:73], 2, v[59:60]
	s_delay_alu instid0(VALU_DEP_1) | instskip(SKIP_1) | instid1(VALU_DEP_2)
	v_add_co_u32 v76, vcc_lo, s0, v72
	s_wait_alu 0xfffd
	v_add_co_ci_u32_e64 v77, null, s1, v73, vcc_lo
	v_add_co_u32 v72, vcc_lo, v74, v142
	s_wait_alu 0xfffd
	v_add_co_ci_u32_e64 v73, null, 0, v75, vcc_lo
	;; [unrolled: 3-line block ×3, first 2 shown]
	s_clause 0x1
	global_load_b128 v[72:75], v[72:73], off
	global_load_b128 v[76:79], v[76:77], off
	s_wait_loadcnt 0x1
	ds_store_b128 v70, v[72:75]
	s_wait_loadcnt 0x0
	ds_store_b128 v132, v[76:79]
	v_lshlrev_b64_e32 v[72:73], 2, v[63:64]
	s_delay_alu instid0(VALU_DEP_1) | instskip(SKIP_1) | instid1(VALU_DEP_2)
	v_add_co_u32 v74, vcc_lo, s0, v72
	s_wait_alu 0xfffd
	v_add_co_ci_u32_e64 v75, null, s1, v73, vcc_lo
	v_lshlrev_b64_e32 v[72:73], 2, v[65:66]
	s_delay_alu instid0(VALU_DEP_1) | instskip(SKIP_1) | instid1(VALU_DEP_2)
	v_add_co_u32 v76, vcc_lo, s0, v72
	s_wait_alu 0xfffd
	v_add_co_ci_u32_e64 v77, null, s1, v73, vcc_lo
	v_add_co_u32 v72, vcc_lo, v74, v142
	s_wait_alu 0xfffd
	v_add_co_ci_u32_e64 v73, null, 0, v75, vcc_lo
	;; [unrolled: 3-line block ×3, first 2 shown]
	s_clause 0x1
	global_load_b128 v[72:75], v[72:73], off
	global_load_b128 v[76:79], v[76:77], off
	s_mul_u64 s[0:1], s[14:15], s[34:35]
	s_add_co_i32 s14, s14, 64
	s_wait_alu 0xfffe
	s_lshl_b64 s[0:1], s[0:1], 2
	s_wait_loadcnt 0x1
	ds_store_b128 v133, v[72:75]
	s_wait_loadcnt 0x0
	ds_store_b128 v134, v[76:79]
	s_wait_dscnt 0x0
	s_barrier_signal -1
	s_barrier_wait -1
	global_inv scope:SCOPE_SE
	ds_load_b128 v[72:75], v135
	ds_load_b128 v[76:79], v135 offset:32
	s_wait_alu 0xfffe
	s_add_nc_u64 s[0:1], s[8:9], s[0:1]
	s_wait_dscnt 0x1
	v_wmma_f32_16x16x16_f16 v[149:156], v[72:75], v[12:15], 0
	s_wait_dscnt 0x0
	s_delay_alu instid0(VALU_DEP_1)
	v_wmma_f32_16x16x16_f16 v[149:156], v[76:79], v[8:11], v[149:156]
	ds_load_b128 v[72:75], v135 offset:64
	ds_load_b128 v[76:79], v135 offset:96
	s_wait_dscnt 0x1
	v_wmma_f32_16x16x16_f16 v[149:156], v[72:75], v[4:7], v[149:156]
	s_wait_dscnt 0x0
	s_delay_alu instid0(VALU_DEP_1)
	v_wmma_f32_16x16x16_f16 v[149:156], v[76:79], v[0:3], v[149:156]
	v_add_nc_u32_e32 v165, 0x2400, v136
	ds_load_b128 v[72:75], v135 offset:2304
	ds_load_b128 v[76:79], v135 offset:2336
	;; [unrolled: 1-line block ×12, first 2 shown]
	s_wait_loadcnt_dscnt 0x0
	s_barrier_signal -1
	s_barrier_wait -1
	global_inv scope:SCOPE_SE
	ds_load_2addr_b32 v[165:166], v165 offset1:1
	ds_load_2addr_b32 v[167:168], v143 offset1:1
	ds_load_b32 v169, v137 offset:9216
	ds_load_b32 v172, v136 offset:9224
	s_wait_dscnt 0x3
	v_cvt_f32_f16_e64 v170, v165
	v_lshrrev_b32_e32 v165, 16, v165
	v_cvt_f32_f16_e64 v171, v166
	v_lshrrev_b32_e32 v166, 16, v166
	s_wait_dscnt 0x0
	v_cvt_f32_f16_e64 v177, v172
	v_lshrrev_b32_e32 v172, 16, v172
	v_lshrrev_b32_e32 v173, 16, v169
	v_cvt_f32_f16_e64 v169, v169
	v_cvt_f32_f16_e64 v165, v165
	;; [unrolled: 1-line block ×5, first 2 shown]
	s_delay_alu instid0(VALU_DEP_4) | instskip(NEXT) | instid1(VALU_DEP_4)
	v_dual_add_f32 v173, v149, v170 :: v_dual_add_f32 v174, v150, v165
	v_dual_add_f32 v175, v151, v171 :: v_dual_add_f32 v176, v152, v166
	s_delay_alu instid0(VALU_DEP_4) | instskip(SKIP_3) | instid1(VALU_DEP_1)
	v_dual_add_f32 v180, v153, v177 :: v_dual_add_f32 v179, v154, v172
	v_add_f32_e32 v178, v155, v169
	v_add_f32_e32 v177, v156, v213
	v_wmma_f32_16x16x16_f16 v[149:156], v[72:75], v[12:15], 0
	v_wmma_f32_16x16x16_f16 v[149:156], v[76:79], v[8:11], v[149:156]
	ds_load_2addr_b32 v[72:73], v144 offset1:1
	ds_load_2addr_b32 v[74:75], v145 offset1:1
	;; [unrolled: 1-line block ×4, first 2 shown]
	v_wmma_f32_16x16x16_f16 v[149:156], v[157:160], v[4:7], v[149:156]
	v_lshrrev_b32_e32 v158, 16, v167
	v_lshrrev_b32_e32 v160, 16, v168
	v_cvt_f32_f16_e64 v157, v167
	v_cvt_f32_f16_e64 v159, v168
	v_wmma_f32_16x16x16_f16 v[149:156], v[161:164], v[0:3], v[149:156]
	v_cvt_f32_f16_e64 v158, v158
	v_cvt_f32_f16_e64 v160, v160
	s_delay_alu instid0(VALU_DEP_2) | instskip(NEXT) | instid1(VALU_DEP_2)
	v_dual_add_f32 v165, v149, v157 :: v_dual_add_f32 v166, v150, v158
	v_add_f32_e32 v168, v152, v160
	s_wait_dscnt 0x3
	v_cvt_f32_f16_e64 v161, v72
	v_lshrrev_b32_e32 v72, 16, v72
	v_lshrrev_b32_e32 v162, 16, v73
	v_cvt_f32_f16_e32 v73, v73
	s_wait_dscnt 0x1
	v_lshrrev_b32_e32 v157, 16, v77
	v_add_f32_e32 v172, v153, v161
	v_cvt_f32_f16_e32 v72, v72
	v_cvt_f32_f16_e64 v162, v162
	v_add_f32_e32 v170, v155, v73
	v_lshrrev_b32_e32 v73, 16, v74
	v_cvt_f32_f16_e64 v161, v76
	v_add_f32_e32 v171, v154, v72
	v_add_f32_e32 v169, v156, v162
	v_cvt_f32_f16_e32 v72, v74
	v_cvt_f32_f16_e32 v73, v73
	v_add_f32_e32 v167, v151, v159
	v_wmma_f32_16x16x16_f16 v[149:156], v[181:184], v[12:15], 0
	v_cvt_f32_f16_e32 v74, v75
	v_lshrrev_b32_e32 v75, 16, v75
	v_cvt_f32_f16_e64 v181, v157
	s_delay_alu instid0(VALU_DEP_4) | instskip(SKIP_3) | instid1(VALU_DEP_4)
	v_wmma_f32_16x16x16_f16 v[149:156], v[185:188], v[8:11], v[149:156]
	v_lshrrev_b32_e32 v76, 16, v76
	v_cvt_f32_f16_e32 v77, v77
	v_cvt_f32_f16_e32 v75, v75
	v_wmma_f32_16x16x16_f16 v[149:156], v[189:192], v[4:7], v[149:156]
	s_delay_alu instid0(VALU_DEP_4) | instskip(NEXT) | instid1(VALU_DEP_2)
	v_cvt_f32_f16_e32 v76, v76
	v_wmma_f32_16x16x16_f16 v[149:156], v[193:196], v[0:3], v[149:156]
	v_mov_b32_e32 v194, v100
	s_delay_alu instid0(VALU_DEP_2) | instskip(NEXT) | instid1(VALU_DEP_3)
	v_dual_add_f32 v100, 0x40051340, v173 :: v_dual_add_f32 v157, v149, v72
	v_add_f32_e32 v160, v152, v75
	s_delay_alu instid0(VALU_DEP_4)
	v_add_f32_e32 v158, v150, v73
	ds_load_2addr_b32 v[72:73], v148 offset1:1
	v_add_f32_e32 v164, v153, v161
	v_add_f32_e32 v161, v156, v181
	v_wmma_f32_16x16x16_f16 v[181:188], v[197:200], v[12:15], 0
	s_wait_dscnt 0x1
	v_lshrrev_b32_e32 v75, 16, v78
	v_dual_add_f32 v163, v154, v76 :: v_dual_add_f32 v162, v155, v77
	s_delay_alu instid0(VALU_DEP_3) | instskip(SKIP_1) | instid1(VALU_DEP_4)
	v_wmma_f32_16x16x16_f16 v[181:188], v[201:204], v[8:11], v[181:188]
	v_cvt_f32_f16_e32 v76, v79
	v_cvt_f32_f16_e32 v75, v75
	v_lshrrev_b32_e32 v77, 16, v79
	s_delay_alu instid0(VALU_DEP_4) | instskip(NEXT) | instid1(VALU_DEP_2)
	v_wmma_f32_16x16x16_f16 v[181:188], v[205:208], v[4:7], v[181:188]
	v_cvt_f32_f16_e32 v77, v77
	s_delay_alu instid0(VALU_DEP_2)
	v_wmma_f32_16x16x16_f16 v[181:188], v[209:212], v[0:3], v[181:188]
	v_add_f32_e32 v159, v151, v74
	v_cvt_f32_f16_e32 v74, v78
	s_wait_dscnt 0x0
	v_cvt_f32_f16_e32 v78, v72
	v_lshrrev_b32_e32 v72, 16, v72
	v_lshrrev_b32_e32 v79, 16, v73
	v_cvt_f32_f16_e32 v73, v73
	v_dual_add_f32 v149, v181, v74 :: v_dual_add_f32 v152, v184, v77
	s_delay_alu instid0(VALU_DEP_4) | instskip(SKIP_1) | instid1(VALU_DEP_4)
	v_cvt_f32_f16_e32 v72, v72
	v_add_f32_e32 v150, v182, v75
	v_add_f32_e32 v154, v187, v73
	;; [unrolled: 1-line block ×3, first 2 shown]
	v_cvt_f32_f16_e32 v79, v79
	v_add_f32_e32 v155, v186, v72
	v_lshlrev_b64_e32 v[72:73], 2, v[49:50]
	s_delay_alu instid0(VALU_DEP_3) | instskip(SKIP_1) | instid1(VALU_DEP_2)
	v_dual_add_f32 v156, v185, v78 :: v_dual_add_f32 v153, v188, v79
	s_wait_alu 0xfffe
	v_add_co_u32 v181, vcc_lo, s0, v72
	s_wait_alu 0xfffd
	s_delay_alu instid0(VALU_DEP_3) | instskip(SKIP_1) | instid1(VALU_DEP_1)
	v_add_co_ci_u32_e64 v182, null, s1, v73, vcc_lo
	v_lshlrev_b64_e32 v[72:73], 2, v[51:52]
	v_add_co_u32 v74, vcc_lo, s0, v72
	s_wait_alu 0xfffd
	s_delay_alu instid0(VALU_DEP_2)
	v_add_co_ci_u32_e64 v75, null, s1, v73, vcc_lo
	v_add_co_u32 v72, vcc_lo, v181, v142
	s_wait_alu 0xfffd
	v_add_co_ci_u32_e64 v73, null, 0, v182, vcc_lo
	v_add_co_u32 v76, vcc_lo, v74, v142
	s_wait_alu 0xfffd
	v_add_co_ci_u32_e64 v77, null, 0, v75, vcc_lo
	s_clause 0x1
	global_load_b128 v[72:75], v[72:73], off
	global_load_b128 v[76:79], v[76:77], off
	s_wait_loadcnt 0x1
	ds_store_b128 v70, v[72:75]
	s_wait_loadcnt 0x0
	ds_store_b128 v132, v[76:79]
	v_lshlrev_b64_e32 v[72:73], 2, v[53:54]
	s_delay_alu instid0(VALU_DEP_1) | instskip(SKIP_1) | instid1(VALU_DEP_2)
	v_add_co_u32 v74, vcc_lo, s0, v72
	s_wait_alu 0xfffd
	v_add_co_ci_u32_e64 v75, null, s1, v73, vcc_lo
	v_lshlrev_b64_e32 v[72:73], 2, v[55:56]
	s_delay_alu instid0(VALU_DEP_1) | instskip(SKIP_1) | instid1(VALU_DEP_2)
	v_add_co_u32 v76, vcc_lo, s0, v72
	s_wait_alu 0xfffd
	v_add_co_ci_u32_e64 v77, null, s1, v73, vcc_lo
	v_add_co_u32 v72, vcc_lo, v74, v142
	s_wait_alu 0xfffd
	v_add_co_ci_u32_e64 v73, null, 0, v75, vcc_lo
	;; [unrolled: 3-line block ×3, first 2 shown]
	s_clause 0x1
	global_load_b128 v[72:75], v[72:73], off
	global_load_b128 v[76:79], v[76:77], off
	s_wait_loadcnt 0x1
	ds_store_b128 v133, v[72:75]
	s_wait_loadcnt 0x0
	ds_store_b128 v134, v[76:79]
	s_wait_dscnt 0x0
	s_barrier_signal -1
	s_barrier_wait -1
	global_inv scope:SCOPE_SE
	ds_load_2addr_b32 v[72:73], v139 offset0:144 offset1:160
	ds_load_2addr_b32 v[76:77], v139 offset0:180 offset1:196
	ds_load_2addr_b32 v[181:182], v140 offset1:16
	ds_load_2addr_b32 v[185:186], v141 offset1:16
	s_wait_dscnt 0x2
	v_perm_b32 v184, v77, v73, 0x7060302
	v_perm_b32 v188, v77, v73, 0x5040100
	s_wait_dscnt 0x0
	v_perm_b32 v75, v185, v181, 0x7060302
	v_perm_b32 v79, v185, v181, 0x5040100
	;; [unrolled: 1-line block ×4, first 2 shown]
	ds_load_2addr_b32 v[181:182], v139 offset0:72 offset1:88
	ds_load_2addr_b32 v[186:187], v139 offset0:108 offset1:124
	ds_load_2addr_b32 v[190:191], v139 offset1:16
	ds_load_2addr_b32 v[192:193], v139 offset0:36 offset1:52
	v_perm_b32 v74, v76, v72, 0x7060302
	v_perm_b32 v78, v76, v72, 0x5040100
	s_wait_dscnt 0x2
	v_perm_b32 v73, v186, v181, 0x7060302
	v_perm_b32 v77, v186, v181, 0x5040100
	v_add_f32_e32 v181, 0x40051340, v174
	s_wait_dscnt 0x0
	v_perm_b32 v72, v192, v190, 0x7060302
	v_perm_b32 v76, v192, v190, 0x5040100
	v_add_f32_e32 v190, 0x40051340, v176
	v_perm_b32 v183, v187, v182, 0x7060302
	v_max3_num_f32 v100, v194, v100, v181
	v_add_f32_e32 v181, 0x40051340, v175
	v_perm_b32 v187, v187, v182, 0x5040100
	v_perm_b32 v182, v193, v191, 0x7060302
	;; [unrolled: 1-line block ×3, first 2 shown]
	s_delay_alu instid0(VALU_DEP_4) | instskip(SKIP_1) | instid1(VALU_DEP_1)
	v_max3_num_f32 v100, v100, v181, v190
	v_dual_add_f32 v181, 0x40051340, v180 :: v_dual_add_f32 v190, 0x40051340, v179
	v_max3_num_f32 v100, v100, v181, v190
	v_dual_add_f32 v181, 0x40051340, v178 :: v_dual_add_f32 v190, 0x40051340, v177
	s_delay_alu instid0(VALU_DEP_1) | instskip(SKIP_1) | instid1(VALU_DEP_1)
	v_max3_num_f32 v100, v100, v181, v190
	v_dual_add_f32 v181, 0x40051340, v165 :: v_dual_add_f32 v190, 0x40051340, v166
	v_max3_num_f32 v100, v100, v181, v190
	v_dual_add_f32 v181, 0x40051340, v167 :: v_dual_add_f32 v190, 0x40051340, v168
	s_delay_alu instid0(VALU_DEP_1) | instskip(SKIP_1) | instid1(VALU_DEP_1)
	;; [unrolled: 5-line block ×6, first 2 shown]
	v_max3_num_f32 v100, v100, v181, v190
	v_dual_add_f32 v181, 0x40051340, v156 :: v_dual_add_f32 v190, 0x40051340, v155
	v_max3_num_f32 v100, v100, v181, v190
	v_dual_add_f32 v181, 0x40051340, v154 :: v_dual_add_f32 v190, 0x40051340, v153
	s_delay_alu instid0(VALU_DEP_1) | instskip(SKIP_3) | instid1(VALU_DEP_1)
	v_max3_num_f32 v100, v100, v181, v190
	ds_bpermute_b32 v181, v138, v100
	s_wait_dscnt 0x0
	v_max_num_f32_e32 v181, v181, v181
	v_max_num_f32_e32 v100, v100, v181
	s_delay_alu instid0(VALU_DEP_1) | instskip(NEXT) | instid1(VALU_DEP_1)
	v_sub_f32_e32 v180, v180, v100
	v_mul_f32_e32 v181, 0x3fb8aa3b, v180
	v_sub_f32_e32 v177, v177, v100
	v_sub_f32_e32 v178, v178, v100
	;; [unrolled: 1-line block ×3, first 2 shown]
	v_cmp_ngt_f32_e64 s2, 0xc2ce8ed0, v180
	v_fma_f32 v190, 0x3fb8aa3b, v180, -v181
	v_rndne_f32_e32 v191, v181
	v_sub_f32_e32 v176, v176, v100
	v_sub_f32_e32 v175, v175, v100
	;; [unrolled: 1-line block ×3, first 2 shown]
	s_delay_alu instid0(VALU_DEP_4) | instskip(SKIP_3) | instid1(VALU_DEP_4)
	v_dual_fmac_f32 v190, 0x32a5705f, v180 :: v_dual_sub_f32 v181, v181, v191
	v_cvt_i32_f32_e32 v191, v191
	v_sub_f32_e32 v173, v173, v100
	v_sub_f32_e32 v170, v170, v100
	v_dual_sub_f32 v166, v166, v100 :: v_dual_add_f32 v181, v181, v190
	v_dual_mul_f32 v190, 0x3fb8aa3b, v179 :: v_dual_sub_f32 v165, v165, v100
	v_sub_f32_e32 v159, v159, v100
	v_sub_f32_e32 v161, v161, v100
	s_delay_alu instid0(VALU_DEP_4) | instskip(NEXT) | instid1(VALU_DEP_3)
	v_exp_f32_e32 v181, v181
	v_fma_f32 v192, 0x3fb8aa3b, v179, -v190
	v_rndne_f32_e32 v193, v190
	v_sub_f32_e32 v157, v157, v100
	v_sub_f32_e32 v155, v155, v100
	s_delay_alu instid0(VALU_DEP_4) | instskip(NEXT) | instid1(VALU_DEP_4)
	v_dual_sub_f32 v153, v153, v100 :: v_dual_fmac_f32 v192, 0x32a5705f, v179
	v_sub_f32_e32 v190, v190, v193
	v_sub_f32_e32 v154, v154, v100
	;; [unrolled: 1-line block ×3, first 2 shown]
	s_delay_alu instid0(TRANS32_DEP_1)
	v_ldexp_f32 v181, v181, v191
	v_sub_f32_e32 v149, v149, v100
	v_add_f32_e32 v190, v190, v192
	v_mul_f32_e32 v192, 0x3fb8aa3b, v178
	v_cmp_ngt_f32_e32 vcc_lo, 0xc2ce8ed0, v179
	v_sub_f32_e32 v171, v171, v100
	v_sub_f32_e32 v172, v172, v100
	;; [unrolled: 1-line block ×3, first 2 shown]
	v_fma_f32 v195, 0x3fb8aa3b, v178, -v192
	v_rndne_f32_e32 v196, v192
	v_sub_f32_e32 v168, v168, v100
	v_sub_f32_e32 v167, v167, v100
	s_delay_alu instid0(VALU_DEP_4) | instskip(NEXT) | instid1(VALU_DEP_4)
	v_dual_sub_f32 v164, v164, v100 :: v_dual_fmac_f32 v195, 0x32a5705f, v178
	v_sub_f32_e32 v192, v192, v196
	v_cvt_i32_f32_e32 v191, v196
	v_sub_f32_e32 v162, v162, v100
	v_sub_f32_e32 v163, v163, v100
	v_sub_f32_e32 v160, v160, v100
	v_dual_add_f32 v192, v192, v195 :: v_dual_mul_f32 v195, 0x3fb8aa3b, v177
	v_exp_f32_e32 v190, v190
	v_sub_f32_e32 v158, v158, v100
	v_sub_f32_e32 v156, v156, v100
	;; [unrolled: 1-line block ×3, first 2 shown]
	v_fma_f32 v197, 0x3fb8aa3b, v177, -v195
	v_rndne_f32_e32 v198, v195
	s_delay_alu instid0(VALU_DEP_2) | instskip(NEXT) | instid1(VALU_DEP_2)
	v_dual_sub_f32 v150, v150, v100 :: v_dual_fmac_f32 v197, 0x32a5705f, v177
	v_sub_f32_e32 v195, v195, v198
	v_cmp_ngt_f32_e64 s0, 0xc2ce8ed0, v178
	s_delay_alu instid0(VALU_DEP_2) | instskip(SKIP_1) | instid1(TRANS32_DEP_1)
	v_add_f32_e32 v195, v195, v197
	v_exp_f32_e32 v192, v192
	v_ldexp_f32 v191, v192, v191
	v_cvt_i32_f32_e32 v192, v193
	s_delay_alu instid0(VALU_DEP_3) | instskip(SKIP_1) | instid1(VALU_DEP_2)
	v_exp_f32_e32 v193, v195
	s_wait_alu 0xf1ff
	v_cndmask_b32_e64 v191, 0, v191, s0
	s_delay_alu instid0(VALU_DEP_2) | instskip(SKIP_3) | instid1(VALU_DEP_3)
	v_ldexp_f32 v190, v190, v192
	v_cvt_i32_f32_e32 v192, v198
	v_cmp_nlt_f32_e64 s0, 0x42b17218, v178
	s_wait_alu 0xfffd
	v_cndmask_b32_e32 v190, 0, v190, vcc_lo
	s_delay_alu instid0(TRANS32_DEP_1) | instid1(VALU_DEP_3)
	v_ldexp_f32 v192, v193, v192
	v_cmp_ngt_f32_e64 s1, 0xc2ce8ed0, v177
	v_cmp_nlt_f32_e32 vcc_lo, 0x42b17218, v179
	s_wait_alu 0xf1ff
	s_delay_alu instid0(VALU_DEP_2)
	v_cndmask_b32_e64 v178, 0, v192, s1
	v_cmp_nlt_f32_e64 s1, 0x42b17218, v177
	v_cndmask_b32_e64 v177, 0, v181, s2
	v_cmp_nlt_f32_e64 s2, 0x42b17218, v180
	s_wait_alu 0xfffd
	v_cndmask_b32_e32 v180, 0x7f800000, v190, vcc_lo
	s_wait_alu 0xf1ff
	v_cndmask_b32_e64 v178, 0x7f800000, v178, s1
	v_cmp_ngt_f32_e64 s1, 0xc2ce8ed0, v169
	v_cndmask_b32_e64 v179, 0x7f800000, v177, s2
	v_cndmask_b32_e64 v177, 0x7f800000, v191, s0
	v_cvt_f16_f32_e64 v192, v180
	v_cvt_f16_f32_e64 v191, v178
	s_delay_alu instid0(VALU_DEP_4) | instskip(NEXT) | instid1(VALU_DEP_4)
	v_cvt_f16_f32_e64 v181, v179
	v_cvt_f16_f32_e64 v190, v177
	s_delay_alu instid0(VALU_DEP_2) | instskip(SKIP_1) | instid1(VALU_DEP_3)
	v_pack_b32_f16 v192, v181, v192
	v_mul_f32_e32 v181, 0x3fb8aa3b, v176
	v_pack_b32_f16 v193, v190, v191
	s_delay_alu instid0(VALU_DEP_2) | instskip(SKIP_1) | instid1(VALU_DEP_1)
	v_fma_f32 v190, 0x3fb8aa3b, v176, -v181
	v_rndne_f32_e32 v191, v181
	v_dual_fmac_f32 v190, 0x32a5705f, v176 :: v_dual_sub_f32 v181, v181, v191
	v_cvt_i32_f32_e32 v191, v191
	s_delay_alu instid0(VALU_DEP_2) | instskip(SKIP_1) | instid1(VALU_DEP_2)
	v_dual_add_f32 v181, v181, v190 :: v_dual_mul_f32 v190, 0x3fb8aa3b, v175
	v_cmp_ngt_f32_e32 vcc_lo, 0xc2ce8ed0, v176
	v_exp_f32_e32 v181, v181
	s_delay_alu instid0(VALU_DEP_2) | instskip(SKIP_1) | instid1(VALU_DEP_2)
	v_fma_f32 v195, 0x3fb8aa3b, v175, -v190
	v_rndne_f32_e32 v196, v190
	v_fmac_f32_e32 v195, 0x32a5705f, v175
	s_delay_alu instid0(TRANS32_DEP_1) | instskip(NEXT) | instid1(VALU_DEP_3)
	v_ldexp_f32 v181, v181, v191
	v_sub_f32_e32 v190, v190, v196
	v_cvt_i32_f32_e32 v191, v196
	s_wait_alu 0xfffd
	s_delay_alu instid0(VALU_DEP_2) | instskip(SKIP_2) | instid1(VALU_DEP_3)
	v_dual_cndmask_b32 v181, 0, v181 :: v_dual_add_f32 v190, v190, v195
	v_cmp_ngt_f32_e64 s0, 0xc2ce8ed0, v175
	v_cmp_nlt_f32_e32 vcc_lo, 0x42b17218, v176
	v_exp_f32_e32 v190, v190
	s_delay_alu instid0(TRANS32_DEP_1) | instskip(SKIP_1) | instid1(VALU_DEP_1)
	v_ldexp_f32 v190, v190, v191
	s_wait_alu 0xf1ff
	v_cndmask_b32_e64 v176, 0, v190, s0
	v_cmp_nlt_f32_e64 s0, 0x42b17218, v175
	s_wait_alu 0xf1ff
	s_delay_alu instid0(VALU_DEP_1) | instskip(SKIP_2) | instid1(VALU_DEP_2)
	v_cndmask_b32_e64 v175, 0x7f800000, v176, s0
	s_wait_alu 0xfffd
	v_cndmask_b32_e32 v176, 0x7f800000, v181, vcc_lo
	v_cvt_f16_f32_e64 v181, v175
	s_delay_alu instid0(VALU_DEP_2) | instskip(NEXT) | instid1(VALU_DEP_1)
	v_cvt_f16_f32_e64 v190, v176
	v_pack_b32_f16 v191, v181, v190
	v_mul_f32_e32 v181, 0x3fb8aa3b, v174
	s_delay_alu instid0(VALU_DEP_1) | instskip(SKIP_1) | instid1(VALU_DEP_1)
	v_fma_f32 v190, 0x3fb8aa3b, v174, -v181
	v_rndne_f32_e32 v195, v181
	v_dual_fmac_f32 v190, 0x32a5705f, v174 :: v_dual_sub_f32 v181, v181, v195
	v_cvt_i32_f32_e32 v195, v195
	s_delay_alu instid0(VALU_DEP_2) | instskip(SKIP_1) | instid1(VALU_DEP_2)
	v_dual_add_f32 v181, v181, v190 :: v_dual_mul_f32 v190, 0x3fb8aa3b, v173
	v_cmp_ngt_f32_e32 vcc_lo, 0xc2ce8ed0, v174
	v_exp_f32_e32 v181, v181
	s_delay_alu instid0(VALU_DEP_2) | instskip(SKIP_1) | instid1(VALU_DEP_1)
	v_fma_f32 v196, 0x3fb8aa3b, v173, -v190
	v_rndne_f32_e32 v197, v190
	v_sub_f32_e32 v190, v190, v197
	s_delay_alu instid0(VALU_DEP_3) | instskip(SKIP_1) | instid1(TRANS32_DEP_1)
	v_fmac_f32_e32 v196, 0x32a5705f, v173
	v_cmp_ngt_f32_e64 s0, 0xc2ce8ed0, v173
	v_ldexp_f32 v181, v181, v195
	v_cvt_i32_f32_e32 v195, v197
	s_wait_alu 0xfffd
	s_delay_alu instid0(VALU_DEP_2) | instskip(SKIP_2) | instid1(VALU_DEP_2)
	v_cndmask_b32_e32 v181, 0, v181, vcc_lo
	v_cmp_nlt_f32_e32 vcc_lo, 0x42b17218, v174
	s_wait_alu 0xfffd
	v_dual_add_f32 v190, v190, v196 :: v_dual_cndmask_b32 v181, 0x7f800000, v181
	s_delay_alu instid0(VALU_DEP_1) | instskip(NEXT) | instid1(TRANS32_DEP_1)
	v_exp_f32_e32 v190, v190
	v_ldexp_f32 v190, v190, v195
	s_wait_alu 0xf1ff
	s_delay_alu instid0(VALU_DEP_1) | instskip(SKIP_3) | instid1(VALU_DEP_2)
	v_cndmask_b32_e64 v174, 0, v190, s0
	v_cmp_nlt_f32_e64 s0, 0x42b17218, v173
	v_cvt_f16_f32_e64 v190, v181
	s_wait_alu 0xf1ff
	v_cndmask_b32_e64 v174, 0x7f800000, v174, s0
	s_delay_alu instid0(VALU_DEP_1) | instskip(NEXT) | instid1(VALU_DEP_1)
	v_cvt_f16_f32_e64 v173, v174
	v_pack_b32_f16 v190, v173, v190
	v_sub_f32_e32 v173, v194, v100
	s_delay_alu instid0(VALU_DEP_1) | instskip(SKIP_1) | instid1(VALU_DEP_2)
	v_mul_f32_e32 v194, 0x3fb8aa3b, v173
	v_cmp_ngt_f32_e32 vcc_lo, 0xc2ce8ed0, v173
	v_fma_f32 v195, 0x3fb8aa3b, v173, -v194
	v_rndne_f32_e32 v196, v194
	s_delay_alu instid0(VALU_DEP_1) | instskip(NEXT) | instid1(VALU_DEP_1)
	v_dual_fmac_f32 v195, 0x32a5705f, v173 :: v_dual_sub_f32 v194, v194, v196
	v_add_f32_e32 v194, v194, v195
	v_cvt_i32_f32_e32 v195, v196
	s_delay_alu instid0(VALU_DEP_2) | instskip(NEXT) | instid1(TRANS32_DEP_1)
	v_exp_f32_e32 v194, v194
	v_ldexp_f32 v194, v194, v195
	s_wait_alu 0xfffd
	s_delay_alu instid0(VALU_DEP_1) | instskip(SKIP_2) | instid1(VALU_DEP_2)
	v_cndmask_b32_e32 v194, 0, v194, vcc_lo
	v_cmp_nlt_f32_e32 vcc_lo, 0x42b17218, v173
	s_wait_alu 0xfffd
	v_cndmask_b32_e32 v194, 0x7f800000, v194, vcc_lo
	v_cmp_le_f32_e32 vcc_lo, 0xc1a00000, v173
	s_wait_alu 0xfffd
	s_delay_alu instid0(VALU_DEP_2) | instskip(SKIP_1) | instid1(VALU_DEP_2)
	v_cndmask_b32_e32 v173, 0, v194, vcc_lo
	v_cmp_ngt_f32_e32 vcc_lo, 0xc2ce8ed0, v171
	v_cvt_f16_f32_e64 v194, v173
	s_delay_alu instid0(VALU_DEP_1) | instskip(NEXT) | instid1(VALU_DEP_1)
	v_and_b32_e32 v194, 0xffff, v194
	v_mul_u32_u24_e32 v194, 0x10001, v194
	s_delay_alu instid0(VALU_DEP_1)
	v_pk_mul_f16 v24, v24, v194
	v_pk_mul_f16 v25, v25, v194
	;; [unrolled: 1-line block ×16, first 2 shown]
	v_wmma_f16_16x16x16_f16 v[24:27], v[72:75], v[190:193], v[24:27]
	v_add_nc_u32_e32 v72, 0xa00, v139
	v_add_nc_u32_e32 v74, 0x800, v140
	;; [unrolled: 1-line block ×3, first 2 shown]
	v_wmma_f16_16x16x16_f16 v[28:31], v[76:79], v[190:193], v[28:31]
	v_wmma_f16_16x16x16_f16 v[20:23], v[186:189], v[190:193], v[20:23]
	;; [unrolled: 1-line block ×3, first 2 shown]
	v_add_nc_u32_e32 v192, 0x800, v139
	ds_load_2addr_b32 v[72:73], v72 offset0:116 offset1:132
	ds_load_2addr_b32 v[76:77], v74 offset0:64 offset1:80
	;; [unrolled: 1-line block ×4, first 2 shown]
	s_wait_dscnt 0x1
	v_perm_b32 v189, v183, v77, 0x5040100
	s_wait_dscnt 0x0
	v_perm_b32 v184, v73, v186, 0x7060302
	v_perm_b32 v188, v73, v186, 0x5040100
	ds_load_2addr_b32 v[186:187], v192 offset0:136 offset1:152
	ds_load_2addr_b32 v[190:191], v192 offset0:172 offset1:188
	v_perm_b32 v74, v72, v185, 0x7060302
	v_perm_b32 v78, v72, v185, 0x5040100
	;; [unrolled: 1-line block ×5, first 2 shown]
	s_wait_dscnt 0x0
	v_perm_b32 v73, v190, v186, 0x7060302
	v_perm_b32 v77, v190, v186, 0x5040100
	;; [unrolled: 1-line block ×4, first 2 shown]
	ds_load_2addr_b32 v[190:191], v192 offset0:64 offset1:80
	ds_load_2addr_b32 v[192:193], v192 offset0:100 offset1:116
	s_wait_dscnt 0x0
	v_perm_b32 v72, v192, v190, 0x7060302
	v_perm_b32 v76, v192, v190, 0x5040100
	v_mul_f32_e32 v190, 0x3fb8aa3b, v172
	v_perm_b32 v182, v193, v191, 0x7060302
	v_perm_b32 v186, v193, v191, 0x5040100
	s_delay_alu instid0(VALU_DEP_3) | instskip(SKIP_1) | instid1(VALU_DEP_2)
	v_fma_f32 v191, 0x3fb8aa3b, v172, -v190
	v_rndne_f32_e32 v192, v190
	v_fmac_f32_e32 v191, 0x32a5705f, v172
	s_delay_alu instid0(VALU_DEP_2) | instskip(SKIP_1) | instid1(VALU_DEP_2)
	v_sub_f32_e32 v190, v190, v192
	v_cvt_i32_f32_e32 v192, v192
	v_add_f32_e32 v190, v190, v191
	v_mul_f32_e32 v191, 0x3fb8aa3b, v171
	v_cmp_ngt_f32_e64 s2, 0xc2ce8ed0, v172
	s_delay_alu instid0(VALU_DEP_2) | instskip(SKIP_1) | instid1(VALU_DEP_2)
	v_fma_f32 v193, 0x3fb8aa3b, v171, -v191
	v_rndne_f32_e32 v194, v191
	v_fmac_f32_e32 v193, 0x32a5705f, v171
	s_delay_alu instid0(VALU_DEP_2) | instskip(NEXT) | instid1(VALU_DEP_1)
	v_sub_f32_e32 v191, v191, v194
	v_add_f32_e32 v191, v191, v193
	v_mul_f32_e32 v193, 0x3fb8aa3b, v170
	s_delay_alu instid0(VALU_DEP_2) | instskip(NEXT) | instid1(VALU_DEP_1)
	v_exp_f32_e32 v191, v191
	v_fma_f32 v195, 0x3fb8aa3b, v170, -v193
	v_rndne_f32_e32 v196, v193
	s_delay_alu instid0(VALU_DEP_2) | instskip(NEXT) | instid1(VALU_DEP_2)
	v_fmac_f32_e32 v195, 0x32a5705f, v170
	v_sub_f32_e32 v193, v193, v196
	v_exp_f32_e32 v190, v190
	s_delay_alu instid0(VALU_DEP_1) | instskip(SKIP_2) | instid1(VALU_DEP_3)
	v_add_f32_e32 v193, v193, v195
	v_mul_f32_e32 v195, 0x3fb8aa3b, v169
	v_cmp_ngt_f32_e64 s0, 0xc2ce8ed0, v170
	v_exp_f32_e32 v193, v193
	s_delay_alu instid0(TRANS32_DEP_2) | instskip(SKIP_3) | instid1(VALU_DEP_2)
	v_ldexp_f32 v190, v190, v192
	v_cvt_i32_f32_e32 v192, v196
	v_fma_f32 v197, 0x3fb8aa3b, v169, -v195
	v_rndne_f32_e32 v198, v195
	v_fmac_f32_e32 v197, 0x32a5705f, v169
	s_delay_alu instid0(TRANS32_DEP_1) | instid1(VALU_DEP_4)
	v_ldexp_f32 v192, v193, v192
	v_cvt_i32_f32_e32 v193, v194
	s_wait_alu 0xf1ff
	s_delay_alu instid0(VALU_DEP_2) | instskip(NEXT) | instid1(VALU_DEP_2)
	v_cndmask_b32_e64 v192, 0, v192, s0
	v_ldexp_f32 v191, v191, v193
	v_cvt_i32_f32_e32 v193, v198
	v_cmp_nlt_f32_e64 s0, 0x42b17218, v170
	s_wait_alu 0xfffd
	s_delay_alu instid0(VALU_DEP_3) | instskip(SKIP_2) | instid1(VALU_DEP_1)
	v_cndmask_b32_e32 v191, 0, v191, vcc_lo
	v_cmp_nlt_f32_e32 vcc_lo, 0x42b17218, v171
	v_sub_f32_e32 v195, v195, v198
	v_add_f32_e32 v195, v195, v197
	s_delay_alu instid0(VALU_DEP_1) | instskip(NEXT) | instid1(TRANS32_DEP_1)
	v_exp_f32_e32 v194, v195
	v_ldexp_f32 v193, v194, v193
	s_delay_alu instid0(VALU_DEP_1)
	v_cndmask_b32_e64 v170, 0, v193, s1
	v_cmp_nlt_f32_e64 s1, 0x42b17218, v169
	v_cndmask_b32_e64 v169, 0, v190, s2
	v_cmp_nlt_f32_e64 s2, 0x42b17218, v172
	s_wait_alu 0xfffd
	v_cndmask_b32_e32 v172, 0x7f800000, v191, vcc_lo
	v_cmp_ngt_f32_e32 vcc_lo, 0xc2ce8ed0, v168
	s_wait_alu 0xf1ff
	v_cndmask_b32_e64 v170, 0x7f800000, v170, s1
	v_cmp_ngt_f32_e64 s1, 0xc2ce8ed0, v161
	v_cndmask_b32_e64 v171, 0x7f800000, v169, s2
	v_cndmask_b32_e64 v169, 0x7f800000, v192, s0
	v_cvt_f16_f32_e64 v194, v172
	v_cvt_f16_f32_e64 v192, v170
	v_cmp_ngt_f32_e64 s0, 0xc2ce8ed0, v167
	v_cvt_f16_f32_e64 v190, v171
	v_cvt_f16_f32_e64 v191, v169
	v_cmp_ngt_f32_e64 s2, 0xc2ce8ed0, v164
	s_delay_alu instid0(VALU_DEP_2) | instskip(NEXT) | instid1(VALU_DEP_4)
	v_pack_b32_f16 v193, v191, v192
	v_pack_b32_f16 v192, v190, v194
	v_mul_f32_e32 v190, 0x3fb8aa3b, v168
	s_delay_alu instid0(VALU_DEP_1) | instskip(SKIP_1) | instid1(VALU_DEP_1)
	v_fma_f32 v191, 0x3fb8aa3b, v168, -v190
	v_rndne_f32_e32 v194, v190
	v_dual_fmac_f32 v191, 0x32a5705f, v168 :: v_dual_sub_f32 v190, v190, v194
	v_cvt_i32_f32_e32 v194, v194
	s_delay_alu instid0(VALU_DEP_2) | instskip(SKIP_1) | instid1(VALU_DEP_2)
	v_add_f32_e32 v190, v190, v191
	v_mul_f32_e32 v191, 0x3fb8aa3b, v167
	v_exp_f32_e32 v190, v190
	s_delay_alu instid0(VALU_DEP_1) | instskip(SKIP_1) | instid1(VALU_DEP_2)
	v_fma_f32 v195, 0x3fb8aa3b, v167, -v191
	v_rndne_f32_e32 v196, v191
	v_fmac_f32_e32 v195, 0x32a5705f, v167
	s_delay_alu instid0(VALU_DEP_2) | instskip(NEXT) | instid1(TRANS32_DEP_1)
	v_sub_f32_e32 v191, v191, v196
	v_ldexp_f32 v190, v190, v194
	v_cvt_i32_f32_e32 v194, v196
	s_wait_alu 0xfffd
	s_delay_alu instid0(VALU_DEP_2) | instskip(SKIP_1) | instid1(VALU_DEP_2)
	v_dual_add_f32 v191, v191, v195 :: v_dual_cndmask_b32 v190, 0, v190
	v_cmp_nlt_f32_e32 vcc_lo, 0x42b17218, v168
	v_exp_f32_e32 v191, v191
	s_wait_alu 0xfffd
	s_delay_alu instid0(VALU_DEP_2) | instskip(NEXT) | instid1(TRANS32_DEP_1)
	v_cndmask_b32_e32 v195, 0x7f800000, v190, vcc_lo
	v_ldexp_f32 v191, v191, v194
	s_wait_alu 0xf1ff
	s_delay_alu instid0(VALU_DEP_1) | instskip(SKIP_2) | instid1(VALU_DEP_1)
	v_cndmask_b32_e64 v168, 0, v191, s0
	v_cmp_nlt_f32_e64 s0, 0x42b17218, v167
	s_wait_alu 0xf1ff
	v_cndmask_b32_e64 v194, 0x7f800000, v168, s0
	v_cvt_f16_f32_e64 v168, v195
	v_cmp_ngt_f32_e64 s0, 0xc2ce8ed0, v165
	s_delay_alu instid0(VALU_DEP_3) | instskip(NEXT) | instid1(VALU_DEP_1)
	v_cvt_f16_f32_e64 v167, v194
	v_pack_b32_f16 v191, v167, v168
	v_mul_f32_e32 v167, 0x3fb8aa3b, v166
	s_delay_alu instid0(VALU_DEP_1) | instskip(SKIP_1) | instid1(VALU_DEP_1)
	v_fma_f32 v168, 0x3fb8aa3b, v166, -v167
	v_rndne_f32_e32 v190, v167
	v_sub_f32_e32 v167, v167, v190
	s_delay_alu instid0(VALU_DEP_3) | instskip(SKIP_2) | instid1(VALU_DEP_3)
	v_fmac_f32_e32 v168, 0x32a5705f, v166
	v_cvt_i32_f32_e32 v190, v190
	v_cmp_ngt_f32_e32 vcc_lo, 0xc2ce8ed0, v166
	v_dual_add_f32 v167, v167, v168 :: v_dual_mul_f32 v168, 0x3fb8aa3b, v165
	s_delay_alu instid0(VALU_DEP_1) | instskip(NEXT) | instid1(VALU_DEP_1)
	v_exp_f32_e32 v167, v167
	v_fma_f32 v196, 0x3fb8aa3b, v165, -v168
	v_rndne_f32_e32 v197, v168
	s_delay_alu instid0(VALU_DEP_2) | instskip(NEXT) | instid1(VALU_DEP_2)
	v_fmac_f32_e32 v196, 0x32a5705f, v165
	v_sub_f32_e32 v168, v168, v197
	s_delay_alu instid0(TRANS32_DEP_1) | instskip(SKIP_2) | instid1(VALU_DEP_2)
	v_ldexp_f32 v167, v167, v190
	v_cvt_i32_f32_e32 v190, v197
	s_wait_alu 0xfffd
	v_dual_add_f32 v168, v168, v196 :: v_dual_cndmask_b32 v167, 0, v167
	v_cmp_nlt_f32_e32 vcc_lo, 0x42b17218, v166
	s_delay_alu instid0(VALU_DEP_2) | instskip(SKIP_1) | instid1(VALU_DEP_2)
	v_exp_f32_e32 v168, v168
	s_wait_alu 0xfffd
	v_cndmask_b32_e32 v197, 0x7f800000, v167, vcc_lo
	v_cmp_ngt_f32_e32 vcc_lo, 0xc2ce8ed0, v163
	s_delay_alu instid0(TRANS32_DEP_1) | instskip(SKIP_1) | instid1(VALU_DEP_1)
	v_ldexp_f32 v168, v168, v190
	s_wait_alu 0xf1ff
	v_cndmask_b32_e64 v166, 0, v168, s0
	v_cmp_nlt_f32_e64 s0, 0x42b17218, v165
	s_wait_alu 0xf1ff
	s_delay_alu instid0(VALU_DEP_1) | instskip(SKIP_2) | instid1(VALU_DEP_3)
	v_cndmask_b32_e64 v196, 0x7f800000, v166, s0
	v_cvt_f16_f32_e64 v166, v197
	v_cmp_ngt_f32_e64 s0, 0xc2ce8ed0, v162
	v_cvt_f16_f32_e64 v165, v196
	s_delay_alu instid0(VALU_DEP_1) | instskip(NEXT) | instid1(VALU_DEP_1)
	v_pack_b32_f16 v190, v165, v166
	v_wmma_f16_16x16x16_f16 v[24:27], v[72:75], v[190:193], v[24:27]
	v_add_nc_u32_e32 v74, 0x1400, v139
	v_add_nc_u32_e32 v75, 0x1000, v140
	v_wmma_f16_16x16x16_f16 v[28:31], v[76:79], v[190:193], v[28:31]
	v_add_nc_u32_e32 v78, 0x1000, v141
	v_wmma_f16_16x16x16_f16 v[16:19], v[182:185], v[190:193], v[16:19]
	ds_load_2addr_b32 v[72:73], v74 offset0:16 offset1:32
	ds_load_2addr_b32 v[76:77], v74 offset0:52 offset1:68
	ds_load_2addr_b32 v[165:166], v75 offset0:128 offset1:144
	ds_load_2addr_b32 v[182:183], v78 offset0:128 offset1:144
	v_wmma_f16_16x16x16_f16 v[20:23], v[186:189], v[190:193], v[20:23]
	s_wait_dscnt 0x2
	v_perm_b32 v74, v76, v72, 0x7060302
	v_perm_b32 v78, v76, v72, 0x5040100
	v_add_nc_u32_e32 v72, 0x1000, v139
	s_wait_dscnt 0x0
	v_perm_b32 v75, v182, v165, 0x7060302
	v_perm_b32 v79, v182, v165, 0x5040100
	;; [unrolled: 1-line block ×4, first 2 shown]
	ds_load_2addr_b32 v[182:183], v72 offset0:200 offset1:216
	ds_load_2addr_b32 v[186:187], v72 offset0:236 offset1:252
	v_perm_b32 v167, v77, v73, 0x7060302
	v_perm_b32 v184, v77, v73, 0x5040100
	s_wait_dscnt 0x0
	v_perm_b32 v73, v186, v182, 0x7060302
	v_perm_b32 v77, v186, v182, 0x5040100
	;; [unrolled: 1-line block ×4, first 2 shown]
	ds_load_2addr_b32 v[186:187], v72 offset0:128 offset1:144
	ds_load_2addr_b32 v[188:189], v72 offset0:164 offset1:180
	s_wait_dscnt 0x0
	v_perm_b32 v72, v188, v186, 0x7060302
	v_perm_b32 v76, v188, v186, 0x5040100
	v_mul_f32_e32 v186, 0x3fb8aa3b, v164
	v_perm_b32 v165, v189, v187, 0x7060302
	v_perm_b32 v182, v189, v187, 0x5040100
	s_delay_alu instid0(VALU_DEP_3) | instskip(SKIP_1) | instid1(VALU_DEP_2)
	v_fma_f32 v187, 0x3fb8aa3b, v164, -v186
	v_rndne_f32_e32 v188, v186
	v_fmac_f32_e32 v187, 0x32a5705f, v164
	s_delay_alu instid0(VALU_DEP_2) | instskip(SKIP_1) | instid1(VALU_DEP_2)
	v_sub_f32_e32 v186, v186, v188
	v_cvt_i32_f32_e32 v188, v188
	v_add_f32_e32 v186, v186, v187
	v_mul_f32_e32 v187, 0x3fb8aa3b, v163
	s_delay_alu instid0(VALU_DEP_2) | instskip(NEXT) | instid1(VALU_DEP_1)
	v_exp_f32_e32 v186, v186
	v_fma_f32 v189, 0x3fb8aa3b, v163, -v187
	v_rndne_f32_e32 v190, v187
	s_delay_alu instid0(VALU_DEP_2) | instskip(NEXT) | instid1(VALU_DEP_2)
	v_fmac_f32_e32 v189, 0x32a5705f, v163
	v_sub_f32_e32 v187, v187, v190
	s_delay_alu instid0(TRANS32_DEP_1) | instskip(NEXT) | instid1(VALU_DEP_2)
	v_ldexp_f32 v186, v186, v188
	v_add_f32_e32 v187, v187, v189
	v_mul_f32_e32 v189, 0x3fb8aa3b, v162
	s_delay_alu instid0(VALU_DEP_2) | instskip(NEXT) | instid1(VALU_DEP_1)
	v_exp_f32_e32 v187, v187
	v_fma_f32 v191, 0x3fb8aa3b, v162, -v189
	v_rndne_f32_e32 v192, v189
	s_delay_alu instid0(VALU_DEP_2) | instskip(NEXT) | instid1(VALU_DEP_2)
	v_fmac_f32_e32 v191, 0x32a5705f, v162
	v_sub_f32_e32 v189, v189, v192
	v_cvt_i32_f32_e32 v188, v192
	s_delay_alu instid0(VALU_DEP_2) | instskip(SKIP_1) | instid1(VALU_DEP_2)
	v_add_f32_e32 v189, v189, v191
	v_mul_f32_e32 v191, 0x3fb8aa3b, v161
	v_exp_f32_e32 v189, v189
	s_delay_alu instid0(VALU_DEP_1) | instskip(SKIP_1) | instid1(VALU_DEP_2)
	v_fma_f32 v193, 0x3fb8aa3b, v161, -v191
	v_rndne_f32_e32 v198, v191
	v_fmac_f32_e32 v193, 0x32a5705f, v161
	s_delay_alu instid0(VALU_DEP_2) | instskip(NEXT) | instid1(TRANS32_DEP_1)
	v_sub_f32_e32 v191, v191, v198
	v_ldexp_f32 v188, v189, v188
	v_cvt_i32_f32_e32 v189, v190
	s_delay_alu instid0(VALU_DEP_3) | instskip(NEXT) | instid1(VALU_DEP_2)
	v_add_f32_e32 v191, v191, v193
	v_ldexp_f32 v187, v187, v189
	s_delay_alu instid0(VALU_DEP_2) | instskip(SKIP_2) | instid1(VALU_DEP_2)
	v_exp_f32_e32 v190, v191
	v_cvt_i32_f32_e32 v189, v198
	s_wait_alu 0xfffd
	v_cndmask_b32_e32 v187, 0, v187, vcc_lo
	v_cmp_nlt_f32_e32 vcc_lo, 0x42b17218, v163
	s_wait_alu 0xf1ff
	v_cndmask_b32_e64 v163, 0, v188, s0
	v_cmp_nlt_f32_e64 s0, 0x42b17218, v162
	s_delay_alu instid0(TRANS32_DEP_1)
	v_ldexp_f32 v189, v190, v189
	s_wait_alu 0xfffd
	v_cndmask_b32_e32 v187, 0x7f800000, v187, vcc_lo
	s_wait_alu 0xf1ff
	v_cndmask_b32_e64 v188, 0x7f800000, v163, s0
	v_cmp_ngt_f32_e32 vcc_lo, 0xc2ce8ed0, v160
	v_cmp_ngt_f32_e64 s0, 0xc2ce8ed0, v159
	v_cndmask_b32_e64 v162, 0, v189, s1
	v_cmp_nlt_f32_e64 s1, 0x42b17218, v161
	v_cndmask_b32_e64 v161, 0, v186, s2
	v_cmp_nlt_f32_e64 s2, 0x42b17218, v164
	v_cvt_f16_f32_e64 v164, v187
	s_wait_alu 0xf1ff
	v_cndmask_b32_e64 v189, 0x7f800000, v162, s1
	v_cvt_f16_f32_e64 v162, v188
	v_cndmask_b32_e64 v186, 0x7f800000, v161, s2
	v_cmp_ngt_f32_e64 s1, 0xc2ce8ed0, v153
	v_cmp_ngt_f32_e64 s2, 0xc2ce8ed0, v156
	v_cvt_f16_f32_e64 v163, v189
	s_delay_alu instid0(VALU_DEP_4) | instskip(NEXT) | instid1(VALU_DEP_2)
	v_cvt_f16_f32_e64 v161, v186
	v_pack_b32_f16 v162, v162, v163
	v_mul_f32_e32 v163, 0x3fb8aa3b, v160
	s_delay_alu instid0(VALU_DEP_3) | instskip(NEXT) | instid1(VALU_DEP_2)
	v_pack_b32_f16 v161, v161, v164
	v_fma_f32 v164, 0x3fb8aa3b, v160, -v163
	v_rndne_f32_e32 v190, v163
	s_delay_alu instid0(VALU_DEP_1) | instskip(SKIP_1) | instid1(VALU_DEP_2)
	v_dual_fmac_f32 v164, 0x32a5705f, v160 :: v_dual_sub_f32 v163, v163, v190
	v_cvt_i32_f32_e32 v190, v190
	v_dual_add_f32 v163, v163, v164 :: v_dual_mul_f32 v164, 0x3fb8aa3b, v159
	s_delay_alu instid0(VALU_DEP_1) | instskip(NEXT) | instid1(VALU_DEP_1)
	v_exp_f32_e32 v163, v163
	v_fma_f32 v191, 0x3fb8aa3b, v159, -v164
	v_rndne_f32_e32 v192, v164
	s_delay_alu instid0(VALU_DEP_1) | instskip(NEXT) | instid1(TRANS32_DEP_1)
	v_dual_fmac_f32 v191, 0x32a5705f, v159 :: v_dual_sub_f32 v164, v164, v192
	v_ldexp_f32 v163, v163, v190
	v_cvt_i32_f32_e32 v190, v192
	s_delay_alu instid0(VALU_DEP_3) | instskip(SKIP_1) | instid1(VALU_DEP_3)
	v_add_f32_e32 v164, v164, v191
	s_wait_alu 0xfffd
	v_cndmask_b32_e32 v163, 0, v163, vcc_lo
	v_cmp_nlt_f32_e32 vcc_lo, 0x42b17218, v160
	s_delay_alu instid0(VALU_DEP_3) | instskip(SKIP_1) | instid1(VALU_DEP_2)
	v_exp_f32_e32 v164, v164
	s_wait_alu 0xfffd
	v_cndmask_b32_e32 v191, 0x7f800000, v163, vcc_lo
	v_cmp_ngt_f32_e32 vcc_lo, 0xc2ce8ed0, v158
	s_delay_alu instid0(TRANS32_DEP_1) | instskip(NEXT) | instid1(VALU_DEP_1)
	v_ldexp_f32 v164, v164, v190
	v_cndmask_b32_e64 v160, 0, v164, s0
	v_cmp_nlt_f32_e64 s0, 0x42b17218, v159
	s_wait_alu 0xf1ff
	s_delay_alu instid0(VALU_DEP_1) | instskip(SKIP_2) | instid1(VALU_DEP_3)
	v_cndmask_b32_e64 v190, 0x7f800000, v160, s0
	v_cvt_f16_f32_e64 v160, v191
	v_cmp_ngt_f32_e64 s0, 0xc2ce8ed0, v157
	v_cvt_f16_f32_e64 v159, v190
	s_delay_alu instid0(VALU_DEP_1) | instskip(SKIP_1) | instid1(VALU_DEP_1)
	v_pack_b32_f16 v160, v159, v160
	v_mul_f32_e32 v159, 0x3fb8aa3b, v158
	v_fma_f32 v163, 0x3fb8aa3b, v158, -v159
	v_rndne_f32_e32 v164, v159
	s_delay_alu instid0(VALU_DEP_2) | instskip(NEXT) | instid1(VALU_DEP_2)
	v_fmac_f32_e32 v163, 0x32a5705f, v158
	v_sub_f32_e32 v159, v159, v164
	v_cvt_i32_f32_e32 v164, v164
	s_delay_alu instid0(VALU_DEP_2) | instskip(SKIP_1) | instid1(VALU_DEP_2)
	v_add_f32_e32 v159, v159, v163
	v_mul_f32_e32 v163, 0x3fb8aa3b, v157
	v_exp_f32_e32 v159, v159
	s_delay_alu instid0(VALU_DEP_1) | instskip(SKIP_1) | instid1(VALU_DEP_2)
	v_fma_f32 v192, 0x3fb8aa3b, v157, -v163
	v_rndne_f32_e32 v193, v163
	v_fmac_f32_e32 v192, 0x32a5705f, v157
	s_delay_alu instid0(VALU_DEP_2) | instskip(NEXT) | instid1(TRANS32_DEP_1)
	v_sub_f32_e32 v163, v163, v193
	v_ldexp_f32 v159, v159, v164
	v_cvt_i32_f32_e32 v164, v193
	s_delay_alu instid0(VALU_DEP_3) | instskip(SKIP_1) | instid1(VALU_DEP_3)
	v_add_f32_e32 v163, v163, v192
	s_wait_alu 0xfffd
	v_cndmask_b32_e32 v159, 0, v159, vcc_lo
	v_cmp_nlt_f32_e32 vcc_lo, 0x42b17218, v158
	s_delay_alu instid0(VALU_DEP_3) | instskip(SKIP_1) | instid1(VALU_DEP_2)
	v_exp_f32_e32 v163, v163
	s_wait_alu 0xfffd
	v_cndmask_b32_e32 v193, 0x7f800000, v159, vcc_lo
	v_cmp_ngt_f32_e32 vcc_lo, 0xc2ce8ed0, v155
	s_delay_alu instid0(TRANS32_DEP_1) | instskip(SKIP_1) | instid1(VALU_DEP_1)
	v_ldexp_f32 v163, v163, v164
	s_wait_alu 0xf1ff
	v_cndmask_b32_e64 v158, 0, v163, s0
	v_cmp_nlt_f32_e64 s0, 0x42b17218, v157
	s_wait_alu 0xf1ff
	s_delay_alu instid0(VALU_DEP_1) | instskip(SKIP_1) | instid1(VALU_DEP_2)
	v_cndmask_b32_e64 v192, 0x7f800000, v158, s0
	v_cvt_f16_f32_e64 v158, v193
	v_cvt_f16_f32_e64 v157, v192
	s_delay_alu instid0(VALU_DEP_1) | instskip(NEXT) | instid1(VALU_DEP_1)
	v_pack_b32_f16 v159, v157, v158
	v_wmma_f16_16x16x16_f16 v[24:27], v[72:75], v[159:162], v[24:27]
	v_add_nc_u32_e32 v72, 0x1800, v140
	v_add_nc_u32_e32 v74, 0x1800, v141
	v_wmma_f16_16x16x16_f16 v[16:19], v[165:168], v[159:162], v[16:19]
	v_add_nc_u32_e32 v165, 0x1c00, v139
	v_wmma_f16_16x16x16_f16 v[28:31], v[76:79], v[159:162], v[28:31]
	v_wmma_f16_16x16x16_f16 v[20:23], v[182:185], v[159:162], v[20:23]
	ds_load_2addr_b32 v[72:73], v72 offset0:192 offset1:208
	ds_load_2addr_b32 v[76:77], v74 offset0:192 offset1:208
	;; [unrolled: 1-line block ×4, first 2 shown]
	s_wait_dscnt 0x2
	v_perm_b32 v75, v76, v72, 0x7060302
	v_perm_b32 v79, v76, v72, 0x5040100
	s_wait_dscnt 0x0
	v_perm_b32 v159, v161, v158, 0x7060302
	v_perm_b32 v163, v161, v158, 0x5040100
	ds_load_2addr_b32 v[161:162], v165 offset0:8 offset1:24
	ds_load_2addr_b32 v[165:166], v165 offset0:44 offset1:60
	v_add_nc_u32_e32 v72, 0x1800, v139
	v_perm_b32 v74, v160, v157, 0x7060302
	v_perm_b32 v78, v160, v157, 0x5040100
	;; [unrolled: 1-line block ×4, first 2 shown]
	s_wait_dscnt 0x0
	v_perm_b32 v73, v165, v161, 0x7060302
	v_perm_b32 v77, v165, v161, 0x5040100
	;; [unrolled: 1-line block ×4, first 2 shown]
	ds_load_2addr_b32 v[165:166], v72 offset0:192 offset1:208
	ds_load_2addr_b32 v[167:168], v72 offset0:228 offset1:244
	s_wait_loadcnt_dscnt 0x0
	s_barrier_signal -1
	s_barrier_wait -1
	global_inv scope:SCOPE_SE
	v_perm_b32 v72, v167, v165, 0x7060302
	v_perm_b32 v76, v167, v165, 0x5040100
	v_mul_f32_e32 v165, 0x3fb8aa3b, v156
	v_perm_b32 v157, v168, v166, 0x7060302
	v_perm_b32 v161, v168, v166, 0x5040100
	s_delay_alu instid0(VALU_DEP_3) | instskip(SKIP_1) | instid1(VALU_DEP_1)
	v_fma_f32 v166, 0x3fb8aa3b, v156, -v165
	v_rndne_f32_e32 v167, v165
	v_dual_fmac_f32 v166, 0x32a5705f, v156 :: v_dual_sub_f32 v165, v165, v167
	v_cvt_i32_f32_e32 v167, v167
	s_delay_alu instid0(VALU_DEP_2) | instskip(NEXT) | instid1(VALU_DEP_1)
	v_dual_add_f32 v165, v165, v166 :: v_dual_mul_f32 v166, 0x3fb8aa3b, v155
	v_exp_f32_e32 v165, v165
	s_delay_alu instid0(VALU_DEP_1) | instskip(SKIP_1) | instid1(VALU_DEP_2)
	v_fma_f32 v168, 0x3fb8aa3b, v155, -v166
	v_rndne_f32_e32 v182, v166
	v_fmac_f32_e32 v168, 0x32a5705f, v155
	s_delay_alu instid0(VALU_DEP_2) | instskip(NEXT) | instid1(TRANS32_DEP_1)
	v_sub_f32_e32 v166, v166, v182
	v_ldexp_f32 v165, v165, v167
	s_delay_alu instid0(VALU_DEP_2) | instskip(SKIP_1) | instid1(VALU_DEP_2)
	v_add_f32_e32 v166, v166, v168
	v_mul_f32_e32 v168, 0x3fb8aa3b, v154
	v_exp_f32_e32 v166, v166
	s_delay_alu instid0(VALU_DEP_1) | instskip(SKIP_1) | instid1(VALU_DEP_1)
	v_fma_f32 v183, 0x3fb8aa3b, v154, -v168
	v_rndne_f32_e32 v184, v168
	v_dual_fmac_f32 v183, 0x32a5705f, v154 :: v_dual_sub_f32 v168, v168, v184
	v_cvt_i32_f32_e32 v167, v184
	s_delay_alu instid0(VALU_DEP_2) | instskip(SKIP_1) | instid1(VALU_DEP_2)
	v_dual_add_f32 v168, v168, v183 :: v_dual_mul_f32 v183, 0x3fb8aa3b, v153
	v_cmp_ngt_f32_e64 s0, 0xc2ce8ed0, v154
	v_exp_f32_e32 v168, v168
	s_delay_alu instid0(VALU_DEP_2) | instskip(SKIP_1) | instid1(VALU_DEP_2)
	v_fma_f32 v185, 0x3fb8aa3b, v153, -v183
	v_rndne_f32_e32 v198, v183
	v_fmac_f32_e32 v185, 0x32a5705f, v153
	s_delay_alu instid0(VALU_DEP_2) | instskip(NEXT) | instid1(TRANS32_DEP_1)
	v_sub_f32_e32 v183, v183, v198
	v_ldexp_f32 v167, v168, v167
	v_cvt_i32_f32_e32 v168, v182
	s_delay_alu instid0(VALU_DEP_3) | instskip(NEXT) | instid1(VALU_DEP_2)
	v_add_f32_e32 v183, v183, v185
	v_ldexp_f32 v166, v166, v168
	s_delay_alu instid0(VALU_DEP_2) | instskip(SKIP_2) | instid1(VALU_DEP_2)
	v_exp_f32_e32 v182, v183
	v_cvt_i32_f32_e32 v168, v198
	s_wait_alu 0xfffd
	v_cndmask_b32_e32 v166, 0, v166, vcc_lo
	v_cmp_nlt_f32_e32 vcc_lo, 0x42b17218, v155
	s_wait_alu 0xf1ff
	v_cndmask_b32_e64 v155, 0, v167, s0
	v_cmp_nlt_f32_e64 s0, 0x42b17218, v154
	s_delay_alu instid0(TRANS32_DEP_1)
	v_ldexp_f32 v168, v182, v168
	s_wait_alu 0xfffd
	v_cndmask_b32_e32 v166, 0x7f800000, v166, vcc_lo
	s_wait_alu 0xf1ff
	v_cndmask_b32_e64 v155, 0x7f800000, v155, s0
	v_cmp_ngt_f32_e32 vcc_lo, 0xc2ce8ed0, v152
	v_cmp_ngt_f32_e64 s0, 0xc2ce8ed0, v151
	v_cndmask_b32_e64 v154, 0, v168, s1
	v_cmp_nlt_f32_e64 s1, 0x42b17218, v153
	v_cndmask_b32_e64 v153, 0, v165, s2
	v_cmp_nlt_f32_e64 s2, 0x42b17218, v156
	v_cvt_f16_f32_e64 v168, v166
	s_wait_alu 0xf1ff
	v_cndmask_b32_e64 v165, 0x7f800000, v154, s1
	v_cvt_f16_f32_e64 v154, v155
	v_cndmask_b32_e64 v156, 0x7f800000, v153, s2
	s_delay_alu instid0(VALU_DEP_3) | instskip(NEXT) | instid1(VALU_DEP_2)
	v_cvt_f16_f32_e64 v167, v165
	v_cvt_f16_f32_e64 v153, v156
	s_delay_alu instid0(VALU_DEP_2) | instskip(SKIP_1) | instid1(VALU_DEP_3)
	v_pack_b32_f16 v154, v154, v167
	v_mul_f32_e32 v167, 0x3fb8aa3b, v152
	v_pack_b32_f16 v153, v153, v168
	s_delay_alu instid0(VALU_DEP_2) | instskip(SKIP_1) | instid1(VALU_DEP_1)
	v_fma_f32 v168, 0x3fb8aa3b, v152, -v167
	v_rndne_f32_e32 v182, v167
	v_dual_fmac_f32 v168, 0x32a5705f, v152 :: v_dual_sub_f32 v167, v167, v182
	v_cvt_i32_f32_e32 v182, v182
	s_delay_alu instid0(VALU_DEP_2) | instskip(NEXT) | instid1(VALU_DEP_1)
	v_dual_add_f32 v167, v167, v168 :: v_dual_mul_f32 v168, 0x3fb8aa3b, v151
	v_exp_f32_e32 v167, v167
	s_delay_alu instid0(VALU_DEP_1) | instskip(SKIP_1) | instid1(VALU_DEP_1)
	v_fma_f32 v183, 0x3fb8aa3b, v151, -v168
	v_rndne_f32_e32 v184, v168
	v_dual_fmac_f32 v183, 0x32a5705f, v151 :: v_dual_sub_f32 v168, v168, v184
	s_delay_alu instid0(TRANS32_DEP_1) | instskip(SKIP_1) | instid1(VALU_DEP_3)
	v_ldexp_f32 v167, v167, v182
	v_cvt_i32_f32_e32 v182, v184
	v_add_f32_e32 v168, v168, v183
	s_wait_alu 0xfffd
	s_delay_alu instid0(VALU_DEP_3) | instskip(SKIP_1) | instid1(VALU_DEP_3)
	v_cndmask_b32_e32 v167, 0, v167, vcc_lo
	v_cmp_nlt_f32_e32 vcc_lo, 0x42b17218, v152
	v_exp_f32_e32 v168, v168
	s_wait_alu 0xfffd
	s_delay_alu instid0(VALU_DEP_2) | instskip(SKIP_1) | instid1(TRANS32_DEP_1)
	v_cndmask_b32_e32 v167, 0x7f800000, v167, vcc_lo
	v_cmp_ngt_f32_e32 vcc_lo, 0xc2ce8ed0, v150
	v_ldexp_f32 v168, v168, v182
	s_delay_alu instid0(VALU_DEP_1) | instskip(SKIP_2) | instid1(VALU_DEP_1)
	v_cndmask_b32_e64 v152, 0, v168, s0
	v_cmp_nlt_f32_e64 s0, 0x42b17218, v151
	s_wait_alu 0xf1ff
	v_cndmask_b32_e64 v168, 0x7f800000, v152, s0
	v_cvt_f16_f32_e64 v152, v167
	v_cmp_ngt_f32_e64 s0, 0xc2ce8ed0, v149
	s_delay_alu instid0(VALU_DEP_3) | instskip(NEXT) | instid1(VALU_DEP_1)
	v_cvt_f16_f32_e64 v151, v168
	v_pack_b32_f16 v152, v151, v152
	v_mul_f32_e32 v151, 0x3fb8aa3b, v150
	s_delay_alu instid0(VALU_DEP_1) | instskip(SKIP_1) | instid1(VALU_DEP_1)
	v_fma_f32 v182, 0x3fb8aa3b, v150, -v151
	v_rndne_f32_e32 v183, v151
	v_dual_fmac_f32 v182, 0x32a5705f, v150 :: v_dual_sub_f32 v151, v151, v183
	v_cvt_i32_f32_e32 v183, v183
	s_delay_alu instid0(VALU_DEP_2) | instskip(NEXT) | instid1(VALU_DEP_1)
	v_dual_add_f32 v151, v151, v182 :: v_dual_mul_f32 v182, 0x3fb8aa3b, v149
	v_exp_f32_e32 v151, v151
	s_delay_alu instid0(VALU_DEP_1) | instskip(SKIP_1) | instid1(VALU_DEP_2)
	v_fma_f32 v184, 0x3fb8aa3b, v149, -v182
	v_rndne_f32_e32 v185, v182
	v_fmac_f32_e32 v184, 0x32a5705f, v149
	s_delay_alu instid0(VALU_DEP_2) | instskip(NEXT) | instid1(TRANS32_DEP_1)
	v_sub_f32_e32 v182, v182, v185
	v_ldexp_f32 v151, v151, v183
	v_cvt_i32_f32_e32 v183, v185
	s_wait_alu 0xfffd
	s_delay_alu instid0(VALU_DEP_2) | instskip(SKIP_1) | instid1(VALU_DEP_2)
	v_dual_add_f32 v182, v182, v184 :: v_dual_cndmask_b32 v151, 0, v151
	v_cmp_nlt_f32_e32 vcc_lo, 0x42b17218, v150
	v_exp_f32_e32 v182, v182
	s_delay_alu instid0(TRANS32_DEP_1) | instskip(SKIP_1) | instid1(VALU_DEP_1)
	v_ldexp_f32 v182, v182, v183
	s_wait_alu 0xf1ff
	v_cndmask_b32_e64 v150, 0, v182, s0
	v_cmp_nlt_f32_e64 s0, 0x42b17218, v149
	s_wait_alu 0xf1ff
	s_delay_alu instid0(VALU_DEP_1) | instskip(SKIP_3) | instid1(VALU_DEP_3)
	v_cndmask_b32_e64 v149, 0x7f800000, v150, s0
	s_wait_alu 0xfffd
	v_cndmask_b32_e32 v150, 0x7f800000, v151, vcc_lo
	v_cmp_lt_i32_e32 vcc_lo, s95, v129
	v_cvt_f16_f32_e64 v151, v149
	s_delay_alu instid0(VALU_DEP_3) | instskip(SKIP_1) | instid1(VALU_DEP_1)
	v_cvt_f16_f32_e64 v182, v150
	s_and_b32 vcc_lo, exec_lo, vcc_lo
	v_pack_b32_f16 v151, v151, v182
	s_delay_alu instid0(VALU_DEP_1) | instskip(SKIP_4) | instid1(VALU_DEP_4)
	v_wmma_f16_16x16x16_f16 v[24:27], v[72:75], v[151:154], v[24:27]
	v_dual_add_f32 v72, v174, v181 :: v_dual_mov_b32 v73, v92
	v_wmma_f16_16x16x16_f16 v[28:31], v[76:79], v[151:154], v[28:31]
	v_wmma_f16_16x16x16_f16 v[20:23], v[161:164], v[151:154], v[20:23]
	;; [unrolled: 1-line block ×3, first 2 shown]
	v_add_f32_e32 v72, v175, v72
	s_delay_alu instid0(VALU_DEP_1) | instskip(NEXT) | instid1(VALU_DEP_1)
	v_add_f32_e32 v72, v176, v72
	v_add_f32_e32 v72, v179, v72
	s_delay_alu instid0(VALU_DEP_1) | instskip(NEXT) | instid1(VALU_DEP_1)
	v_add_f32_e32 v72, v180, v72
	;; [unrolled: 3-line block ×15, first 2 shown]
	v_fmac_f32_e32 v92, v73, v173
	s_wait_alu 0xfffe
	s_cbranch_vccnz .LBB0_428
; %bb.429:
	v_dual_mov_b32 v68, s35 :: v_dual_mov_b32 v67, s34
	v_dual_mov_b32 v70, s27 :: v_dual_mov_b32 v69, s26
	s_branch .LBB0_431
.LBB0_430:
	v_dual_mov_b32 v19, 0 :: v_dual_mov_b32 v100, 0xfeffffff
	s_delay_alu instid0(VALU_DEP_1) | instskip(SKIP_1) | instid1(VALU_DEP_2)
	v_dual_mov_b32 v23, 0 :: v_dual_mov_b32 v18, v19
	v_dual_mov_b32 v17, v19 :: v_dual_mov_b32 v16, v19
	;; [unrolled: 1-line block ×7, first 2 shown]
	v_mov_b32_e32 v28, v23
.LBB0_431:
	s_lshl_b32 s0, s95, 6
	v_lshlrev_b64_e32 v[34:35], 1, v[34:35]
	s_wait_alu 0xfffe
	s_ashr_i32 s1, s0, 31
	v_mul_lo_u32 v70, s0, v70
	s_wait_alu 0xfffe
	s_lshl_b64 s[2:3], s[0:1], 1
	v_mul_lo_u32 v74, s1, v69
	s_wait_alu 0xfffe
	s_add_nc_u64 s[2:3], s[12:13], s[2:3]
	v_lshlrev_b64_e32 v[32:33], 1, v[32:33]
	s_wait_alu 0xfffe
	v_add_co_u32 v72, s2, s2, v131
	s_wait_alu 0xf1ff
	v_add_co_ci_u32_e64 v73, null, s3, 0, s2
	v_mul_hi_u32 v75, s0, v69
	v_lshlrev_b64_e32 v[36:37], 1, v[36:37]
	v_add_co_u32 v34, vcc_lo, v72, v34
	v_lshlrev_b64_e32 v[40:41], 1, v[40:41]
	v_add_nc_u32_e32 v70, v70, v74
	s_wait_alu 0xfffd
	v_add_co_ci_u32_e64 v35, null, v73, v35, vcc_lo
	v_add_co_u32 v32, vcc_lo, v72, v32
	v_lshlrev_b64_e32 v[42:43], 1, v[42:43]
	v_mul_lo_u32 v69, s0, v69
	s_wait_alu 0xfffd
	v_add_co_ci_u32_e64 v33, null, v73, v33, vcc_lo
	v_add_co_u32 v36, vcc_lo, v72, v36
	v_lshlrev_b64_e32 v[38:39], 1, v[38:39]
	v_add_nc_u32_e32 v70, v70, v75
	s_wait_alu 0xfffd
	v_add_co_ci_u32_e64 v37, null, v73, v37, vcc_lo
	v_add_co_u32 v40, vcc_lo, v72, v40
	v_lshlrev_b64_e32 v[44:45], 1, v[44:45]
	s_wait_alu 0xfffd
	v_add_co_ci_u32_e64 v41, null, v73, v41, vcc_lo
	v_add_co_u32 v42, vcc_lo, v72, v42
	v_lshlrev_b64_e32 v[61:62], 1, v[61:62]
	;; [unrolled: 4-line block ×3, first 2 shown]
	s_wait_alu 0xfffd
	v_add_co_ci_u32_e64 v39, null, v73, v39, vcc_lo
	v_add_co_u32 v44, vcc_lo, v72, v44
	s_wait_alu 0xfffd
	v_add_co_ci_u32_e64 v45, null, v73, v45, vcc_lo
	v_add_co_u32 v72, vcc_lo, v72, v61
	v_lshlrev_b64_e32 v[46:47], 2, v[46:47]
	s_wait_alu 0xfffd
	v_add_co_ci_u32_e64 v73, null, v73, v62, vcc_lo
	v_add_co_u32 v69, vcc_lo, s10, v69
	s_wait_alu 0xfffd
	v_add_co_ci_u32_e64 v70, null, s11, v70, vcc_lo
	v_lshlrev_b64_e32 v[61:62], 2, v[57:58]
	s_delay_alu instid0(VALU_DEP_3) | instskip(SKIP_1) | instid1(VALU_DEP_3)
	v_add_co_u32 v58, vcc_lo, v69, v46
	s_wait_alu 0xfffd
	v_add_co_ci_u32_e64 v75, null, v70, v47, vcc_lo
	v_lshlrev_b64_e32 v[46:47], 2, v[59:60]
	s_delay_alu instid0(VALU_DEP_3) | instskip(SKIP_1) | instid1(VALU_DEP_3)
	v_add_co_u32 v74, vcc_lo, v58, v61
	s_wait_alu 0xfffd
	v_add_co_ci_u32_e64 v75, null, v75, v62, vcc_lo
	v_lshlrev_b64_e32 v[149:150], 2, v[49:50]
	s_delay_alu instid0(VALU_DEP_4) | instskip(SKIP_3) | instid1(VALU_DEP_3)
	v_add_co_u32 v58, vcc_lo, v69, v46
	s_wait_alu 0xfffd
	v_add_co_ci_u32_e64 v59, null, v70, v47, vcc_lo
	v_lshlrev_b64_e32 v[46:47], 2, v[63:64]
	v_add_co_u32 v76, vcc_lo, v58, v61
	s_wait_alu 0xfffd
	s_delay_alu instid0(VALU_DEP_3) | instskip(SKIP_1) | instid1(VALU_DEP_4)
	v_add_co_ci_u32_e64 v77, null, v59, v62, vcc_lo
	v_lshlrev_b64_e32 v[58:59], 2, v[65:66]
	v_add_co_u32 v46, vcc_lo, v69, v46
	s_wait_alu 0xfffd
	v_add_co_ci_u32_e64 v47, null, v70, v47, vcc_lo
	v_lshlrev_b64_e32 v[155:156], 2, v[55:56]
	s_delay_alu instid0(VALU_DEP_4)
	v_add_co_u32 v58, vcc_lo, v69, v58
	s_wait_alu 0xfffd
	v_add_co_ci_u32_e64 v59, null, v70, v59, vcc_lo
	v_add_co_u32 v46, vcc_lo, v46, v61
	s_wait_alu 0xfffd
	v_add_co_ci_u32_e64 v47, null, v47, v62, vcc_lo
	;; [unrolled: 3-line block ×3, first 2 shown]
	s_clause 0x7
	global_load_b32 v58, v[34:35], off
	global_load_b32 v59, v[32:33], off
	;; [unrolled: 1-line block ×8, first 2 shown]
	s_clause 0x3
	global_load_b128 v[32:35], v[74:75], off
	global_load_b128 v[36:39], v[76:77], off
	;; [unrolled: 1-line block ×4, first 2 shown]
	v_mul_lo_u32 v49, s0, v68
	v_mul_lo_u32 v56, s1, v67
	v_mul_hi_u32 v55, s0, v67
	v_add_nc_u32_e32 v129, 0, v131
	v_cmp_lt_i32_e32 vcc_lo, v128, v126
	v_lshlrev_b64_e32 v[153:154], 2, v[53:54]
	v_mul_lo_u32 v54, s0, v67
	v_lshlrev_b32_e32 v70, 2, v57
	v_add3_u32 v57, 0, v124, v125
	v_add_nc_u32_e32 v49, v49, v56
	s_wait_alu 0xfffd
	v_dual_cndmask_b32 v125, v127, v128 :: v_dual_add_nc_u32 v124, 0, v130
	v_add_nc_u32_e32 v67, v129, v97
	v_add_nc_u32_e32 v68, v129, v98
	;; [unrolled: 1-line block ×9, first 2 shown]
	v_lshlrev_b64_e32 v[151:152], 2, v[51:52]
	v_add3_u32 v50, 0, v106, v70
	v_add3_u32 v51, 0, v107, v70
	;; [unrolled: 1-line block ×4, first 2 shown]
	v_lshl_add_u32 v70, v110, 2, v124
	v_lshl_add_u32 v99, v111, 2, v124
	;; [unrolled: 1-line block ×14, first 2 shown]
	v_lshlrev_b32_e32 v49, 2, v125
	v_lshlrev_b64_e32 v[97:98], 2, v[54:55]
	s_mov_b32 s1, 0
	s_mov_b32 s2, exec_lo
	s_wait_loadcnt 0xb
	ds_store_b32 v67, v58 offset:9216
	s_wait_loadcnt 0xa
	ds_store_b32 v68, v59 offset:9216
	;; [unrolled: 2-line block ×8, first 2 shown]
	s_wait_loadcnt 0x3
	ds_store_b128 v50, v[32:35]
	s_wait_loadcnt 0x2
	ds_store_b128 v51, v[36:39]
	;; [unrolled: 2-line block ×4, first 2 shown]
	s_wait_dscnt 0x0
	s_barrier_signal -1
	s_barrier_wait -1
	global_inv scope:SCOPE_SE
	ds_load_b128 v[40:43], v57
	ds_load_b128 v[72:75], v57 offset:32
	ds_load_b128 v[76:79], v57 offset:64
	;; [unrolled: 1-line block ×15, first 2 shown]
	s_wait_loadcnt_dscnt 0x0
	s_barrier_signal -1
	s_barrier_wait -1
	global_inv scope:SCOPE_SE
	v_wmma_f32_16x16x16_f16 v[32:39], v[40:43], v[12:15], 0
	v_wmma_f32_16x16x16_f16 v[40:47], v[63:66], v[12:15], 0
	s_delay_alu instid0(VALU_DEP_2) | instskip(NEXT) | instid1(VALU_DEP_2)
	v_wmma_f32_16x16x16_f16 v[32:39], v[72:75], v[8:11], v[32:39]
	v_wmma_f32_16x16x16_f16 v[40:47], v[113:116], v[8:11], v[40:47]
	s_delay_alu instid0(VALU_DEP_2) | instskip(NEXT) | instid1(VALU_DEP_2)
	;; [unrolled: 3-line block ×3, first 2 shown]
	v_wmma_f32_16x16x16_f16 v[32:39], v[109:112], v[0:3], v[32:39]
	v_wmma_f32_16x16x16_f16 v[40:47], v[121:124], v[0:3], v[40:47]
	v_add_nc_u32_e32 v165, 0x2400, v70
	ds_load_2addr_b32 v[58:59], v165 offset1:1
	ds_load_b32 v60, v99 offset:9216
	ds_load_b32 v99, v105 offset:9216
	ds_load_b32 v165, v106 offset:9216
	ds_load_b32 v166, v107 offset:9216
	ds_load_b32 v167, v108 offset:9216
	ds_load_b32 v157, v157 offset:9216
	ds_load_b32 v168, v70 offset:9224
	ds_load_b32 v158, v158 offset:9216
	ds_load_b32 v159, v159 offset:9216
	ds_load_b32 v160, v160 offset:9216
	ds_load_b32 v161, v161 offset:9216
	ds_load_b32 v162, v162 offset:9216
	ds_load_b32 v163, v163 offset:9216
	ds_load_b32 v164, v164 offset:9216
	v_wmma_f32_16x16x16_f16 v[63:70], v[101:104], v[12:15], 0
	v_wmma_f32_16x16x16_f16 v[101:108], v[137:140], v[12:15], 0
	s_wait_dscnt 0xe
	v_lshrrev_b32_e32 v13, 16, v58
	v_cvt_f32_f16_e32 v12, v58
	v_lshrrev_b32_e32 v15, 16, v59
	v_wmma_f32_16x16x16_f16 v[63:70], v[125:128], v[8:11], v[63:70]
	v_wmma_f32_16x16x16_f16 v[101:108], v[141:144], v[8:11], v[101:108]
	v_cvt_f32_f16_e32 v8, v13
	v_cvt_f32_f16_e32 v14, v59
	s_wait_dscnt 0x7
	v_lshrrev_b32_e32 v59, 16, v168
	v_cvt_f32_f16_e64 v138, v99
	v_lshrrev_b32_e32 v99, 16, v99
	v_cvt_f32_f16_e32 v9, v15
	v_wmma_f32_16x16x16_f16 v[63:70], v[129:132], v[4:7], v[63:70]
	v_wmma_f32_16x16x16_f16 v[101:108], v[145:148], v[4:7], v[101:108]
	v_add_f32_e32 v79, v32, v12
	v_add_f32_e32 v33, v33, v8
	v_cvt_f32_f16_e64 v58, v168
	v_cvt_f32_f16_e64 v137, v60
	v_lshrrev_b32_e32 v60, 16, v60
	v_cvt_f32_f16_e64 v139, v165
	v_cvt_f32_f16_e32 v10, v59
	v_cvt_f32_f16_e32 v13, v99
	v_wmma_f32_16x16x16_f16 v[63:70], v[133:136], v[0:3], v[63:70]
	v_wmma_f32_16x16x16_f16 v[101:108], v[54:57], v[0:3], v[101:108]
	v_dual_add_f32 v34, v34, v14 :: v_dual_add_f32 v35, v35, v9
	v_dual_add_f32 v0, 0x40051340, v79 :: v_dual_add_f32 v1, 0x40051340, v33
	v_cvt_f32_f16_e32 v11, v60
	v_add_f32_e32 v36, v36, v58
	s_delay_alu instid0(VALU_DEP_4) | instskip(NEXT) | instid1(VALU_DEP_4)
	v_dual_add_f32 v2, 0x40051340, v34 :: v_dual_add_f32 v3, 0x40051340, v35
	v_max3_num_f32 v0, v100, v0, v1
	v_dual_add_f32 v42, v42, v139 :: v_dual_add_f32 v41, v41, v13
	v_add_f32_e32 v37, v37, v10
	v_lshrrev_b32_e32 v140, 16, v165
	v_cvt_f32_f16_e64 v165, v166
	v_lshrrev_b32_e32 v166, 16, v166
	v_dual_add_f32 v38, v38, v137 :: v_dual_add_f32 v39, v39, v11
	v_dual_add_f32 v1, 0x40051340, v36 :: v_dual_add_f32 v4, 0x40051340, v37
	v_max3_num_f32 v0, v0, v2, v3
	v_cvt_f32_f16_e64 v169, v157
	v_cvt_f32_f16_e64 v15, v140
	;; [unrolled: 1-line block ×3, first 2 shown]
	v_add_f32_e32 v40, v40, v138
	v_dual_add_f32 v2, 0x40051340, v38 :: v_dual_add_f32 v3, 0x40051340, v39
	v_add_f32_e32 v44, v44, v165
	v_max3_num_f32 v0, v0, v1, v4
	v_cvt_f32_f16_e64 v168, v167
	v_lshrrev_b32_e32 v167, 16, v167
	v_lshrrev_b32_e32 v157, 16, v157
	v_add_f32_e32 v43, v43, v15
	v_max3_num_f32 v0, v0, v2, v3
	v_dual_add_f32 v45, v45, v59 :: v_dual_add_f32 v54, v63, v169
	v_dual_add_f32 v1, 0x40051340, v40 :: v_dual_add_f32 v2, 0x40051340, v42
	v_add_f32_e32 v4, 0x40051340, v41
	s_wait_dscnt 0x5
	v_cvt_f32_f16_e64 v171, v159
	v_cvt_f32_f16_e64 v60, v167
	;; [unrolled: 1-line block ×3, first 2 shown]
	v_dual_add_f32 v46, v46, v168 :: v_dual_add_f32 v3, 0x40051340, v43
	v_max3_num_f32 v0, v0, v1, v4
	v_cvt_f32_f16_e64 v170, v158
	v_lshrrev_b32_e32 v158, 16, v158
	v_lshrrev_b32_e32 v159, 16, v159
	v_dual_add_f32 v47, v47, v60 :: v_dual_add_f32 v4, 0x40051340, v45
	v_max3_num_f32 v0, v0, v2, v3
	v_dual_add_f32 v55, v64, v72 :: v_dual_add_f32 v58, v67, v171
	v_add_f32_e32 v1, 0x40051340, v44
	s_wait_dscnt 0x3
	v_cvt_f32_f16_e64 v173, v161
	v_cvt_f32_f16_e64 v73, v158
	;; [unrolled: 1-line block ×3, first 2 shown]
	v_add_f32_e32 v2, 0x40051340, v46
	v_max3_num_f32 v0, v0, v1, v4
	v_dual_add_f32 v56, v65, v170 :: v_dual_add_f32 v3, 0x40051340, v47
	v_cvt_f32_f16_e64 v172, v160
	v_lshrrev_b32_e32 v160, 16, v160
	v_lshrrev_b32_e32 v161, 16, v161
	v_dual_add_f32 v57, v66, v73 :: v_dual_add_f32 v4, 0x40051340, v55
	v_max3_num_f32 v0, v0, v2, v3
	v_dual_add_f32 v59, v68, v74 :: v_dual_add_f32 v64, v101, v173
	v_add_f32_e32 v1, 0x40051340, v54
	s_wait_dscnt 0x2
	v_cvt_f32_f16_e64 v174, v162
	v_cvt_f32_f16_e64 v75, v160
	;; [unrolled: 1-line block ×3, first 2 shown]
	v_add_f32_e32 v2, 0x40051340, v56
	v_max3_num_f32 v0, v0, v1, v4
	v_dual_add_f32 v60, v69, v172 :: v_dual_add_f32 v3, 0x40051340, v57
	v_lshrrev_b32_e32 v162, 16, v162
	s_wait_dscnt 0x0
	v_cvt_f32_f16_e64 v176, v164
	v_lshrrev_b32_e32 v164, 16, v164
	v_dual_add_f32 v63, v70, v75 :: v_dual_add_f32 v66, v103, v174
	v_add_f32_e32 v4, 0x40051340, v59
	v_max3_num_f32 v0, v0, v2, v3
	v_add_f32_e32 v65, v102, v99
	v_add_f32_e32 v1, 0x40051340, v58
	v_cvt_f32_f16_e64 v175, v163
	v_lshrrev_b32_e32 v163, 16, v163
	v_cvt_f32_f16_e64 v76, v162
	v_cvt_f32_f16_e64 v78, v164
	v_dual_add_f32 v2, 0x40051340, v60 :: v_dual_add_f32 v3, 0x40051340, v63
	v_add_f32_e32 v70, v107, v176
	v_max3_num_f32 v0, v0, v1, v4
	v_cvt_f32_f16_e64 v77, v163
	v_dual_add_f32 v67, v104, v76 :: v_dual_add_f32 v68, v105, v175
	v_dual_add_f32 v1, 0x40051340, v64 :: v_dual_add_f32 v72, v108, v78
	s_delay_alu instid0(VALU_DEP_4) | instskip(SKIP_2) | instid1(VALU_DEP_4)
	v_max3_num_f32 v0, v0, v2, v3
	v_add_f32_e32 v2, 0x40051340, v66
	v_add_f32_e32 v4, 0x40051340, v65
	v_dual_add_f32 v69, v106, v77 :: v_dual_add_f32 v6, 0x40051340, v72
	v_add_f32_e32 v3, 0x40051340, v67
	v_add_f32_e32 v5, 0x40051340, v70
	s_delay_alu instid0(VALU_DEP_4) | instskip(NEXT) | instid1(VALU_DEP_4)
	v_max3_num_f32 v0, v0, v1, v4
	v_dual_add_f32 v1, 0x40051340, v68 :: v_dual_add_f32 v4, 0x40051340, v69
	s_delay_alu instid0(VALU_DEP_2) | instskip(SKIP_3) | instid1(VALU_DEP_3)
	v_max3_num_f32 v0, v0, v2, v3
	v_add_co_u32 v2, vcc_lo, s8, v97
	s_wait_alu 0xfffd
	v_add_co_ci_u32_e64 v3, null, s9, v98, vcc_lo
	v_max3_num_f32 v0, v0, v1, v4
	s_delay_alu instid0(VALU_DEP_3) | instskip(SKIP_1) | instid1(VALU_DEP_3)
	v_add_co_u32 v1, vcc_lo, v2, v149
	s_wait_alu 0xfffd
	v_add_co_ci_u32_e64 v4, null, v3, v150, vcc_lo
	s_delay_alu instid0(VALU_DEP_3)
	v_max3_num_f32 v6, v0, v5, v6
	v_add_co_u32 v5, vcc_lo, v2, v151
	s_wait_alu 0xfffd
	v_add_co_ci_u32_e64 v7, null, v3, v152, vcc_lo
	ds_bpermute_b32 v10, v49, v6
	v_add_co_u32 v8, vcc_lo, v2, v153
	s_wait_alu 0xfffd
	v_add_co_ci_u32_e64 v9, null, v3, v154, vcc_lo
	v_add_co_u32 v2, vcc_lo, v2, v155
	s_wait_alu 0xfffd
	v_add_co_ci_u32_e64 v3, null, v3, v156, vcc_lo
	;; [unrolled: 3-line block ×5, first 2 shown]
	s_wait_dscnt 0x0
	v_max_num_f32_e32 v7, v10, v10
	v_add_co_u32 v12, vcc_lo, v2, v61
	s_wait_alu 0xfffd
	v_add_co_ci_u32_e64 v13, null, v3, v62, vcc_lo
	s_delay_alu instid0(VALU_DEP_3)
	v_max_num_f32_e32 v32, v6, v7
	s_clause 0x3
	global_load_b128 v[0:3], v[0:1], off
	global_load_b128 v[4:7], v[4:5], off
	;; [unrolled: 1-line block ×4, first 2 shown]
	s_wait_loadcnt 0x3
	ds_store_b128 v50, v[0:3]
	s_wait_loadcnt 0x2
	ds_store_b128 v51, v[4:7]
	;; [unrolled: 2-line block ×4, first 2 shown]
	v_sub_f32_e32 v34, v34, v32
	v_sub_f32_e32 v61, v79, v32
	;; [unrolled: 1-line block ×4, first 2 shown]
	s_delay_alu instid0(VALU_DEP_4) | instskip(NEXT) | instid1(VALU_DEP_4)
	v_dual_sub_f32 v41, v41, v32 :: v_dual_mul_f32 v74, 0x3fb8aa3b, v34
	v_dual_sub_f32 v33, v33, v32 :: v_dual_mul_f32 v62, 0x3fb8aa3b, v61
	v_sub_f32_e32 v38, v38, v32
	s_delay_alu instid0(VALU_DEP_4) | instskip(NEXT) | instid1(VALU_DEP_4)
	v_dual_mul_f32 v106, 0x3fb8aa3b, v54 :: v_dual_sub_f32 v37, v37, v32
	v_mul_f32_e32 v98, 0x3fb8aa3b, v41
	s_delay_alu instid0(VALU_DEP_4) | instskip(SKIP_3) | instid1(VALU_DEP_3)
	v_fma_f32 v107, 0x3fb8aa3b, v61, -v62
	v_rndne_f32_e32 v108, v62
	v_mul_f32_e32 v73, 0x3fb8aa3b, v33
	v_dual_sub_f32 v35, v35, v32 :: v_dual_mul_f32 v78, 0x3fb8aa3b, v38
	v_dual_fmac_f32 v107, 0x32a5705f, v61 :: v_dual_sub_f32 v62, v62, v108
	v_sub_f32_e32 v45, v45, v32
	s_delay_alu instid0(VALU_DEP_4)
	v_fma_f32 v109, 0x3fb8aa3b, v33, -v73
	v_rndne_f32_e32 v110, v73
	v_dual_sub_f32 v42, v42, v32 :: v_dual_mul_f32 v77, 0x3fb8aa3b, v37
	v_add_f32_e32 v62, v62, v107
	v_dual_mul_f32 v76, 0x3fb8aa3b, v36 :: v_dual_mul_f32 v103, 0x3fb8aa3b, v45
	v_fma_f32 v111, 0x3fb8aa3b, v34, -v74
	v_rndne_f32_e32 v112, v74
	v_fmac_f32_e32 v109, 0x32a5705f, v33
	s_delay_alu instid0(VALU_DEP_4)
	v_rndne_f32_e32 v116, v76
	v_dual_sub_f32 v73, v73, v110 :: v_dual_sub_f32 v46, v46, v32
	v_mul_f32_e32 v99, 0x3fb8aa3b, v42
	v_sub_f32_e32 v39, v39, v32
	v_fma_f32 v115, 0x3fb8aa3b, v36, -v76
	v_rndne_f32_e32 v120, v78
	v_dual_fmac_f32 v111, 0x32a5705f, v34 :: v_dual_sub_f32 v74, v74, v112
	v_dual_sub_f32 v76, v76, v116 :: v_dual_add_f32 v73, v73, v109
	v_exp_f32_e32 v62, v62
	v_dual_sub_f32 v40, v40, v32 :: v_dual_mul_f32 v75, 0x3fb8aa3b, v35
	v_mul_f32_e32 v104, 0x3fb8aa3b, v46
	v_dual_sub_f32 v44, v44, v32 :: v_dual_mul_f32 v79, 0x3fb8aa3b, v39
	v_fma_f32 v119, 0x3fb8aa3b, v38, -v78
	v_cvt_i32_f32_e32 v108, v108
	v_sub_f32_e32 v78, v78, v120
	v_dual_sub_f32 v47, v47, v32 :: v_dual_add_f32 v74, v74, v111
	v_exp_f32_e32 v73, v73
	v_mul_f32_e32 v102, 0x3fb8aa3b, v44
	v_fma_f32 v113, 0x3fb8aa3b, v35, -v75
	v_rndne_f32_e32 v114, v75
	v_fma_f32 v121, 0x3fb8aa3b, v39, -v79
	v_cvt_i32_f32_e32 v110, v110
	v_exp_f32_e32 v74, v74
	v_ldexp_f32 v62, v62, v108
	v_cmp_ngt_f32_e32 vcc_lo, 0xc2ce8ed0, v61
	v_mul_f32_e32 v105, 0x3fb8aa3b, v47
	v_rndne_f32_e32 v132, v102
	v_rndne_f32_e32 v136, v104
	v_cvt_i32_f32_e32 v112, v112
	v_fmac_f32_e32 v113, 0x32a5705f, v35
	v_sub_f32_e32 v75, v75, v114
	s_wait_alu 0xfffd
	v_dual_fmac_f32 v121, 0x32a5705f, v39 :: v_dual_cndmask_b32 v62, 0, v62
	v_ldexp_f32 v73, v73, v110
	v_cmp_ngt_f32_e32 vcc_lo, 0xc2ce8ed0, v33
	v_fma_f32 v125, 0x3fb8aa3b, v41, -v98
	v_rndne_f32_e32 v126, v98
	v_fma_f32 v131, 0x3fb8aa3b, v44, -v102
	v_fma_f32 v135, 0x3fb8aa3b, v46, -v104
	v_sub_f32_e32 v102, v102, v132
	v_dual_sub_f32 v104, v104, v136 :: v_dual_add_f32 v75, v75, v113
	v_ldexp_f32 v74, v74, v112
	s_wait_alu 0xfffd
	v_cndmask_b32_e32 v73, 0, v73, vcc_lo
	v_cmp_ngt_f32_e32 vcc_lo, 0xc2ce8ed0, v34
	v_dual_sub_f32 v43, v43, v32 :: v_dual_sub_f32 v98, v98, v126
	v_fmac_f32_e32 v125, 0x32a5705f, v41
	v_exp_f32_e32 v75, v75
	s_wait_alu 0xfffd
	v_dual_cndmask_b32 v74, 0, v74 :: v_dual_fmac_f32 v115, 0x32a5705f, v36
	v_cmp_nlt_f32_e32 vcc_lo, 0x42b17218, v61
	v_fma_f32 v117, 0x3fb8aa3b, v37, -v77
	v_rndne_f32_e32 v118, v77
	v_rndne_f32_e32 v122, v79
	v_cvt_i32_f32_e32 v114, v114
	v_dual_add_f32 v98, v98, v125 :: v_dual_sub_f32 v55, v55, v32
	s_wait_alu 0xfffd
	v_dual_add_f32 v76, v76, v115 :: v_dual_cndmask_b32 v61, 0x7f800000, v62
	v_cmp_nlt_f32_e32 vcc_lo, 0x42b17218, v33
	v_sub_f32_e32 v79, v79, v122
	v_fmac_f32_e32 v131, 0x32a5705f, v44
	v_fmac_f32_e32 v117, 0x32a5705f, v37
	v_dual_fmac_f32 v135, 0x32a5705f, v46 :: v_dual_sub_f32 v56, v56, v32
	v_sub_f32_e32 v77, v77, v118
	v_exp_f32_e32 v76, v76
	v_ldexp_f32 v75, v75, v114
	s_wait_alu 0xfffd
	v_cndmask_b32_e32 v62, 0x7f800000, v73, vcc_lo
	v_cmp_ngt_f32_e32 vcc_lo, 0xc2ce8ed0, v35
	v_rndne_f32_e32 v128, v99
	v_cvt_i32_f32_e32 v116, v116
	v_add_f32_e32 v102, v102, v131
	v_dual_add_f32 v104, v104, v135 :: v_dual_add_f32 v77, v77, v117
	s_wait_alu 0xfffd
	v_cndmask_b32_e32 v33, 0, v75, vcc_lo
	v_cmp_nlt_f32_e32 vcc_lo, 0x42b17218, v34
	v_fma_f32 v127, 0x3fb8aa3b, v42, -v99
	v_sub_f32_e32 v99, v99, v128
	v_exp_f32_e32 v77, v77
	v_ldexp_f32 v76, v76, v116
	s_wait_alu 0xfffd
	v_cndmask_b32_e32 v34, 0x7f800000, v74, vcc_lo
	v_cmp_ngt_f32_e32 vcc_lo, 0xc2ce8ed0, v36
	v_fmac_f32_e32 v119, 0x32a5705f, v38
	v_cvt_i32_f32_e32 v118, v118
	v_add_f32_e32 v73, v61, v62
	v_cvt_i32_f32_e32 v120, v120
	s_wait_alu 0xfffd
	v_cndmask_b32_e32 v74, 0, v76, vcc_lo
	v_dual_mul_f32 v97, 0x3fb8aa3b, v40 :: v_dual_add_f32 v78, v78, v119
	v_cmp_nlt_f32_e32 vcc_lo, 0x42b17218, v35
	v_ldexp_f32 v77, v77, v118
	v_add_f32_e32 v79, v79, v121
	s_delay_alu instid0(VALU_DEP_4)
	v_fma_f32 v123, 0x3fb8aa3b, v40, -v97
	v_exp_f32_e32 v78, v78
	s_wait_alu 0xfffd
	v_cndmask_b32_e32 v35, 0x7f800000, v33, vcc_lo
	v_cmp_ngt_f32_e32 vcc_lo, 0xc2ce8ed0, v37
	v_rndne_f32_e32 v124, v97
	v_add_f32_e32 v33, v34, v73
	v_exp_f32_e32 v79, v79
	v_cvt_i32_f32_e32 v122, v122
	s_wait_alu 0xfffd
	v_cndmask_b32_e32 v73, 0, v77, vcc_lo
	v_cmp_nlt_f32_e32 vcc_lo, 0x42b17218, v36
	v_sub_f32_e32 v97, v97, v124
	v_ldexp_f32 v78, v78, v120
	v_cvt_i32_f32_e32 v124, v124
	v_exp_f32_e32 v98, v98
	s_wait_alu 0xfffd
	v_cndmask_b32_e32 v36, 0x7f800000, v74, vcc_lo
	v_cmp_ngt_f32_e32 vcc_lo, 0xc2ce8ed0, v38
	v_fmac_f32_e32 v123, 0x32a5705f, v40
	v_ldexp_f32 v79, v79, v122
	v_cvt_i32_f32_e32 v126, v126
	s_wait_alu 0xfffd
	v_dual_mul_f32 v101, 0x3fb8aa3b, v43 :: v_dual_cndmask_b32 v74, 0, v78
	v_add_f32_e32 v97, v97, v123
	v_cmp_nlt_f32_e32 vcc_lo, 0x42b17218, v37
	v_exp_f32_e32 v102, v102
	v_ldexp_f32 v98, v98, v126
	v_fma_f32 v129, 0x3fb8aa3b, v43, -v101
	v_exp_f32_e32 v97, v97
	s_wait_alu 0xfffd
	v_cndmask_b32_e32 v37, 0x7f800000, v73, vcc_lo
	v_cmp_ngt_f32_e32 vcc_lo, 0xc2ce8ed0, v39
	v_rndne_f32_e32 v130, v101
	v_cvt_i32_f32_e32 v128, v128
	v_cvt_i32_f32_e32 v132, v132
	v_exp_f32_e32 v104, v104
	s_wait_alu 0xfffd
	v_cndmask_b32_e32 v73, 0, v79, vcc_lo
	v_cmp_nlt_f32_e32 vcc_lo, 0x42b17218, v38
	v_fma_f32 v133, 0x3fb8aa3b, v45, -v103
	v_ldexp_f32 v97, v97, v124
	v_ldexp_f32 v102, v102, v132
	v_fmac_f32_e32 v129, 0x32a5705f, v43
	s_wait_alu 0xfffd
	v_cndmask_b32_e32 v38, 0x7f800000, v74, vcc_lo
	v_cmp_ngt_f32_e32 vcc_lo, 0xc2ce8ed0, v40
	v_fmac_f32_e32 v127, 0x32a5705f, v42
	v_rndne_f32_e32 v134, v103
	v_cvt_i32_f32_e32 v136, v136
	v_rndne_f32_e32 v138, v105
	s_wait_alu 0xfffd
	v_dual_cndmask_b32 v74, 0, v97 :: v_dual_add_f32 v99, v99, v127
	v_cmp_nlt_f32_e32 vcc_lo, 0x42b17218, v39
	v_sub_f32_e32 v103, v103, v134
	v_ldexp_f32 v104, v104, v136
	v_fmac_f32_e32 v133, 0x32a5705f, v45
	v_exp_f32_e32 v99, v99
	s_wait_alu 0xfffd
	v_cndmask_b32_e32 v39, 0x7f800000, v73, vcc_lo
	v_cmp_ngt_f32_e32 vcc_lo, 0xc2ce8ed0, v41
	v_cvt_i32_f32_e32 v134, v134
	v_add_f32_e32 v103, v103, v133
	v_fma_f32 v137, 0x3fb8aa3b, v47, -v105
	v_sub_f32_e32 v105, v105, v138
	s_wait_alu 0xfffd
	v_cndmask_b32_e32 v73, 0, v98, vcc_lo
	v_cmp_nlt_f32_e32 vcc_lo, 0x42b17218, v40
	v_exp_f32_e32 v103, v103
	v_ldexp_f32 v99, v99, v128
	v_fma_f32 v139, 0x3fb8aa3b, v54, -v106
	v_rndne_f32_e32 v140, v106
	s_wait_alu 0xfffd
	v_cndmask_b32_e32 v40, 0x7f800000, v74, vcc_lo
	v_cmp_ngt_f32_e32 vcc_lo, 0xc2ce8ed0, v42
	v_sub_f32_e32 v101, v101, v130
	v_cvt_i32_f32_e32 v130, v130
	v_fmac_f32_e32 v139, 0x32a5705f, v54
	s_wait_alu 0xfffd
	v_dual_sub_f32 v57, v57, v32 :: v_dual_cndmask_b32 v74, 0, v99
	v_add_f32_e32 v101, v101, v129
	v_cmp_nlt_f32_e32 vcc_lo, 0x42b17218, v41
	v_ldexp_f32 v103, v103, v134
	v_add3_u32 v110, 0, v96, v93
	v_add3_u32 v119, 0, v95, v93
	v_exp_f32_e32 v101, v101
	s_wait_alu 0xfffd
	v_cndmask_b32_e32 v73, 0x7f800000, v73, vcc_lo
	v_cmp_ngt_f32_e32 vcc_lo, 0xc2ce8ed0, v43
	v_add_nc_u32_e32 v4, 0x800, v110
	v_add3_u32 v118, 0, v94, v93
	v_cvt_f16_f32_e32 v109, v40
	s_wait_dscnt 0x0
	s_barrier_signal -1
	s_barrier_wait -1
	global_inv scope:SCOPE_SE
	v_ldexp_f32 v101, v101, v130
	v_add_nc_u32_e32 v5, 0xa00, v110
	v_cvt_f16_f32_e32 v34, v34
	s_wait_alu 0xfffd
	s_delay_alu instid0(VALU_DEP_3) | instskip(SKIP_4) | instid1(VALU_DEP_2)
	v_cndmask_b32_e32 v41, 0, v101, vcc_lo
	v_cmp_nlt_f32_e32 vcc_lo, 0x42b17218, v42
	s_wait_alu 0xfffd
	v_cndmask_b32_e32 v74, 0x7f800000, v74, vcc_lo
	v_cmp_ngt_f32_e32 vcc_lo, 0xc2ce8ed0, v44
	v_cvt_f16_f32_e32 v13, v74
	s_wait_alu 0xfffd
	v_cndmask_b32_e32 v42, 0, v102, vcc_lo
	v_cmp_nlt_f32_e32 vcc_lo, 0x42b17218, v43
	v_sub_f32_e32 v43, v106, v140
	s_wait_alu 0xfffd
	v_cndmask_b32_e32 v75, 0x7f800000, v41, vcc_lo
	v_cmp_ngt_f32_e32 vcc_lo, 0xc2ce8ed0, v45
	s_delay_alu instid0(VALU_DEP_3) | instskip(SKIP_3) | instid1(VALU_DEP_3)
	v_add_f32_e32 v43, v43, v139
	s_wait_alu 0xfffd
	v_cndmask_b32_e32 v41, 0, v103, vcc_lo
	v_cmp_nlt_f32_e32 vcc_lo, 0x42b17218, v44
	v_exp_f32_e32 v43, v43
	s_wait_alu 0xfffd
	v_cndmask_b32_e32 v44, 0x7f800000, v42, vcc_lo
	v_cmp_ngt_f32_e32 vcc_lo, 0xc2ce8ed0, v46
	s_delay_alu instid0(VALU_DEP_2)
	v_cvt_f16_f32_e32 v14, v44
	s_wait_alu 0xfffd
	v_cndmask_b32_e32 v42, 0, v104, vcc_lo
	v_cmp_nlt_f32_e32 vcc_lo, 0x42b17218, v45
	s_wait_alu 0xfffd
	v_cndmask_b32_e32 v76, 0x7f800000, v41, vcc_lo
	v_cmp_nlt_f32_e32 vcc_lo, 0x42b17218, v46
	v_cvt_i32_f32_e32 v41, v138
	s_wait_alu 0xfffd
	v_cndmask_b32_e32 v77, 0x7f800000, v42, vcc_lo
	v_mul_f32_e32 v42, 0x3fb8aa3b, v55
	v_cmp_ngt_f32_e32 vcc_lo, 0xc2ce8ed0, v47
	s_delay_alu instid0(VALU_DEP_2) | instskip(SKIP_1) | instid1(VALU_DEP_1)
	v_fma_f32 v45, 0x3fb8aa3b, v55, -v42
	v_rndne_f32_e32 v46, v42
	v_dual_fmac_f32 v45, 0x32a5705f, v55 :: v_dual_sub_f32 v42, v42, v46
	v_fmac_f32_e32 v137, 0x32a5705f, v47
	v_cvt_i32_f32_e32 v46, v46
	s_delay_alu instid0(VALU_DEP_3) | instskip(NEXT) | instid1(VALU_DEP_3)
	v_add_f32_e32 v42, v42, v45
	v_add_f32_e32 v105, v105, v137
	v_mul_f32_e32 v45, 0x3fb8aa3b, v56
	s_delay_alu instid0(VALU_DEP_3) | instskip(NEXT) | instid1(VALU_DEP_2)
	v_exp_f32_e32 v42, v42
	v_exp_f32_e32 v105, v105
	s_delay_alu instid0(VALU_DEP_1) | instskip(NEXT) | instid1(TRANS32_DEP_1)
	v_rndne_f32_e32 v78, v45
	v_ldexp_f32 v41, v105, v41
	s_wait_alu 0xfffd
	s_delay_alu instid0(VALU_DEP_1) | instskip(SKIP_2) | instid1(VALU_DEP_2)
	v_cndmask_b32_e32 v41, 0, v41, vcc_lo
	v_cmp_nlt_f32_e32 vcc_lo, 0x42b17218, v47
	s_wait_alu 0xfffd
	v_cndmask_b32_e32 v47, 0x7f800000, v41, vcc_lo
	v_cvt_i32_f32_e32 v41, v140
	v_cmp_ngt_f32_e32 vcc_lo, 0xc2ce8ed0, v54
	s_delay_alu instid0(VALU_DEP_2) | instskip(SKIP_3) | instid1(VALU_DEP_3)
	v_ldexp_f32 v41, v43, v41
	v_fma_f32 v43, 0x3fb8aa3b, v56, -v45
	v_sub_f32_e32 v45, v45, v78
	s_wait_alu 0xfffd
	v_cndmask_b32_e32 v41, 0, v41, vcc_lo
	s_delay_alu instid0(VALU_DEP_3)
	v_fmac_f32_e32 v43, 0x32a5705f, v56
	v_cmp_nlt_f32_e32 vcc_lo, 0x42b17218, v54
	v_sub_f32_e32 v54, v58, v32
	v_sub_f32_e32 v58, v59, v32
	;; [unrolled: 1-line block ×3, first 2 shown]
	s_wait_alu 0xfffd
	v_cndmask_b32_e32 v79, 0x7f800000, v41, vcc_lo
	v_ldexp_f32 v41, v42, v46
	v_dual_add_f32 v42, v45, v43 :: v_dual_mul_f32 v43, 0x3fb8aa3b, v57
	v_cmp_ngt_f32_e32 vcc_lo, 0xc2ce8ed0, v55
	s_delay_alu instid0(VALU_DEP_4) | instskip(NEXT) | instid1(VALU_DEP_3)
	v_cvt_f16_f32_e32 v124, v79
	v_exp_f32_e32 v42, v42
	s_delay_alu instid0(VALU_DEP_3)
	v_fma_f32 v45, 0x3fb8aa3b, v57, -v43
	s_wait_alu 0xfffd
	v_cndmask_b32_e32 v41, 0, v41, vcc_lo
	v_rndne_f32_e32 v46, v43
	v_cmp_nlt_f32_e32 vcc_lo, 0x42b17218, v55
	v_mul_f32_e32 v55, 0x3fb8aa3b, v54
	v_fmac_f32_e32 v45, 0x32a5705f, v57
	s_delay_alu instid0(VALU_DEP_4) | instskip(SKIP_4) | instid1(VALU_DEP_3)
	v_sub_f32_e32 v43, v43, v46
	s_wait_alu 0xfffd
	v_cndmask_b32_e32 v97, 0x7f800000, v41, vcc_lo
	v_cvt_i32_f32_e32 v41, v78
	v_cmp_ngt_f32_e32 vcc_lo, 0xc2ce8ed0, v56
	v_cvt_f16_f32_e32 v125, v97
	s_delay_alu instid0(VALU_DEP_3)
	v_ldexp_f32 v41, v42, v41
	v_add_f32_e32 v42, v43, v45
	v_fma_f32 v43, 0x3fb8aa3b, v54, -v55
	v_rndne_f32_e32 v45, v55
	s_wait_alu 0xfffd
	v_cndmask_b32_e32 v41, 0, v41, vcc_lo
	v_exp_f32_e32 v42, v42
	v_fmac_f32_e32 v43, 0x32a5705f, v54
	v_sub_f32_e32 v55, v55, v45
	v_cmp_nlt_f32_e32 vcc_lo, 0x42b17218, v56
	v_cvt_i32_f32_e32 v45, v45
	s_delay_alu instid0(VALU_DEP_3)
	v_dual_sub_f32 v56, v60, v32 :: v_dual_add_f32 v43, v55, v43
	s_wait_alu 0xfffd
	v_cndmask_b32_e32 v78, 0x7f800000, v41, vcc_lo
	v_cvt_i32_f32_e32 v41, v46
	v_mul_f32_e32 v46, 0x3fb8aa3b, v58
	v_cmp_ngt_f32_e32 vcc_lo, 0xc2ce8ed0, v57
	s_delay_alu instid0(VALU_DEP_4) | instskip(NEXT) | instid1(VALU_DEP_4)
	v_cvt_f16_f32_e32 v126, v78
	v_ldexp_f32 v41, v42, v41
	v_exp_f32_e32 v42, v43
	v_fma_f32 v43, 0x3fb8aa3b, v58, -v46
	v_rndne_f32_e32 v55, v46
	s_wait_alu 0xfffd
	v_cndmask_b32_e32 v41, 0, v41, vcc_lo
	v_cmp_nlt_f32_e32 vcc_lo, 0x42b17218, v57
	s_delay_alu instid0(VALU_DEP_3) | instskip(SKIP_1) | instid1(VALU_DEP_3)
	v_dual_fmac_f32 v43, 0x32a5705f, v58 :: v_dual_sub_f32 v46, v46, v55
	s_wait_alu 0xfffd
	v_dual_sub_f32 v57, v63, v32 :: v_dual_cndmask_b32 v60, 0x7f800000, v41
	s_delay_alu instid0(TRANS32_DEP_1) | instskip(NEXT) | instid1(VALU_DEP_3)
	v_ldexp_f32 v41, v42, v45
	v_dual_add_f32 v42, v46, v43 :: v_dual_mul_f32 v43, 0x3fb8aa3b, v56
	v_cmp_ngt_f32_e32 vcc_lo, 0xc2ce8ed0, v54
	s_delay_alu instid0(VALU_DEP_4) | instskip(NEXT) | instid1(VALU_DEP_3)
	v_cvt_f16_f32_e32 v127, v60
	v_exp_f32_e32 v42, v42
	s_delay_alu instid0(VALU_DEP_3)
	v_fma_f32 v45, 0x3fb8aa3b, v56, -v43
	s_wait_alu 0xfffd
	v_cndmask_b32_e32 v41, 0, v41, vcc_lo
	v_rndne_f32_e32 v46, v43
	v_cmp_nlt_f32_e32 vcc_lo, 0x42b17218, v54
	v_mul_f32_e32 v54, 0x3fb8aa3b, v57
	v_fmac_f32_e32 v45, 0x32a5705f, v56
	s_delay_alu instid0(VALU_DEP_4)
	v_sub_f32_e32 v43, v43, v46
	s_wait_alu 0xfffd
	v_cndmask_b32_e32 v63, 0x7f800000, v41, vcc_lo
	v_cvt_i32_f32_e32 v41, v55
	v_cmp_ngt_f32_e32 vcc_lo, 0xc2ce8ed0, v58
	v_sub_f32_e32 v55, v64, v32
	s_delay_alu instid0(VALU_DEP_4) | instskip(NEXT) | instid1(VALU_DEP_4)
	v_cvt_f16_f32_e32 v120, v63
	v_ldexp_f32 v41, v42, v41
	v_add_f32_e32 v42, v43, v45
	v_fma_f32 v43, 0x3fb8aa3b, v57, -v54
	v_rndne_f32_e32 v45, v54
	s_wait_alu 0xfffd
	v_cndmask_b32_e32 v41, 0, v41, vcc_lo
	v_exp_f32_e32 v42, v42
	v_fmac_f32_e32 v43, 0x32a5705f, v57
	v_sub_f32_e32 v54, v54, v45
	v_cmp_nlt_f32_e32 vcc_lo, 0x42b17218, v58
	v_cvt_i32_f32_e32 v45, v45
	s_wait_alu 0xfffd
	s_delay_alu instid0(VALU_DEP_3) | instskip(SKIP_3) | instid1(VALU_DEP_4)
	v_dual_add_f32 v43, v54, v43 :: v_dual_cndmask_b32 v64, 0x7f800000, v41
	v_cvt_i32_f32_e32 v41, v46
	v_mul_f32_e32 v46, 0x3fb8aa3b, v55
	v_cmp_ngt_f32_e32 vcc_lo, 0xc2ce8ed0, v56
	v_cvt_f16_f32_e32 v121, v64
	s_delay_alu instid0(VALU_DEP_4)
	v_ldexp_f32 v41, v42, v41
	v_exp_f32_e32 v42, v43
	v_fma_f32 v43, 0x3fb8aa3b, v55, -v46
	v_rndne_f32_e32 v54, v46
	s_wait_alu 0xfffd
	v_cndmask_b32_e32 v41, 0, v41, vcc_lo
	v_cmp_nlt_f32_e32 vcc_lo, 0x42b17218, v56
	s_delay_alu instid0(VALU_DEP_3)
	v_dual_fmac_f32 v43, 0x32a5705f, v55 :: v_dual_sub_f32 v46, v46, v54
	v_add_f32_e32 v33, v35, v33
	v_cvt_f16_f32_e32 v35, v35
	s_wait_alu 0xfffd
	v_cndmask_b32_e32 v98, 0x7f800000, v41, vcc_lo
	v_ldexp_f32 v41, v42, v45
	v_dual_add_f32 v42, v46, v43 :: v_dual_sub_f32 v43, v65, v32
	v_cmp_ngt_f32_e32 vcc_lo, 0xc2ce8ed0, v57
	v_sub_f32_e32 v46, v66, v32
	v_pack_b32_f16 v9, v34, v35
	s_delay_alu instid0(VALU_DEP_4)
	v_exp_f32_e32 v42, v42
	v_mul_f32_e32 v45, 0x3fb8aa3b, v43
	s_wait_alu 0xfffd
	v_cndmask_b32_e32 v41, 0, v41, vcc_lo
	v_cmp_nlt_f32_e32 vcc_lo, 0x42b17218, v57
	v_mul_f32_e32 v57, 0x3fb8aa3b, v46
	v_cvt_f16_f32_e64 v128, v98
	v_rndne_f32_e32 v56, v45
	v_add_nc_u32_e32 v34, 0x1800, v119
	s_wait_alu 0xfffd
	v_cndmask_b32_e32 v65, 0x7f800000, v41, vcc_lo
	v_cvt_i32_f32_e32 v41, v54
	v_fma_f32 v54, 0x3fb8aa3b, v43, -v45
	v_add_f32_e32 v33, v36, v33
	v_cmp_ngt_f32_e32 vcc_lo, 0xc2ce8ed0, v55
	v_rndne_f32_e32 v58, v57
	v_ldexp_f32 v41, v42, v41
	v_fmac_f32_e32 v54, 0x32a5705f, v43
	v_sub_f32_e32 v42, v45, v56
	v_add_f32_e32 v33, v37, v33
	v_fma_f32 v45, 0x3fb8aa3b, v46, -v57
	s_wait_alu 0xfffd
	v_cndmask_b32_e32 v41, 0, v41, vcc_lo
	v_cmp_nlt_f32_e32 vcc_lo, 0x42b17218, v55
	v_add_f32_e32 v42, v42, v54
	v_dual_add_f32 v33, v38, v33 :: v_dual_sub_f32 v54, v57, v58
	v_fmac_f32_e32 v45, 0x32a5705f, v46
	v_mul_f32_e32 v57, 0x3fb8aa3b, v59
	s_wait_alu 0xfffd
	v_cndmask_b32_e32 v99, 0x7f800000, v41, vcc_lo
	v_exp_f32_e32 v41, v42
	v_dual_sub_f32 v55, v68, v32 :: v_dual_add_f32 v42, v54, v45
	v_fma_f32 v45, 0x3fb8aa3b, v59, -v57
	v_rndne_f32_e32 v54, v57
	v_cvt_i32_f32_e32 v56, v56
	s_delay_alu instid0(VALU_DEP_4) | instskip(SKIP_3) | instid1(TRANS32_DEP_2)
	v_dual_add_f32 v33, v39, v33 :: v_dual_mul_f32 v66, 0x3fb8aa3b, v55
	v_exp_f32_e32 v42, v42
	v_fmac_f32_e32 v45, 0x32a5705f, v59
	v_sub_f32_e32 v57, v57, v54
	v_ldexp_f32 v41, v41, v56
	v_cmp_ngt_f32_e32 vcc_lo, 0xc2ce8ed0, v43
	v_cvt_i32_f32_e32 v56, v58
	v_rndne_f32_e32 v58, v66
	v_add_f32_e32 v45, v57, v45
	v_fma_f32 v57, 0x3fb8aa3b, v55, -v66
	s_wait_alu 0xfffd
	v_cndmask_b32_e32 v41, 0, v41, vcc_lo
	v_cmp_nlt_f32_e32 vcc_lo, 0x42b17218, v43
	v_ldexp_f32 v42, v42, v56
	v_exp_f32_e32 v45, v45
	v_dual_fmac_f32 v57, 0x32a5705f, v55 :: v_dual_sub_f32 v56, v66, v58
	s_wait_alu 0xfffd
	v_cndmask_b32_e32 v101, 0x7f800000, v41, vcc_lo
	v_cmp_ngt_f32_e32 vcc_lo, 0xc2ce8ed0, v46
	v_add_f32_e32 v33, v40, v33
	v_cvt_i32_f32_e32 v41, v54
	v_add_f32_e32 v43, v56, v57
	v_sub_f32_e32 v54, v100, v32
	s_wait_alu 0xfffd
	v_cndmask_b32_e32 v42, 0, v42, vcc_lo
	v_cmp_nlt_f32_e32 vcc_lo, 0x42b17218, v46
	v_add_f32_e32 v33, v73, v33
	v_ldexp_f32 v41, v45, v41
	v_cvt_i32_f32_e32 v45, v58
	v_sub_f32_e32 v58, v72, v32
	s_wait_alu 0xfffd
	v_cndmask_b32_e32 v106, 0x7f800000, v42, vcc_lo
	v_exp_f32_e32 v42, v43
	v_cmp_ngt_f32_e32 vcc_lo, 0xc2ce8ed0, v59
	v_sub_f32_e32 v43, v69, v32
	v_mul_f32_e32 v67, 0x3fb8aa3b, v58
	v_cvt_f16_f32_e32 v38, v38
	v_cvt_f16_f32_e32 v39, v39
	s_wait_alu 0xfffd
	v_cndmask_b32_e32 v41, 0, v41, vcc_lo
	v_cmp_nlt_f32_e32 vcc_lo, 0x42b17218, v59
	v_rndne_f32_e32 v68, v67
	v_cvt_f16_f32_e32 v100, v62
	v_ldexp_f32 v42, v42, v45
	v_pack_b32_f16 v11, v38, v39
	s_wait_alu 0xfffd
	v_cndmask_b32_e32 v107, 0x7f800000, v41, vcc_lo
	v_mul_f32_e32 v41, 0x3fb8aa3b, v43
	v_cmp_ngt_f32_e32 vcc_lo, 0xc2ce8ed0, v55
	v_add_nc_u32_e32 v38, 0x800, v118
	v_add_nc_u32_e32 v39, 0x800, v119
	v_cvt_f16_f32_e32 v12, v73
	v_fma_f32 v45, 0x3fb8aa3b, v43, -v41
	v_rndne_f32_e32 v46, v41
	s_wait_alu 0xfffd
	v_cndmask_b32_e32 v42, 0, v42, vcc_lo
	v_cmp_nlt_f32_e32 vcc_lo, 0x42b17218, v55
	v_add_f32_e32 v33, v74, v33
	v_fmac_f32_e32 v45, 0x32a5705f, v43
	v_sub_f32_e32 v41, v41, v46
	v_cvt_i32_f32_e32 v46, v46
	s_wait_alu 0xfffd
	v_dual_cndmask_b32 v108, 0x7f800000, v42 :: v_dual_add_f32 v33, v75, v33
	s_delay_alu instid0(VALU_DEP_3) | instskip(SKIP_3) | instid1(VALU_DEP_4)
	v_dual_mul_f32 v42, 0x3fb8aa3b, v54 :: v_dual_add_f32 v41, v41, v45
	v_cmp_ngt_f32_e32 vcc_lo, 0xc2ce8ed0, v43
	v_sub_f32_e32 v55, v70, v32
	v_cvt_f16_f32_e32 v111, v75
	v_fma_f32 v45, 0x3fb8aa3b, v54, -v42
	v_rndne_f32_e32 v56, v42
	v_add_f32_e32 v33, v44, v33
	v_exp_f32_e32 v41, v41
	v_mul_f32_e32 v57, 0x3fb8aa3b, v55
	s_delay_alu instid0(VALU_DEP_3) | instskip(NEXT) | instid1(VALU_DEP_3)
	v_dual_fmac_f32 v45, 0x32a5705f, v54 :: v_dual_sub_f32 v42, v42, v56
	v_add_f32_e32 v33, v76, v33
	v_cvt_i32_f32_e32 v56, v56
	s_delay_alu instid0(VALU_DEP_4) | instskip(SKIP_3) | instid1(TRANS32_DEP_1)
	v_fma_f32 v59, 0x3fb8aa3b, v55, -v57
	v_rndne_f32_e32 v66, v57
	v_add_f32_e32 v42, v42, v45
	v_cvt_f16_f32_e32 v44, v76
	v_ldexp_f32 v41, v41, v46
	v_dual_sub_f32 v46, v67, v68 :: v_dual_fmac_f32 v59, 0x32a5705f, v55
	s_delay_alu instid0(VALU_DEP_4)
	v_exp_f32_e32 v42, v42
	v_sub_f32_e32 v45, v57, v66
	s_wait_alu 0xfffd
	v_cndmask_b32_e32 v41, 0, v41, vcc_lo
	v_cmp_nlt_f32_e32 vcc_lo, 0x42b17218, v43
	v_fma_f32 v57, 0x3fb8aa3b, v58, -v67
	v_cvt_f16_f32_e32 v15, v77
	v_add_f32_e32 v45, v45, v59
	v_cvt_f16_f32_e64 v129, v65
	s_wait_alu 0xfffd
	v_cndmask_b32_e32 v70, 0x7f800000, v41, vcc_lo
	v_cmp_ngt_f32_e32 vcc_lo, 0xc2ce8ed0, v54
	v_ldexp_f32 v42, v42, v56
	v_add_f32_e32 v33, v77, v33
	v_exp_f32_e32 v45, v45
	v_fmac_f32_e32 v57, 0x32a5705f, v58
	v_cvt_i32_f32_e32 v41, v66
	s_wait_alu 0xfffd
	v_cndmask_b32_e32 v42, 0, v42, vcc_lo
	v_cmp_nlt_f32_e32 vcc_lo, 0x42b17218, v54
	v_add_f32_e32 v33, v47, v33
	v_add_f32_e32 v46, v46, v57
	v_cvt_f16_f32_e32 v36, v36
	v_cvt_f16_f32_e32 v37, v37
	s_wait_alu 0xfffd
	v_dual_cndmask_b32 v42, 0x7f800000, v42 :: v_dual_add_f32 v33, v79, v33
	v_ldexp_f32 v41, v45, v41
	v_cmp_ngt_f32_e32 vcc_lo, 0xc2ce8ed0, v55
	v_exp_f32_e32 v43, v46
	v_cvt_i32_f32_e32 v45, v68
	v_add_f32_e32 v33, v97, v33
	v_pack_b32_f16 v10, v36, v37
	s_wait_alu 0xfffd
	v_cndmask_b32_e32 v41, 0, v41, vcc_lo
	v_cmp_le_f32_e32 vcc_lo, 0xc1a00000, v54
	v_cvt_f16_f32_e32 v47, v47
	v_add_f32_e32 v33, v78, v33
	v_pack_b32_f16 v14, v14, v44
	v_pack_b32_f16 v13, v13, v111
	s_wait_alu 0xfffd
	v_cndmask_b32_e32 v42, 0, v42, vcc_lo
	v_cmp_nlt_f32_e32 vcc_lo, 0x42b17218, v55
	v_add_f32_e32 v33, v60, v33
	v_ldexp_f32 v43, v43, v45
	v_pack_b32_f16 v15, v15, v47
	v_pack_b32_f16 v12, v109, v12
	s_wait_alu 0xfffd
	v_cndmask_b32_e32 v122, 0x7f800000, v41, vcc_lo
	v_add_f32_e32 v33, v63, v33
	v_cmp_ngt_f32_e32 vcc_lo, 0xc2ce8ed0, v58
	v_pack_b32_f16 v36, v120, v121
	v_pack_b32_f16 v37, v128, v129
	;; [unrolled: 1-line block ×3, first 2 shown]
	v_add_f32_e32 v33, v64, v33
	s_wait_alu 0xfffd
	v_cndmask_b32_e32 v41, 0, v43, vcc_lo
	v_cvt_f16_f32_e32 v43, v42
	v_cmp_nlt_f32_e32 vcc_lo, 0x42b17218, v58
	v_add_f32_e32 v33, v98, v33
	s_wait_alu 0xfffd
	v_cndmask_b32_e32 v123, 0x7f800000, v41, vcc_lo
	v_and_b32_e32 v41, 0xffff, v43
	s_delay_alu instid0(VALU_DEP_3) | instskip(NEXT) | instid1(VALU_DEP_2)
	v_add_f32_e32 v33, v65, v33
	v_mul_u32_u24_e32 v41, 0x10001, v41
	s_delay_alu instid0(VALU_DEP_2) | instskip(NEXT) | instid1(VALU_DEP_2)
	v_add_f32_e32 v33, v99, v33
	v_pk_mul_f16 v28, v28, v41
	s_delay_alu instid0(VALU_DEP_2)
	v_add_f32_e32 v33, v101, v33
	v_pk_mul_f16 v29, v29, v41
	v_pk_mul_f16 v30, v30, v41
	v_pk_mul_f16 v31, v31, v41
	v_pk_mul_f16 v24, v24, v41
	v_add_f32_e32 v33, v106, v33
	v_pk_mul_f16 v25, v25, v41
	v_pk_mul_f16 v26, v26, v41
	v_pk_mul_f16 v27, v27, v41
	v_pk_mul_f16 v20, v20, v41
	;; [unrolled: 5-line block ×3, first 2 shown]
	v_add_f32_e32 v33, v108, v33
	v_pk_mul_f16 v17, v17, v41
	v_pk_mul_f16 v18, v18, v41
	;; [unrolled: 1-line block ×3, first 2 shown]
	s_delay_alu instid0(VALU_DEP_4) | instskip(NEXT) | instid1(VALU_DEP_1)
	v_add_f32_e32 v33, v70, v33
	v_add_f32_e32 v33, v122, v33
	s_delay_alu instid0(VALU_DEP_1) | instskip(NEXT) | instid1(VALU_DEP_1)
	v_add_f32_e32 v33, v123, v33
	v_fmac_f32_e32 v33, v92, v42
	ds_load_2addr_b32 v[40:41], v110 offset1:16
	ds_load_2addr_b32 v[45:46], v110 offset0:36 offset1:52
	ds_load_2addr_b32 v[42:43], v110 offset0:72 offset1:88
	;; [unrolled: 1-line block ×5, first 2 shown]
	ds_load_2addr_b32 v[56:57], v118 offset1:16
	ds_load_2addr_b32 v[58:59], v119 offset1:16
	v_cvt_f16_f32_e32 v92, v61
	ds_load_2addr_b32 v[60:61], v4 offset0:64 offset1:80
	ds_load_2addr_b32 v[62:63], v4 offset0:100 offset1:116
	;; [unrolled: 1-line block ×8, first 2 shown]
	v_pack_b32_f16 v8, v92, v100
	s_wait_dscnt 0xa
	v_perm_b32 v6, v54, v52, 0x5040100
	v_perm_b32 v5, v50, v42, 0x5040100
	s_wait_dscnt 0x8
	v_perm_b32 v7, v58, v56, 0x5040100
	v_perm_b32 v4, v45, v40, 0x5040100
	;; [unrolled: 1-line block ×6, first 2 shown]
	v_wmma_f16_16x16x16_f16 v[28:31], v[4:7], v[8:11], v[28:31]
	v_add_nc_u32_e32 v4, 0x1000, v110
	v_add_nc_u32_e32 v5, 0x1000, v118
	;; [unrolled: 1-line block ×3, first 2 shown]
	v_wmma_f16_16x16x16_f16 v[24:27], v[0:3], v[8:11], v[24:27]
	v_add_nc_u32_e32 v3, 0x1400, v110
	v_cvt_f16_f32_e32 v50, v99
	v_cvt_f16_f32_e32 v52, v101
	s_wait_dscnt 0x6
	v_perm_b32 v0, v62, v60, 0x7060302
	s_wait_dscnt 0x4
	v_perm_b32 v1, v66, v64, 0x7060302
	s_wait_dscnt 0x2
	v_perm_b32 v2, v72, v68, 0x7060302
	ds_load_2addr_b32 v[78:79], v4 offset0:128 offset1:144
	ds_load_2addr_b32 v[92:93], v4 offset0:164 offset1:180
	;; [unrolled: 1-line block ×8, first 2 shown]
	s_wait_dscnt 0x8
	v_perm_b32 v3, v76, v74, 0x7060302
	v_perm_b32 v7, v76, v74, 0x5040100
	v_perm_b32 v6, v72, v68, 0x5040100
	v_perm_b32 v5, v66, v64, 0x5040100
	v_perm_b32 v4, v62, v60, 0x5040100
	v_wmma_f16_16x16x16_f16 v[24:27], v[0:3], v[12:15], v[24:27]
	v_add_nc_u32_e32 v3, 0x1800, v110
	v_cvt_f16_f32_e32 v54, v106
	v_cvt_f16_f32_e32 v56, v107
	v_wmma_f16_16x16x16_f16 v[28:31], v[4:7], v[12:15], v[28:31]
	v_add_nc_u32_e32 v4, 0x1c00, v110
	v_cvt_f16_f32_e32 v58, v108
	ds_load_2addr_b32 v[106:107], v3 offset0:192 offset1:208
	ds_load_2addr_b32 v[108:109], v3 offset0:228 offset1:244
	;; [unrolled: 1-line block ×6, first 2 shown]
	v_add_nc_u32_e32 v3, 0x1800, v118
	ds_load_2addr_b32 v[118:119], v3 offset0:192 offset1:208
	ds_load_2addr_b32 v[120:121], v34 offset0:192 offset1:208
	s_wait_dscnt 0xe
	v_perm_b32 v0, v92, v78, 0x7060302
	s_wait_dscnt 0xc
	v_perm_b32 v1, v96, v94, 0x7060302
	;; [unrolled: 2-line block ×4, first 2 shown]
	v_perm_b32 v6, v100, v98, 0x5040100
	v_perm_b32 v5, v96, v94, 0x5040100
	;; [unrolled: 1-line block ×3, first 2 shown]
	v_pack_b32_f16 v34, v124, v125
	v_perm_b32 v3, v104, v102, 0x7060302
	v_perm_b32 v38, v46, v41, 0x7060302
	;; [unrolled: 1-line block ×9, first 2 shown]
	v_wmma_f16_16x16x16_f16 v[28:31], v[4:7], v[34:37], v[28:31]
	v_wmma_f16_16x16x16_f16 v[24:27], v[0:3], v[34:37], v[24:27]
	v_perm_b32 v7, v63, v61, 0x7060302
	v_wmma_f16_16x16x16_f16 v[20:23], v[42:45], v[8:11], v[20:23]
	v_wmma_f16_16x16x16_f16 v[16:19], v[38:41], v[8:11], v[16:19]
	v_perm_b32 v8, v67, v65, 0x7060302
	v_perm_b32 v9, v73, v69, 0x7060302
	;; [unrolled: 1-line block ×7, first 2 shown]
	ds_bpermute_b32 v2, v49, v33
	v_cvt_f16_f32_e32 v60, v70
	v_cvt_f16_f32_e32 v62, v122
	;; [unrolled: 1-line block ×3, first 2 shown]
	v_wmma_f16_16x16x16_f16 v[20:23], v[38:41], v[12:15], v[20:23]
	v_wmma_f16_16x16x16_f16 v[16:19], v[7:10], v[12:15], v[16:19]
	v_perm_b32 v12, v93, v79, 0x7060302
	v_perm_b32 v13, v97, v95, 0x7060302
	;; [unrolled: 1-line block ×8, first 2 shown]
	s_wait_dscnt 0x7
	v_perm_b32 v3, v108, v106, 0x7060302
	s_wait_dscnt 0x5
	v_perm_b32 v4, v112, v110, 0x7060302
	;; [unrolled: 2-line block ×4, first 2 shown]
	v_perm_b32 v47, v120, v118, 0x5040100
	v_perm_b32 v46, v116, v114, 0x5040100
	;; [unrolled: 1-line block ×4, first 2 shown]
	v_pack_b32_f16 v11, v62, v64
	v_pack_b32_f16 v10, v58, v60
	;; [unrolled: 1-line block ×4, first 2 shown]
	v_wmma_f16_16x16x16_f16 v[20:23], v[38:41], v[34:37], v[20:23]
	v_wmma_f16_16x16x16_f16 v[16:19], v[12:15], v[34:37], v[16:19]
	v_perm_b32 v12, v109, v107, 0x7060302
	v_perm_b32 v13, v113, v111, 0x7060302
	;; [unrolled: 1-line block ×8, first 2 shown]
	v_mov_b32_e32 v1, 0
	v_wmma_f16_16x16x16_f16 v[28:31], v[44:47], v[8:11], v[28:31]
	v_wmma_f16_16x16x16_f16 v[24:27], v[3:6], v[8:11], v[24:27]
	;; [unrolled: 1-line block ×4, first 2 shown]
	s_wait_loadcnt_dscnt 0x0
	s_barrier_signal -1
	s_barrier_wait -1
	global_inv scope:SCOPE_SE
	s_wait_loadcnt 0x0
	s_barrier_signal -1
	s_barrier_wait -1
	global_inv scope:SCOPE_SE
	v_cmpx_gt_u32_e32 16, v48
	s_cbranch_execz .LBB0_433
; %bb.432:
	v_readlane_b32 s6, v255, 1
	v_or_b32_e32 v0, v90, v48
	v_readlane_b32 s7, v255, 2
	v_add_f32_e32 v33, v33, v2
	s_add_co_i32 s0, s6, ttmp9
	v_lshlrev_b64_e32 v[0:1], 3, v[0:1]
	s_wait_alu 0xfffe
	s_lshl_b32 s0, s0, 6
	s_wait_alu 0xfffe
	s_lshl_b64 s[6:7], s[0:1], 3
	s_wait_alu 0xfffe
	s_add_nc_u64 s[6:7], s[22:23], s[6:7]
	s_wait_alu 0xfffe
	v_add_co_u32 v0, vcc_lo, s6, v0
	s_wait_alu 0xfffd
	v_add_co_ci_u32_e64 v1, null, s7, v1, vcc_lo
	global_store_b64 v[0:1], v[32:33], off
.LBB0_433:
	s_wait_alu 0xfffe
	s_or_b32 exec_lo, exec_lo, s2
	v_or_b32_e32 v0, v90, v89
	v_lshlrev_b32_e32 v1, 2, v91
	v_perm_b32 v2, v24, v28, 0x5040100
	v_perm_b32 v3, v24, v28, 0x7060302
	;; [unrolled: 1-line block ×3, first 2 shown]
	v_mul_i32_i24_e32 v0, 0x90, v0
	v_perm_b32 v5, v25, v29, 0x7060302
	v_perm_b32 v6, v26, v30, 0x5040100
	;; [unrolled: 1-line block ×4, first 2 shown]
	v_add3_u32 v0, 0, v1, v0
	v_perm_b32 v1, v26, v30, 0x7060302
	v_perm_b32 v9, v16, v20, 0x5040100
	;; [unrolled: 1-line block ×3, first 2 shown]
	s_clause 0x1
	s_load_b32 s0, s[4:5], 0x0
	s_load_u16 s2, s[4:5], 0x12
	v_perm_b32 v11, v17, v21, 0x5040100
	v_perm_b32 v12, v17, v21, 0x7060302
	;; [unrolled: 1-line block ×6, first 2 shown]
	ds_store_2addr_b32 v0, v2, v3 offset1:1
	ds_store_2addr_b32 v0, v4, v5 offset0:2 offset1:3
	ds_store_2addr_b32 v0, v6, v1 offset0:4 offset1:5
	ds_store_2addr_b32 v0, v7, v8 offset0:6 offset1:7
	ds_store_2addr_b32 v0, v9, v10 offset0:16 offset1:17
	ds_store_2addr_b32 v0, v11, v12 offset0:18 offset1:19
	ds_store_2addr_b32 v0, v13, v14 offset0:20 offset1:21
	ds_store_2addr_b32 v0, v15, v16 offset0:22 offset1:23
	s_wait_storecnt 0x0
	s_wait_loadcnt_dscnt 0x0
	s_barrier_signal -1
	s_barrier_wait -1
	global_inv scope:SCOPE_SE
	ds_load_2addr_b32 v[0:1], v71 offset1:144
	v_lshlrev_b32_e32 v6, 5, v85
	v_lshlrev_b32_e32 v17, 5, v84
	s_mov_b32 s3, s1
	s_delay_alu instid0(VALU_DEP_2)
	v_add_lshl_u32 v10, v6, v48, 3
	s_wait_kmcnt 0x0
	s_cmp_lg_u32 s2, 0
	s_cselect_b32 s2, -1, 0
	s_wait_alu 0xfffe
	s_cmp_lg_u32 s2, 0
	s_add_co_ci_u32 s0, s0, 0
	s_wait_alu 0xfffe
	s_lshl_b32 s2, ttmp9, 11
	s_lshl_b32 s0, s0, 7
	s_wait_alu 0xfffe
	s_lshl_b64 s[2:3], s[2:3], 3
	s_lshl_b64 s[4:5], s[0:1], 3
	s_wait_dscnt 0x0
	v_lshrrev_b32_e32 v4, 16, v0
	v_cvt_f32_f16_e32 v0, v0
	s_wait_alu 0xfffe
	s_add_nc_u64 s[0:1], s[22:23], s[4:5]
	s_wait_alu 0xfffe
	s_add_nc_u64 s[0:1], s[0:1], s[2:3]
	v_cvt_f32_f16_e32 v5, v4
	v_add_nc_u32_e32 v2, 0x400, v71
	v_add_f32_e32 v4, 0, v0
	v_lshrrev_b32_e32 v0, 16, v1
	v_cvt_f32_f16_e32 v1, v1
	v_add_f32_e32 v5, 0, v5
	ds_load_2addr_b32 v[2:3], v2 offset0:32 offset1:176
	v_lshlrev_b32_e32 v7, 5, v87
	v_cvt_f32_f16_e32 v6, v0
	v_and_b32_e32 v8, 15, v85
	v_add_f32_e32 v0, 0, v1
	s_delay_alu instid0(VALU_DEP_4) | instskip(NEXT) | instid1(VALU_DEP_4)
	v_add_lshl_u32 v12, v7, v48, 3
	v_add_f32_e32 v1, 0, v6
	s_delay_alu instid0(VALU_DEP_4) | instskip(SKIP_2) | instid1(VALU_DEP_3)
	v_and_or_b32 v9, 0x7f0, v83, v8
	v_and_or_b32 v16, 0x7f0, v248, v8
	;; [unrolled: 1-line block ×3, first 2 shown]
	v_mad_u32_u24 v7, 0x90, v9, v88
	ds_load_b32 v13, v7
	s_wait_dscnt 0x1
	v_lshrrev_b32_e32 v11, 16, v2
	v_cvt_f32_f16_e32 v2, v2
	v_cvt_f32_f16_e32 v14, v3
	s_delay_alu instid0(VALU_DEP_3) | instskip(NEXT) | instid1(VALU_DEP_3)
	v_cvt_f32_f16_e32 v9, v11
	v_add_f32_e32 v6, 0, v2
	v_lshrrev_b32_e32 v2, 16, v3
	s_delay_alu instid0(VALU_DEP_4)
	v_add_f32_e32 v8, 0, v14
	v_mad_u32_u24 v14, 0x90, v16, v88
	v_add_f32_e32 v7, 0, v9
	v_add_nc_u32_e32 v9, 0xa00, v71
	v_cvt_f32_f16_e32 v15, v2
	v_mad_u32_u24 v16, 0x90, v18, v88
	ds_load_2addr_b32 v[2:3], v9 offset0:80 offset1:224
	v_add_f32_e32 v9, 0, v15
	s_wait_dscnt 0x1
	v_cvt_f32_f16_e32 v20, v13
	v_lshlrev_b32_e32 v11, 5, v86
	v_add_lshl_u32 v15, v17, v48, 3
	ds_load_b32 v17, v71 offset:4032
	ds_load_b32 v14, v14
	ds_load_b32 v18, v71 offset:6336
	ds_load_b32 v19, v71 offset:8640
	ds_load_b32 v16, v16
	v_lshrrev_b32_e32 v13, 16, v13
	v_add_lshl_u32 v11, v11, v48, 3
	s_clause 0x3
	global_store_b64 v10, v[4:5], s[0:1]
	global_store_b64 v12, v[0:1], s[0:1]
	;; [unrolled: 1-line block ×4, first 2 shown]
	v_cvt_f32_f16_e32 v1, v13
	v_lshlrev_b32_e32 v5, 5, v83
	v_dual_add_f32 v0, 0, v20 :: v_dual_lshlrev_b32 v7, 5, v82
	v_lshlrev_b32_e32 v12, 5, v81
	s_delay_alu instid0(VALU_DEP_4) | instskip(NEXT) | instid1(VALU_DEP_4)
	v_add_f32_e32 v1, 0, v1
	v_add_lshl_u32 v10, v5, v48, 3
	s_delay_alu instid0(VALU_DEP_4)
	v_add_lshl_u32 v11, v7, v48, 3
	s_wait_dscnt 0x5
	v_lshrrev_b32_e32 v4, 16, v2
	v_cvt_f32_f16_e32 v2, v2
	v_cvt_f32_f16_e32 v7, v3
	s_wait_dscnt 0x4
	v_lshrrev_b32_e32 v9, 16, v17
	s_wait_dscnt 0x3
	v_lshrrev_b32_e32 v15, 16, v14
	v_cvt_f32_f16_e32 v6, v4
	v_add_f32_e32 v4, 0, v2
	v_lshrrev_b32_e32 v2, 16, v3
	v_cvt_f32_f16_e32 v9, v9
	v_cvt_f32_f16_e32 v14, v14
	v_dual_add_f32 v5, 0, v6 :: v_dual_add_nc_u32 v6, 0x1400, v71
	s_delay_alu instid0(VALU_DEP_4)
	v_cvt_f32_f16_e32 v8, v2
	v_lshlrev_b32_e32 v13, 5, v80
	v_add_lshl_u32 v12, v12, v48, 3
	v_add_f32_e32 v9, 0, v9
	ds_load_2addr_b32 v[2:3], v6 offset0:16 offset1:160
	v_dual_add_f32 v6, 0, v7 :: v_dual_add_f32 v7, 0, v8
	v_cvt_f32_f16_e32 v8, v17
	v_add_lshl_u32 v13, v13, v48, 3
	v_cvt_f32_f16_e32 v15, v15
	s_delay_alu instid0(VALU_DEP_3)
	v_add_f32_e32 v8, 0, v8
	s_clause 0x3
	global_store_b64 v10, v[0:1], s[0:1]
	global_store_b64 v11, v[4:5], s[0:1]
	global_store_b64 v12, v[6:7], s[0:1]
	global_store_b64 v13, v[8:9], s[0:1]
	v_add_f32_e32 v0, 0, v14
	v_lshlrev_b32_e32 v14, 5, v244
	s_wait_dscnt 0x3
	v_cvt_f32_f16_e32 v10, v18
	v_lshlrev_b32_e32 v4, 5, v248
	v_lshlrev_b32_e32 v12, 5, v245
	v_add_lshl_u32 v21, v14, v48, 3
	v_lshlrev_b32_e32 v14, 5, v243
	s_delay_alu instid0(VALU_DEP_4)
	v_add_lshl_u32 v17, v4, v48, 3
	s_wait_dscnt 0x0
	v_lshrrev_b32_e32 v5, 16, v2
	v_cvt_f32_f16_e32 v2, v2
	v_lshrrev_b32_e32 v9, 16, v3
	v_add_lshl_u32 v22, v14, v48, 3
	v_lshrrev_b32_e32 v14, 16, v19
	v_cvt_f32_f16_e32 v7, v5
	v_add_f32_e32 v1, 0, v15
	v_cvt_f32_f16_e32 v19, v19
	v_lshlrev_b32_e32 v25, 5, v241
	v_cvt_f32_f16_e32 v24, v14
	v_lshlrev_b32_e32 v8, 5, v247
	s_delay_alu instid0(VALU_DEP_4) | instskip(NEXT) | instid1(VALU_DEP_4)
	v_add_f32_e32 v14, 0, v19
	v_add_lshl_u32 v19, v25, v48, 3
	s_delay_alu instid0(VALU_DEP_3) | instskip(SKIP_1) | instid1(VALU_DEP_1)
	v_add_lshl_u32 v20, v8, v48, 3
	v_lshrrev_b32_e32 v8, 16, v18
	v_cvt_f32_f16_e32 v11, v8
	v_add_f32_e32 v8, 0, v10
	v_lshrrev_b32_e32 v10, 16, v16
	s_delay_alu instid0(VALU_DEP_1)
	v_cvt_f32_f16_e32 v13, v10
	v_add_nc_u32_e32 v6, 0x1c00, v71
	ds_load_2addr_b32 v[4:5], v6 offset0:80 offset1:224
	v_add_f32_e32 v6, 0, v2
	v_cvt_f32_f16_e32 v2, v3
	v_cvt_f32_f16_e32 v3, v9
	v_lshlrev_b32_e32 v9, 5, v246
	s_delay_alu instid0(VALU_DEP_3) | instskip(NEXT) | instid1(VALU_DEP_3)
	v_dual_add_f32 v7, 0, v7 :: v_dual_add_f32 v2, 0, v2
	v_add_f32_e32 v3, 0, v3
	s_delay_alu instid0(VALU_DEP_3) | instskip(SKIP_3) | instid1(VALU_DEP_2)
	v_add_lshl_u32 v18, v9, v48, 3
	v_add_f32_e32 v9, 0, v11
	v_cvt_f32_f16_e32 v11, v16
	v_add_lshl_u32 v16, v12, v48, 3
	v_dual_add_f32 v10, 0, v11 :: v_dual_add_f32 v11, 0, v13
	s_wait_dscnt 0x0
	v_lshrrev_b32_e32 v12, 16, v4
	v_cvt_f32_f16_e32 v4, v4
	s_delay_alu instid0(VALU_DEP_2) | instskip(NEXT) | instid1(VALU_DEP_2)
	v_cvt_f32_f16_e32 v15, v12
	v_add_f32_e32 v12, 0, v4
	v_lshrrev_b32_e32 v4, 16, v5
	v_cvt_f32_f16_e32 v5, v5
	s_delay_alu instid0(VALU_DEP_4) | instskip(SKIP_1) | instid1(VALU_DEP_4)
	v_add_f32_e32 v13, 0, v15
	v_lshlrev_b32_e32 v15, 5, v242
	v_cvt_f32_f16_e32 v23, v4
	s_delay_alu instid0(VALU_DEP_1) | instskip(NEXT) | instid1(VALU_DEP_3)
	v_dual_add_f32 v4, 0, v5 :: v_dual_add_f32 v5, 0, v23
	v_add_lshl_u32 v23, v15, v48, 3
	v_add_f32_e32 v15, 0, v24
	s_clause 0x7
	global_store_b64 v17, v[0:1], s[0:1]
	global_store_b64 v20, v[6:7], s[0:1]
	;; [unrolled: 1-line block ×8, first 2 shown]
.LBB0_434:
	s_nop 0
	s_sendmsg sendmsg(MSG_DEALLOC_VGPRS)
	s_endpgm
	.section	.rodata,"a",@progbits
	.p2align	6, 0x0
	.amdhsa_kernel _ZL18flash_attn_ext_f16ILi64ELi64ELi32ELi2ELb0ELb0EEvPKcS1_S1_S1_S1_PKiPfP15HIP_vector_typeIfLj2EEffffjfiS5_IjLj3EEiiiiiiiiiiiliiliiiiil
		.amdhsa_group_segment_fixed_size 0
		.amdhsa_private_segment_fixed_size 104
		.amdhsa_kernarg_size 464
		.amdhsa_user_sgpr_count 2
		.amdhsa_user_sgpr_dispatch_ptr 0
		.amdhsa_user_sgpr_queue_ptr 0
		.amdhsa_user_sgpr_kernarg_segment_ptr 1
		.amdhsa_user_sgpr_dispatch_id 0
		.amdhsa_user_sgpr_private_segment_size 0
		.amdhsa_wavefront_size32 1
		.amdhsa_uses_dynamic_stack 0
		.amdhsa_enable_private_segment 1
		.amdhsa_system_sgpr_workgroup_id_x 1
		.amdhsa_system_sgpr_workgroup_id_y 0
		.amdhsa_system_sgpr_workgroup_id_z 0
		.amdhsa_system_sgpr_workgroup_info 0
		.amdhsa_system_vgpr_workitem_id 1
		.amdhsa_next_free_vgpr 256
		.amdhsa_next_free_sgpr 105
		.amdhsa_reserve_vcc 1
		.amdhsa_float_round_mode_32 0
		.amdhsa_float_round_mode_16_64 0
		.amdhsa_float_denorm_mode_32 3
		.amdhsa_float_denorm_mode_16_64 3
		.amdhsa_fp16_overflow 0
		.amdhsa_workgroup_processor_mode 1
		.amdhsa_memory_ordered 1
		.amdhsa_forward_progress 1
		.amdhsa_inst_pref_size 255
		.amdhsa_round_robin_scheduling 0
		.amdhsa_exception_fp_ieee_invalid_op 0
		.amdhsa_exception_fp_denorm_src 0
		.amdhsa_exception_fp_ieee_div_zero 0
		.amdhsa_exception_fp_ieee_overflow 0
		.amdhsa_exception_fp_ieee_underflow 0
		.amdhsa_exception_fp_ieee_inexact 0
		.amdhsa_exception_int_div_zero 0
	.end_amdhsa_kernel
	.section	.text._ZL18flash_attn_ext_f16ILi64ELi64ELi32ELi2ELb0ELb0EEvPKcS1_S1_S1_S1_PKiPfP15HIP_vector_typeIfLj2EEffffjfiS5_IjLj3EEiiiiiiiiiiiliiliiiiil,"axG",@progbits,_ZL18flash_attn_ext_f16ILi64ELi64ELi32ELi2ELb0ELb0EEvPKcS1_S1_S1_S1_PKiPfP15HIP_vector_typeIfLj2EEffffjfiS5_IjLj3EEiiiiiiiiiiiliiliiiiil,comdat
.Lfunc_end0:
	.size	_ZL18flash_attn_ext_f16ILi64ELi64ELi32ELi2ELb0ELb0EEvPKcS1_S1_S1_S1_PKiPfP15HIP_vector_typeIfLj2EEffffjfiS5_IjLj3EEiiiiiiiiiiiliiliiiiil, .Lfunc_end0-_ZL18flash_attn_ext_f16ILi64ELi64ELi32ELi2ELb0ELb0EEvPKcS1_S1_S1_S1_PKiPfP15HIP_vector_typeIfLj2EEffffjfiS5_IjLj3EEiiiiiiiiiiiliiliiiiil
                                        ; -- End function
	.set _ZL18flash_attn_ext_f16ILi64ELi64ELi32ELi2ELb0ELb0EEvPKcS1_S1_S1_S1_PKiPfP15HIP_vector_typeIfLj2EEffffjfiS5_IjLj3EEiiiiiiiiiiiliiliiiiil.num_vgpr, 256
	.set _ZL18flash_attn_ext_f16ILi64ELi64ELi32ELi2ELb0ELb0EEvPKcS1_S1_S1_S1_PKiPfP15HIP_vector_typeIfLj2EEffffjfiS5_IjLj3EEiiiiiiiiiiiliiliiiiil.num_agpr, 0
	.set _ZL18flash_attn_ext_f16ILi64ELi64ELi32ELi2ELb0ELb0EEvPKcS1_S1_S1_S1_PKiPfP15HIP_vector_typeIfLj2EEffffjfiS5_IjLj3EEiiiiiiiiiiiliiliiiiil.numbered_sgpr, 105
	.set _ZL18flash_attn_ext_f16ILi64ELi64ELi32ELi2ELb0ELb0EEvPKcS1_S1_S1_S1_PKiPfP15HIP_vector_typeIfLj2EEffffjfiS5_IjLj3EEiiiiiiiiiiiliiliiiiil.num_named_barrier, 0
	.set _ZL18flash_attn_ext_f16ILi64ELi64ELi32ELi2ELb0ELb0EEvPKcS1_S1_S1_S1_PKiPfP15HIP_vector_typeIfLj2EEffffjfiS5_IjLj3EEiiiiiiiiiiiliiliiiiil.private_seg_size, 104
	.set _ZL18flash_attn_ext_f16ILi64ELi64ELi32ELi2ELb0ELb0EEvPKcS1_S1_S1_S1_PKiPfP15HIP_vector_typeIfLj2EEffffjfiS5_IjLj3EEiiiiiiiiiiiliiliiiiil.uses_vcc, 1
	.set _ZL18flash_attn_ext_f16ILi64ELi64ELi32ELi2ELb0ELb0EEvPKcS1_S1_S1_S1_PKiPfP15HIP_vector_typeIfLj2EEffffjfiS5_IjLj3EEiiiiiiiiiiiliiliiiiil.uses_flat_scratch, 0
	.set _ZL18flash_attn_ext_f16ILi64ELi64ELi32ELi2ELb0ELb0EEvPKcS1_S1_S1_S1_PKiPfP15HIP_vector_typeIfLj2EEffffjfiS5_IjLj3EEiiiiiiiiiiiliiliiiiil.has_dyn_sized_stack, 0
	.set _ZL18flash_attn_ext_f16ILi64ELi64ELi32ELi2ELb0ELb0EEvPKcS1_S1_S1_S1_PKiPfP15HIP_vector_typeIfLj2EEffffjfiS5_IjLj3EEiiiiiiiiiiiliiliiiiil.has_recursion, 0
	.set _ZL18flash_attn_ext_f16ILi64ELi64ELi32ELi2ELb0ELb0EEvPKcS1_S1_S1_S1_PKiPfP15HIP_vector_typeIfLj2EEffffjfiS5_IjLj3EEiiiiiiiiiiiliiliiiiil.has_indirect_call, 0
	.section	.AMDGPU.csdata,"",@progbits
; Kernel info:
; codeLenInByte = 82684
; TotalNumSgprs: 107
; NumVgprs: 256
; ScratchSize: 104
; MemoryBound: 0
; FloatMode: 240
; IeeeMode: 1
; LDSByteSize: 0 bytes/workgroup (compile time only)
; SGPRBlocks: 0
; VGPRBlocks: 31
; NumSGPRsForWavesPerEU: 107
; NumVGPRsForWavesPerEU: 256
; Occupancy: 5
; WaveLimiterHint : 0
; COMPUTE_PGM_RSRC2:SCRATCH_EN: 1
; COMPUTE_PGM_RSRC2:USER_SGPR: 2
; COMPUTE_PGM_RSRC2:TRAP_HANDLER: 0
; COMPUTE_PGM_RSRC2:TGID_X_EN: 1
; COMPUTE_PGM_RSRC2:TGID_Y_EN: 0
; COMPUTE_PGM_RSRC2:TGID_Z_EN: 0
; COMPUTE_PGM_RSRC2:TIDIG_COMP_CNT: 1
	.text
	.p2align	2                               ; -- Begin function __ockl_printf_append_string_n
	.type	__ockl_printf_append_string_n,@function
__ockl_printf_append_string_n:          ; @__ockl_printf_append_string_n
; %bb.0:
	s_wait_loadcnt_dscnt 0x0
	s_wait_expcnt 0x0
	s_wait_samplecnt 0x0
	s_wait_bvhcnt 0x0
	s_wait_kmcnt 0x0
	v_mov_b32_e32 v3, v0
	v_mbcnt_lo_u32_b32 v38, -1, 0
	s_getpc_b64 s[0:1]
	s_wait_alu 0xfffe
	s_sext_i32_i16 s1, s1
	s_add_co_u32 s0, s0, __FUNCTION__._ZL18flash_attn_ext_f16ILi64ELi64ELi32ELi2ELb1ELb0EEvPKcS1_S1_S1_S1_PKiPfP15HIP_vector_typeIfLj2EEffffjfiS5_IjLj3EEiiiiiiiiiiiliiliiiiil@rel32@lo+12
	s_wait_alu 0xfffe
	s_add_co_ci_u32 s1, s1, __FUNCTION__._ZL18flash_attn_ext_f16ILi64ELi64ELi32ELi2ELb1ELb0EEvPKcS1_S1_S1_S1_PKiPfP15HIP_vector_typeIfLj2EEffffjfiS5_IjLj3EEiiiiiiiiiiiliiliiiiil@rel32@hi+24
	s_wait_alu 0xfffe
	s_cmp_lg_u64 s[0:1], 0
	s_cbranch_scc0 .LBB1_87
; %bb.1:
	s_load_b64 s[2:3], s[8:9], 0x50
	s_getpc_b64 s[0:1]
	s_wait_alu 0xfffe
	s_sext_i32_i16 s1, s1
	s_add_co_u32 s0, s0, __FUNCTION__._ZL18flash_attn_ext_f16ILi64ELi64ELi32ELi2ELb1ELb0EEvPKcS1_S1_S1_S1_PKiPfP15HIP_vector_typeIfLj2EEffffjfiS5_IjLj3EEiiiiiiiiiiiliiliiiiil@rel32@lo+12
	s_wait_alu 0xfffe
	s_add_co_ci_u32 s1, s1, __FUNCTION__._ZL18flash_attn_ext_f16ILi64ELi64ELi32ELi2ELb1ELb0EEvPKcS1_S1_S1_S1_PKiPfP15HIP_vector_typeIfLj2EEffffjfiS5_IjLj3EEiiiiiiiiiiiliiliiiiil@rel32@hi+24
	s_wait_alu 0xfffe
	v_dual_mov_b32 v31, s1 :: v_dual_and_b32 v0, -3, v3
	v_dual_mov_b32 v12, 2 :: v_dual_mov_b32 v7, v1
	v_dual_mov_b32 v11, 0 :: v_dual_and_b32 v2, 2, v3
	v_dual_mov_b32 v30, s0 :: v_dual_mov_b32 v13, 1
	s_delay_alu instid0(VALU_DEP_4)
	v_mov_b32_e32 v6, v0
	s_mov_b32 s7, 0
	s_mov_b32 s6, 0
	s_branch .LBB1_3
.LBB1_2:                                ;   in Loop: Header=BB1_3 Depth=1
	s_wait_alu 0xfffe
	s_or_b32 exec_lo, exec_lo, s10
	v_sub_co_u32 v4, vcc_lo, v4, v32
	s_wait_alu 0xfffd
	v_sub_co_ci_u32_e64 v5, null, v5, v33, vcc_lo
	v_add_co_u32 v30, s0, v30, v32
	s_wait_alu 0xf1ff
	v_add_co_ci_u32_e64 v31, null, v31, v33, s0
	s_delay_alu instid0(VALU_DEP_3)
	v_cmp_eq_u64_e32 vcc_lo, 0, v[4:5]
	s_or_b32 s6, vcc_lo, s6
	s_wait_alu 0xfffe
	s_and_not1_b32 exec_lo, exec_lo, s6
	s_cbranch_execz .LBB1_85
.LBB1_3:                                ; =>This Loop Header: Depth=1
                                        ;     Child Loop BB1_6 Depth 2
                                        ;     Child Loop BB1_14 Depth 2
	;; [unrolled: 1-line block ×11, first 2 shown]
	v_cmp_gt_u64_e32 vcc_lo, 56, v[4:5]
	s_mov_b32 s1, exec_lo
	s_wait_alu 0xfffd
	v_dual_cndmask_b32 v33, 0, v5 :: v_dual_cndmask_b32 v32, 56, v4
	v_add_co_u32 v16, vcc_lo, v30, 8
	s_wait_alu 0xfffd
	v_add_co_ci_u32_e64 v17, null, 0, v31, vcc_lo
	v_cmpx_gt_u64_e32 8, v[4:5]
	s_wait_alu 0xfffe
	s_xor_b32 s1, exec_lo, s1
	s_cbranch_execz .LBB1_9
; %bb.4:                                ;   in Loop: Header=BB1_3 Depth=1
	v_mov_b32_e32 v8, 0
	v_mov_b32_e32 v9, 0
	s_mov_b32 s10, exec_lo
	v_cmpx_ne_u64_e32 0, v[4:5]
	s_cbranch_execz .LBB1_8
; %bb.5:                                ;   in Loop: Header=BB1_3 Depth=1
	v_lshlrev_b64_e32 v[14:15], 3, v[32:33]
	v_dual_mov_b32 v8, 0 :: v_dual_mov_b32 v15, v30
	v_dual_mov_b32 v9, 0 :: v_dual_mov_b32 v16, v31
	s_mov_b64 s[4:5], 0
	s_mov_b32 s11, 0
.LBB1_6:                                ;   Parent Loop BB1_3 Depth=1
                                        ; =>  This Inner Loop Header: Depth=2
	global_load_u8 v0, v[15:16], off
	v_mov_b32_e32 v18, s7
	v_add_co_u32 v15, vcc_lo, v15, 1
	s_wait_alu 0xfffd
	v_add_co_ci_u32_e64 v16, null, 0, v16, vcc_lo
	s_wait_loadcnt 0x0
	v_and_b32_e32 v17, 0xffff, v0
	s_wait_alu 0xfffe
	s_delay_alu instid0(VALU_DEP_1) | instskip(SKIP_3) | instid1(VALU_DEP_2)
	v_lshlrev_b64_e32 v[17:18], s4, v[17:18]
	s_add_nc_u64 s[4:5], s[4:5], 8
	s_wait_alu 0xfffe
	v_cmp_eq_u32_e64 s0, s4, v14
	v_or_b32_e32 v9, v18, v9
	s_delay_alu instid0(VALU_DEP_3)
	v_or_b32_e32 v8, v17, v8
	s_or_b32 s11, s0, s11
	s_wait_alu 0xfffe
	s_and_not1_b32 exec_lo, exec_lo, s11
	s_cbranch_execnz .LBB1_6
; %bb.7:                                ;   in Loop: Header=BB1_3 Depth=1
	s_or_b32 exec_lo, exec_lo, s11
.LBB1_8:                                ;   in Loop: Header=BB1_3 Depth=1
	s_wait_alu 0xfffe
	s_or_b32 exec_lo, exec_lo, s10
	v_dual_mov_b32 v16, v30 :: v_dual_mov_b32 v17, v31
.LBB1_9:                                ;   in Loop: Header=BB1_3 Depth=1
	s_wait_alu 0xfffe
	s_or_saveexec_b32 s0, s1
	v_mov_b32_e32 v0, 0
	s_wait_alu 0xfffe
	s_xor_b32 exec_lo, exec_lo, s0
	s_cbranch_execz .LBB1_11
; %bb.10:                               ;   in Loop: Header=BB1_3 Depth=1
	global_load_b64 v[8:9], v[30:31], off
	v_add_nc_u32_e32 v0, -8, v32
.LBB1_11:                               ;   in Loop: Header=BB1_3 Depth=1
	s_or_b32 exec_lo, exec_lo, s0
	v_add_co_u32 v18, s0, v16, 8
	s_wait_alu 0xf1ff
	v_add_co_ci_u32_e64 v19, null, 0, v17, s0
                                        ; implicit-def: $vgpr14_vgpr15
	s_mov_b32 s0, exec_lo
	v_cmpx_gt_u32_e32 8, v0
	s_wait_alu 0xfffe
	s_xor_b32 s10, exec_lo, s0
	s_cbranch_execz .LBB1_17
; %bb.12:                               ;   in Loop: Header=BB1_3 Depth=1
	v_mov_b32_e32 v14, 0
	v_mov_b32_e32 v15, 0
	s_mov_b32 s11, exec_lo
	v_cmpx_ne_u32_e32 0, v0
	s_cbranch_execz .LBB1_16
; %bb.13:                               ;   in Loop: Header=BB1_3 Depth=1
	v_mov_b32_e32 v14, 0
	v_mov_b32_e32 v15, 0
	s_mov_b64 s[0:1], 0
	s_mov_b32 s12, 0
	s_mov_b64 s[4:5], 0
.LBB1_14:                               ;   Parent Loop BB1_3 Depth=1
                                        ; =>  This Inner Loop Header: Depth=2
	s_wait_alu 0xfffe
	v_add_co_u32 v18, vcc_lo, v16, s4
	s_wait_alu 0xfffd
	v_add_co_ci_u32_e64 v19, null, s5, v17, vcc_lo
	s_add_nc_u64 s[4:5], s[4:5], 1
	s_wait_alu 0xfffe
	v_cmp_eq_u32_e32 vcc_lo, s4, v0
	global_load_u8 v10, v[18:19], off
	v_mov_b32_e32 v19, s7
	s_or_b32 s12, vcc_lo, s12
	s_wait_loadcnt 0x0
	v_and_b32_e32 v18, 0xffff, v10
	s_delay_alu instid0(VALU_DEP_1) | instskip(SKIP_1) | instid1(VALU_DEP_1)
	v_lshlrev_b64_e32 v[18:19], s0, v[18:19]
	s_add_nc_u64 s[0:1], s[0:1], 8
	v_or_b32_e32 v15, v19, v15
	s_delay_alu instid0(VALU_DEP_2)
	v_or_b32_e32 v14, v18, v14
	s_wait_alu 0xfffe
	s_and_not1_b32 exec_lo, exec_lo, s12
	s_cbranch_execnz .LBB1_14
; %bb.15:                               ;   in Loop: Header=BB1_3 Depth=1
	s_or_b32 exec_lo, exec_lo, s12
.LBB1_16:                               ;   in Loop: Header=BB1_3 Depth=1
	s_wait_alu 0xfffe
	s_or_b32 exec_lo, exec_lo, s11
	v_dual_mov_b32 v19, v17 :: v_dual_mov_b32 v18, v16
                                        ; implicit-def: $vgpr0
.LBB1_17:                               ;   in Loop: Header=BB1_3 Depth=1
	s_wait_alu 0xfffe
	s_or_saveexec_b32 s0, s10
	v_mov_b32_e32 v10, 0
	s_wait_alu 0xfffe
	s_xor_b32 exec_lo, exec_lo, s0
	s_cbranch_execz .LBB1_19
; %bb.18:                               ;   in Loop: Header=BB1_3 Depth=1
	global_load_b64 v[14:15], v[16:17], off
	v_add_nc_u32_e32 v10, -8, v0
.LBB1_19:                               ;   in Loop: Header=BB1_3 Depth=1
	s_or_b32 exec_lo, exec_lo, s0
	v_add_co_u32 v20, s0, v18, 8
	s_wait_alu 0xf1ff
	v_add_co_ci_u32_e64 v21, null, 0, v19, s0
	s_mov_b32 s0, exec_lo
	v_cmpx_gt_u32_e32 8, v10
	s_wait_alu 0xfffe
	s_xor_b32 s10, exec_lo, s0
	s_cbranch_execz .LBB1_25
; %bb.20:                               ;   in Loop: Header=BB1_3 Depth=1
	v_mov_b32_e32 v16, 0
	v_mov_b32_e32 v17, 0
	s_mov_b32 s11, exec_lo
	v_cmpx_ne_u32_e32 0, v10
	s_cbranch_execz .LBB1_24
; %bb.21:                               ;   in Loop: Header=BB1_3 Depth=1
	v_mov_b32_e32 v16, 0
	v_mov_b32_e32 v17, 0
	s_mov_b64 s[0:1], 0
	s_mov_b32 s12, 0
	s_mov_b64 s[4:5], 0
.LBB1_22:                               ;   Parent Loop BB1_3 Depth=1
                                        ; =>  This Inner Loop Header: Depth=2
	s_wait_alu 0xfffe
	v_add_co_u32 v20, vcc_lo, v18, s4
	s_wait_alu 0xfffd
	v_add_co_ci_u32_e64 v21, null, s5, v19, vcc_lo
	s_add_nc_u64 s[4:5], s[4:5], 1
	s_wait_alu 0xfffe
	v_cmp_eq_u32_e32 vcc_lo, s4, v10
	global_load_u8 v0, v[20:21], off
	v_mov_b32_e32 v21, s7
	s_or_b32 s12, vcc_lo, s12
	s_wait_loadcnt 0x0
	v_and_b32_e32 v20, 0xffff, v0
	s_delay_alu instid0(VALU_DEP_1) | instskip(SKIP_1) | instid1(VALU_DEP_1)
	v_lshlrev_b64_e32 v[20:21], s0, v[20:21]
	s_add_nc_u64 s[0:1], s[0:1], 8
	v_or_b32_e32 v17, v21, v17
	s_delay_alu instid0(VALU_DEP_2)
	v_or_b32_e32 v16, v20, v16
	s_wait_alu 0xfffe
	s_and_not1_b32 exec_lo, exec_lo, s12
	s_cbranch_execnz .LBB1_22
; %bb.23:                               ;   in Loop: Header=BB1_3 Depth=1
	s_or_b32 exec_lo, exec_lo, s12
.LBB1_24:                               ;   in Loop: Header=BB1_3 Depth=1
	s_wait_alu 0xfffe
	s_or_b32 exec_lo, exec_lo, s11
	v_dual_mov_b32 v21, v19 :: v_dual_mov_b32 v20, v18
                                        ; implicit-def: $vgpr10
.LBB1_25:                               ;   in Loop: Header=BB1_3 Depth=1
	s_wait_alu 0xfffe
	s_or_saveexec_b32 s0, s10
	v_mov_b32_e32 v0, 0
	s_wait_alu 0xfffe
	s_xor_b32 exec_lo, exec_lo, s0
	s_cbranch_execz .LBB1_27
; %bb.26:                               ;   in Loop: Header=BB1_3 Depth=1
	global_load_b64 v[16:17], v[18:19], off
	v_add_nc_u32_e32 v0, -8, v10
.LBB1_27:                               ;   in Loop: Header=BB1_3 Depth=1
	s_or_b32 exec_lo, exec_lo, s0
	v_add_co_u32 v22, s0, v20, 8
	s_wait_alu 0xf1ff
	v_add_co_ci_u32_e64 v23, null, 0, v21, s0
                                        ; implicit-def: $vgpr18_vgpr19
	s_mov_b32 s0, exec_lo
	v_cmpx_gt_u32_e32 8, v0
	s_wait_alu 0xfffe
	s_xor_b32 s10, exec_lo, s0
	s_cbranch_execz .LBB1_33
; %bb.28:                               ;   in Loop: Header=BB1_3 Depth=1
	v_mov_b32_e32 v18, 0
	v_mov_b32_e32 v19, 0
	s_mov_b32 s11, exec_lo
	v_cmpx_ne_u32_e32 0, v0
	s_cbranch_execz .LBB1_32
; %bb.29:                               ;   in Loop: Header=BB1_3 Depth=1
	v_mov_b32_e32 v18, 0
	v_mov_b32_e32 v19, 0
	s_mov_b64 s[0:1], 0
	s_mov_b32 s12, 0
	s_mov_b64 s[4:5], 0
.LBB1_30:                               ;   Parent Loop BB1_3 Depth=1
                                        ; =>  This Inner Loop Header: Depth=2
	s_wait_alu 0xfffe
	v_add_co_u32 v22, vcc_lo, v20, s4
	s_wait_alu 0xfffd
	v_add_co_ci_u32_e64 v23, null, s5, v21, vcc_lo
	s_add_nc_u64 s[4:5], s[4:5], 1
	s_wait_alu 0xfffe
	v_cmp_eq_u32_e32 vcc_lo, s4, v0
	global_load_u8 v10, v[22:23], off
	v_mov_b32_e32 v23, s7
	s_or_b32 s12, vcc_lo, s12
	s_wait_loadcnt 0x0
	v_and_b32_e32 v22, 0xffff, v10
	s_delay_alu instid0(VALU_DEP_1) | instskip(SKIP_1) | instid1(VALU_DEP_1)
	v_lshlrev_b64_e32 v[22:23], s0, v[22:23]
	s_add_nc_u64 s[0:1], s[0:1], 8
	v_or_b32_e32 v19, v23, v19
	s_delay_alu instid0(VALU_DEP_2)
	v_or_b32_e32 v18, v22, v18
	s_wait_alu 0xfffe
	s_and_not1_b32 exec_lo, exec_lo, s12
	s_cbranch_execnz .LBB1_30
; %bb.31:                               ;   in Loop: Header=BB1_3 Depth=1
	s_or_b32 exec_lo, exec_lo, s12
.LBB1_32:                               ;   in Loop: Header=BB1_3 Depth=1
	s_wait_alu 0xfffe
	s_or_b32 exec_lo, exec_lo, s11
	v_dual_mov_b32 v23, v21 :: v_dual_mov_b32 v22, v20
                                        ; implicit-def: $vgpr0
.LBB1_33:                               ;   in Loop: Header=BB1_3 Depth=1
	s_wait_alu 0xfffe
	s_or_saveexec_b32 s0, s10
	v_mov_b32_e32 v10, 0
	s_wait_alu 0xfffe
	s_xor_b32 exec_lo, exec_lo, s0
	s_cbranch_execz .LBB1_35
; %bb.34:                               ;   in Loop: Header=BB1_3 Depth=1
	global_load_b64 v[18:19], v[20:21], off
	v_add_nc_u32_e32 v10, -8, v0
.LBB1_35:                               ;   in Loop: Header=BB1_3 Depth=1
	s_or_b32 exec_lo, exec_lo, s0
	v_add_co_u32 v24, s0, v22, 8
	s_wait_alu 0xf1ff
	v_add_co_ci_u32_e64 v25, null, 0, v23, s0
	s_mov_b32 s0, exec_lo
	v_cmpx_gt_u32_e32 8, v10
	s_wait_alu 0xfffe
	s_xor_b32 s10, exec_lo, s0
	s_cbranch_execz .LBB1_41
; %bb.36:                               ;   in Loop: Header=BB1_3 Depth=1
	v_mov_b32_e32 v20, 0
	v_mov_b32_e32 v21, 0
	s_mov_b32 s11, exec_lo
	v_cmpx_ne_u32_e32 0, v10
	s_cbranch_execz .LBB1_40
; %bb.37:                               ;   in Loop: Header=BB1_3 Depth=1
	v_mov_b32_e32 v20, 0
	v_mov_b32_e32 v21, 0
	s_mov_b64 s[0:1], 0
	s_mov_b32 s12, 0
	s_mov_b64 s[4:5], 0
.LBB1_38:                               ;   Parent Loop BB1_3 Depth=1
                                        ; =>  This Inner Loop Header: Depth=2
	s_wait_alu 0xfffe
	v_add_co_u32 v24, vcc_lo, v22, s4
	s_wait_alu 0xfffd
	v_add_co_ci_u32_e64 v25, null, s5, v23, vcc_lo
	s_add_nc_u64 s[4:5], s[4:5], 1
	s_wait_alu 0xfffe
	v_cmp_eq_u32_e32 vcc_lo, s4, v10
	global_load_u8 v0, v[24:25], off
	v_mov_b32_e32 v25, s7
	s_or_b32 s12, vcc_lo, s12
	s_wait_loadcnt 0x0
	v_and_b32_e32 v24, 0xffff, v0
	s_delay_alu instid0(VALU_DEP_1) | instskip(SKIP_1) | instid1(VALU_DEP_1)
	v_lshlrev_b64_e32 v[24:25], s0, v[24:25]
	s_add_nc_u64 s[0:1], s[0:1], 8
	v_or_b32_e32 v21, v25, v21
	s_delay_alu instid0(VALU_DEP_2)
	v_or_b32_e32 v20, v24, v20
	s_wait_alu 0xfffe
	s_and_not1_b32 exec_lo, exec_lo, s12
	s_cbranch_execnz .LBB1_38
; %bb.39:                               ;   in Loop: Header=BB1_3 Depth=1
	s_or_b32 exec_lo, exec_lo, s12
.LBB1_40:                               ;   in Loop: Header=BB1_3 Depth=1
	s_wait_alu 0xfffe
	s_or_b32 exec_lo, exec_lo, s11
	v_dual_mov_b32 v25, v23 :: v_dual_mov_b32 v24, v22
                                        ; implicit-def: $vgpr10
.LBB1_41:                               ;   in Loop: Header=BB1_3 Depth=1
	s_wait_alu 0xfffe
	s_or_saveexec_b32 s0, s10
	v_mov_b32_e32 v0, 0
	s_wait_alu 0xfffe
	s_xor_b32 exec_lo, exec_lo, s0
	s_cbranch_execz .LBB1_43
; %bb.42:                               ;   in Loop: Header=BB1_3 Depth=1
	global_load_b64 v[20:21], v[22:23], off
	v_add_nc_u32_e32 v0, -8, v10
.LBB1_43:                               ;   in Loop: Header=BB1_3 Depth=1
	s_or_b32 exec_lo, exec_lo, s0
	v_add_co_u32 v26, s0, v24, 8
	s_wait_alu 0xf1ff
	v_add_co_ci_u32_e64 v27, null, 0, v25, s0
                                        ; implicit-def: $vgpr22_vgpr23
	s_mov_b32 s0, exec_lo
	v_cmpx_gt_u32_e32 8, v0
	s_wait_alu 0xfffe
	s_xor_b32 s10, exec_lo, s0
	s_cbranch_execz .LBB1_49
; %bb.44:                               ;   in Loop: Header=BB1_3 Depth=1
	v_mov_b32_e32 v22, 0
	v_mov_b32_e32 v23, 0
	s_mov_b32 s11, exec_lo
	v_cmpx_ne_u32_e32 0, v0
	s_cbranch_execz .LBB1_48
; %bb.45:                               ;   in Loop: Header=BB1_3 Depth=1
	v_mov_b32_e32 v22, 0
	v_mov_b32_e32 v23, 0
	s_mov_b64 s[0:1], 0
	s_mov_b32 s12, 0
	s_mov_b64 s[4:5], 0
.LBB1_46:                               ;   Parent Loop BB1_3 Depth=1
                                        ; =>  This Inner Loop Header: Depth=2
	s_wait_alu 0xfffe
	v_add_co_u32 v26, vcc_lo, v24, s4
	s_wait_alu 0xfffd
	v_add_co_ci_u32_e64 v27, null, s5, v25, vcc_lo
	s_add_nc_u64 s[4:5], s[4:5], 1
	s_wait_alu 0xfffe
	v_cmp_eq_u32_e32 vcc_lo, s4, v0
	global_load_u8 v10, v[26:27], off
	v_mov_b32_e32 v27, s7
	s_or_b32 s12, vcc_lo, s12
	s_wait_loadcnt 0x0
	v_and_b32_e32 v26, 0xffff, v10
	s_delay_alu instid0(VALU_DEP_1) | instskip(SKIP_1) | instid1(VALU_DEP_1)
	v_lshlrev_b64_e32 v[26:27], s0, v[26:27]
	s_add_nc_u64 s[0:1], s[0:1], 8
	v_or_b32_e32 v23, v27, v23
	s_delay_alu instid0(VALU_DEP_2)
	v_or_b32_e32 v22, v26, v22
	s_wait_alu 0xfffe
	s_and_not1_b32 exec_lo, exec_lo, s12
	s_cbranch_execnz .LBB1_46
; %bb.47:                               ;   in Loop: Header=BB1_3 Depth=1
	s_or_b32 exec_lo, exec_lo, s12
.LBB1_48:                               ;   in Loop: Header=BB1_3 Depth=1
	s_wait_alu 0xfffe
	s_or_b32 exec_lo, exec_lo, s11
	v_dual_mov_b32 v27, v25 :: v_dual_mov_b32 v26, v24
                                        ; implicit-def: $vgpr0
.LBB1_49:                               ;   in Loop: Header=BB1_3 Depth=1
	s_wait_alu 0xfffe
	s_or_saveexec_b32 s0, s10
	v_mov_b32_e32 v10, 0
	s_wait_alu 0xfffe
	s_xor_b32 exec_lo, exec_lo, s0
	s_cbranch_execz .LBB1_51
; %bb.50:                               ;   in Loop: Header=BB1_3 Depth=1
	global_load_b64 v[22:23], v[24:25], off
	v_add_nc_u32_e32 v10, -8, v0
.LBB1_51:                               ;   in Loop: Header=BB1_3 Depth=1
	s_or_b32 exec_lo, exec_lo, s0
	s_delay_alu instid0(SALU_CYCLE_1) | instskip(NEXT) | instid1(VALU_DEP_1)
	s_mov_b32 s0, exec_lo
	v_cmpx_gt_u32_e32 8, v10
	s_wait_alu 0xfffe
	s_xor_b32 s1, exec_lo, s0
	s_cbranch_execz .LBB1_57
; %bb.52:                               ;   in Loop: Header=BB1_3 Depth=1
	v_mov_b32_e32 v24, 0
	v_mov_b32_e32 v25, 0
	s_mov_b32 s10, exec_lo
	v_cmpx_ne_u32_e32 0, v10
	s_cbranch_execz .LBB1_56
; %bb.53:                               ;   in Loop: Header=BB1_3 Depth=1
	v_mov_b32_e32 v24, 0
	v_mov_b32_e32 v25, 0
	s_mov_b64 s[4:5], 0
	s_mov_b32 s11, 0
.LBB1_54:                               ;   Parent Loop BB1_3 Depth=1
                                        ; =>  This Inner Loop Header: Depth=2
	global_load_u8 v0, v[26:27], off
	v_dual_mov_b32 v29, s7 :: v_dual_add_nc_u32 v10, -1, v10
	v_add_co_u32 v26, vcc_lo, v26, 1
	s_wait_alu 0xfffd
	v_add_co_ci_u32_e64 v27, null, 0, v27, vcc_lo
	s_delay_alu instid0(VALU_DEP_3) | instskip(SKIP_4) | instid1(VALU_DEP_1)
	v_cmp_eq_u32_e64 s0, 0, v10
	s_wait_alu 0xfffe
	s_or_b32 s11, s0, s11
	s_wait_loadcnt 0x0
	v_and_b32_e32 v28, 0xffff, v0
	v_lshlrev_b64_e32 v[28:29], s4, v[28:29]
	s_add_nc_u64 s[4:5], s[4:5], 8
	s_delay_alu instid0(VALU_DEP_1) | instskip(NEXT) | instid1(VALU_DEP_2)
	v_or_b32_e32 v25, v29, v25
	v_or_b32_e32 v24, v28, v24
	s_wait_alu 0xfffe
	s_and_not1_b32 exec_lo, exec_lo, s11
	s_cbranch_execnz .LBB1_54
; %bb.55:                               ;   in Loop: Header=BB1_3 Depth=1
	s_or_b32 exec_lo, exec_lo, s11
.LBB1_56:                               ;   in Loop: Header=BB1_3 Depth=1
	s_wait_alu 0xfffe
	s_or_b32 exec_lo, exec_lo, s10
                                        ; implicit-def: $vgpr26_vgpr27
.LBB1_57:                               ;   in Loop: Header=BB1_3 Depth=1
	s_wait_alu 0xfffe
	s_and_not1_saveexec_b32 s0, s1
	s_cbranch_execz .LBB1_59
; %bb.58:                               ;   in Loop: Header=BB1_3 Depth=1
	global_load_b64 v[24:25], v[26:27], off
.LBB1_59:                               ;   in Loop: Header=BB1_3 Depth=1
	s_wait_alu 0xfffe
	s_or_b32 exec_lo, exec_lo, s0
	v_readfirstlane_b32 s0, v38
	v_mov_b32_e32 v34, 0
	v_mov_b32_e32 v35, 0
	s_wait_alu 0xf1ff
	s_delay_alu instid0(VALU_DEP_3)
	v_cmp_eq_u32_e64 s0, s0, v38
	s_and_saveexec_b32 s1, s0
	s_cbranch_execz .LBB1_65
; %bb.60:                               ;   in Loop: Header=BB1_3 Depth=1
	s_wait_kmcnt 0x0
	global_load_b64 v[28:29], v11, s[2:3] offset:24 scope:SCOPE_SYS
	s_wait_loadcnt 0x0
	global_inv scope:SCOPE_SYS
	s_clause 0x1
	global_load_b64 v[26:27], v11, s[2:3] offset:40
	global_load_b64 v[34:35], v11, s[2:3]
	s_mov_b32 s4, exec_lo
	s_wait_loadcnt 0x1
	v_and_b32_e32 v0, v27, v29
	v_and_b32_e32 v10, v26, v28
	s_delay_alu instid0(VALU_DEP_2) | instskip(NEXT) | instid1(VALU_DEP_2)
	v_mul_lo_u32 v0, 24, v0
	v_mul_lo_u32 v26, 0, v10
	v_mul_hi_u32 v27, 24, v10
	v_mul_lo_u32 v10, 24, v10
	s_delay_alu instid0(VALU_DEP_3) | instskip(SKIP_1) | instid1(VALU_DEP_2)
	v_add_nc_u32_e32 v0, v0, v26
	s_wait_loadcnt 0x0
	v_add_co_u32 v26, vcc_lo, v34, v10
	s_delay_alu instid0(VALU_DEP_2) | instskip(SKIP_1) | instid1(VALU_DEP_1)
	v_add_nc_u32_e32 v0, v0, v27
	s_wait_alu 0xfffd
	v_add_co_ci_u32_e64 v27, null, v35, v0, vcc_lo
	global_load_b64 v[26:27], v[26:27], off scope:SCOPE_SYS
	s_wait_loadcnt 0x0
	global_atomic_cmpswap_b64 v[34:35], v11, v[26:29], s[2:3] offset:24 th:TH_ATOMIC_RETURN scope:SCOPE_SYS
	s_wait_loadcnt 0x0
	global_inv scope:SCOPE_SYS
	v_cmpx_ne_u64_e64 v[34:35], v[28:29]
	s_cbranch_execz .LBB1_64
; %bb.61:                               ;   in Loop: Header=BB1_3 Depth=1
	s_mov_b32 s5, 0
.LBB1_62:                               ;   Parent Loop BB1_3 Depth=1
                                        ; =>  This Inner Loop Header: Depth=2
	s_sleep 1
	s_clause 0x1
	global_load_b64 v[26:27], v11, s[2:3] offset:40
	global_load_b64 v[36:37], v11, s[2:3]
	v_dual_mov_b32 v28, v34 :: v_dual_mov_b32 v29, v35
	s_wait_loadcnt 0x1
	s_delay_alu instid0(VALU_DEP_1) | instskip(NEXT) | instid1(VALU_DEP_2)
	v_and_b32_e32 v0, v26, v28
	v_and_b32_e32 v10, v27, v29
	s_wait_loadcnt 0x0
	s_delay_alu instid0(VALU_DEP_2) | instskip(NEXT) | instid1(VALU_DEP_1)
	v_mad_co_u64_u32 v[34:35], null, v0, 24, v[36:37]
	v_mov_b32_e32 v0, v35
	s_delay_alu instid0(VALU_DEP_1) | instskip(NEXT) | instid1(VALU_DEP_1)
	v_mad_co_u64_u32 v[26:27], null, v10, 24, v[0:1]
	v_mov_b32_e32 v35, v26
	global_load_b64 v[26:27], v[34:35], off scope:SCOPE_SYS
	s_wait_loadcnt 0x0
	global_atomic_cmpswap_b64 v[34:35], v11, v[26:29], s[2:3] offset:24 th:TH_ATOMIC_RETURN scope:SCOPE_SYS
	s_wait_loadcnt 0x0
	global_inv scope:SCOPE_SYS
	v_cmp_eq_u64_e32 vcc_lo, v[34:35], v[28:29]
	s_wait_alu 0xfffe
	s_or_b32 s5, vcc_lo, s5
	s_wait_alu 0xfffe
	s_and_not1_b32 exec_lo, exec_lo, s5
	s_cbranch_execnz .LBB1_62
; %bb.63:                               ;   in Loop: Header=BB1_3 Depth=1
	s_or_b32 exec_lo, exec_lo, s5
.LBB1_64:                               ;   in Loop: Header=BB1_3 Depth=1
	s_wait_alu 0xfffe
	s_or_b32 exec_lo, exec_lo, s4
.LBB1_65:                               ;   in Loop: Header=BB1_3 Depth=1
	s_wait_alu 0xfffe
	s_or_b32 exec_lo, exec_lo, s1
	s_wait_kmcnt 0x0
	s_clause 0x1
	global_load_b64 v[36:37], v11, s[2:3] offset:40
	global_load_b128 v[26:29], v11, s[2:3]
	v_readfirstlane_b32 s5, v35
	v_readfirstlane_b32 s4, v34
	s_mov_b32 s1, exec_lo
	s_wait_loadcnt 0x1
	s_wait_alu 0xf1ff
	v_and_b32_e32 v37, s5, v37
	v_and_b32_e32 v36, s4, v36
	s_delay_alu instid0(VALU_DEP_2) | instskip(NEXT) | instid1(VALU_DEP_2)
	v_mul_lo_u32 v0, 24, v37
	v_mul_lo_u32 v10, 0, v36
	v_mul_hi_u32 v34, 24, v36
	v_mul_lo_u32 v35, 24, v36
	s_delay_alu instid0(VALU_DEP_3) | instskip(NEXT) | instid1(VALU_DEP_1)
	v_add_nc_u32_e32 v0, v0, v10
	v_add_nc_u32_e32 v0, v0, v34
	s_wait_loadcnt 0x0
	s_delay_alu instid0(VALU_DEP_3) | instskip(SKIP_1) | instid1(VALU_DEP_2)
	v_add_co_u32 v34, vcc_lo, v26, v35
	s_wait_alu 0xfffd
	v_add_co_ci_u32_e64 v35, null, v27, v0, vcc_lo
	s_and_saveexec_b32 s10, s0
	s_cbranch_execz .LBB1_67
; %bb.66:                               ;   in Loop: Header=BB1_3 Depth=1
	s_wait_alu 0xfffe
	v_mov_b32_e32 v10, s1
	global_store_b128 v[34:35], v[10:13], off offset:8
.LBB1_67:                               ;   in Loop: Header=BB1_3 Depth=1
	s_wait_alu 0xfffe
	s_or_b32 exec_lo, exec_lo, s10
	v_cmp_gt_u64_e32 vcc_lo, 57, v[4:5]
	v_lshlrev_b64_e32 v[36:37], 12, v[36:37]
	v_and_b32_e32 v6, 0xffffff1f, v6
	v_lshl_add_u32 v10, v32, 2, 28
	s_wait_alu 0xfffd
	v_cndmask_b32_e32 v0, 0, v2, vcc_lo
	s_delay_alu instid0(VALU_DEP_1) | instskip(SKIP_3) | instid1(VALU_DEP_3)
	v_or_b32_e32 v6, v6, v0
	v_add_co_u32 v0, vcc_lo, v28, v36
	s_wait_alu 0xfffd
	v_add_co_ci_u32_e64 v28, null, v29, v37, vcc_lo
	v_and_or_b32 v6, 0x1e0, v10, v6
	v_lshlrev_b32_e32 v29, 6, v38
	v_readfirstlane_b32 s10, v0
	s_delay_alu instid0(VALU_DEP_4)
	v_readfirstlane_b32 s11, v28
	s_clause 0x3
	global_store_b128 v29, v[6:9], s[10:11]
	global_store_b128 v29, v[14:17], s[10:11] offset:16
	global_store_b128 v29, v[18:21], s[10:11] offset:32
	;; [unrolled: 1-line block ×3, first 2 shown]
	s_and_saveexec_b32 s1, s0
	s_cbranch_execz .LBB1_75
; %bb.68:                               ;   in Loop: Header=BB1_3 Depth=1
	s_clause 0x1
	global_load_b64 v[18:19], v11, s[2:3] offset:32 scope:SCOPE_SYS
	global_load_b64 v[6:7], v11, s[2:3] offset:40
	s_mov_b32 s10, exec_lo
	v_dual_mov_b32 v16, s4 :: v_dual_mov_b32 v17, s5
	s_wait_loadcnt 0x0
	v_and_b32_e32 v6, s4, v6
	v_and_b32_e32 v7, s5, v7
	s_delay_alu instid0(VALU_DEP_2) | instskip(NEXT) | instid1(VALU_DEP_2)
	v_mul_lo_u32 v8, 0, v6
	v_mul_lo_u32 v7, 24, v7
	v_mul_hi_u32 v9, 24, v6
	v_mul_lo_u32 v6, 24, v6
	s_delay_alu instid0(VALU_DEP_3) | instskip(NEXT) | instid1(VALU_DEP_2)
	v_add_nc_u32_e32 v7, v7, v8
	v_add_co_u32 v14, vcc_lo, v26, v6
	s_delay_alu instid0(VALU_DEP_2) | instskip(SKIP_1) | instid1(VALU_DEP_1)
	v_add_nc_u32_e32 v7, v7, v9
	s_wait_alu 0xfffd
	v_add_co_ci_u32_e64 v15, null, v27, v7, vcc_lo
	global_store_b64 v[14:15], v[18:19], off
	global_wb scope:SCOPE_SYS
	s_wait_storecnt 0x0
	global_atomic_cmpswap_b64 v[8:9], v11, v[16:19], s[2:3] offset:32 th:TH_ATOMIC_RETURN scope:SCOPE_SYS
	s_wait_loadcnt 0x0
	v_cmpx_ne_u64_e64 v[8:9], v[18:19]
	s_cbranch_execz .LBB1_71
; %bb.69:                               ;   in Loop: Header=BB1_3 Depth=1
	s_mov_b32 s11, 0
.LBB1_70:                               ;   Parent Loop BB1_3 Depth=1
                                        ; =>  This Inner Loop Header: Depth=2
	v_dual_mov_b32 v6, s4 :: v_dual_mov_b32 v7, s5
	s_sleep 1
	global_store_b64 v[14:15], v[8:9], off
	global_wb scope:SCOPE_SYS
	s_wait_storecnt 0x0
	global_atomic_cmpswap_b64 v[6:7], v11, v[6:9], s[2:3] offset:32 th:TH_ATOMIC_RETURN scope:SCOPE_SYS
	s_wait_loadcnt 0x0
	v_cmp_eq_u64_e32 vcc_lo, v[6:7], v[8:9]
	v_dual_mov_b32 v9, v7 :: v_dual_mov_b32 v8, v6
	s_wait_alu 0xfffe
	s_or_b32 s11, vcc_lo, s11
	s_wait_alu 0xfffe
	s_and_not1_b32 exec_lo, exec_lo, s11
	s_cbranch_execnz .LBB1_70
.LBB1_71:                               ;   in Loop: Header=BB1_3 Depth=1
	s_wait_alu 0xfffe
	s_or_b32 exec_lo, exec_lo, s10
	global_load_b64 v[6:7], v11, s[2:3] offset:16
	s_mov_b32 s11, exec_lo
	s_mov_b32 s10, exec_lo
	s_wait_alu 0xfffe
	v_mbcnt_lo_u32_b32 v8, s11, 0
	s_delay_alu instid0(VALU_DEP_1)
	v_cmpx_eq_u32_e32 0, v8
	s_cbranch_execz .LBB1_73
; %bb.72:                               ;   in Loop: Header=BB1_3 Depth=1
	s_bcnt1_i32_b32 s11, s11
	s_wait_alu 0xfffe
	v_mov_b32_e32 v10, s11
	global_wb scope:SCOPE_SYS
	s_wait_loadcnt 0x0
	s_wait_storecnt 0x0
	global_atomic_add_u64 v[6:7], v[10:11], off offset:8 scope:SCOPE_SYS
.LBB1_73:                               ;   in Loop: Header=BB1_3 Depth=1
	s_or_b32 exec_lo, exec_lo, s10
	s_wait_loadcnt 0x0
	global_load_b64 v[8:9], v[6:7], off offset:16
	s_wait_loadcnt 0x0
	v_cmp_eq_u64_e32 vcc_lo, 0, v[8:9]
	s_cbranch_vccnz .LBB1_75
; %bb.74:                               ;   in Loop: Header=BB1_3 Depth=1
	global_load_b32 v10, v[6:7], off offset:24
	s_wait_loadcnt 0x0
	v_readfirstlane_b32 s10, v10
	global_wb scope:SCOPE_SYS
	s_wait_storecnt 0x0
	global_store_b64 v[8:9], v[10:11], off scope:SCOPE_SYS
	s_and_b32 m0, s10, 0xffffff
	s_sendmsg sendmsg(MSG_INTERRUPT)
.LBB1_75:                               ;   in Loop: Header=BB1_3 Depth=1
	s_wait_alu 0xfffe
	s_or_b32 exec_lo, exec_lo, s1
	v_add_co_u32 v6, vcc_lo, v0, v29
	s_wait_alu 0xfffd
	v_add_co_ci_u32_e64 v7, null, 0, v28, vcc_lo
	s_branch .LBB1_79
.LBB1_76:                               ;   in Loop: Header=BB1_79 Depth=2
	s_wait_alu 0xfffe
	s_or_b32 exec_lo, exec_lo, s1
	s_delay_alu instid0(VALU_DEP_1)
	v_readfirstlane_b32 s1, v0
	s_cmp_eq_u32 s1, 0
	s_cbranch_scc1 .LBB1_78
; %bb.77:                               ;   in Loop: Header=BB1_79 Depth=2
	s_sleep 1
	s_cbranch_execnz .LBB1_79
	s_branch .LBB1_81
.LBB1_78:                               ;   in Loop: Header=BB1_3 Depth=1
	s_branch .LBB1_81
.LBB1_79:                               ;   Parent Loop BB1_3 Depth=1
                                        ; =>  This Inner Loop Header: Depth=2
	v_mov_b32_e32 v0, 1
	s_and_saveexec_b32 s1, s0
	s_cbranch_execz .LBB1_76
; %bb.80:                               ;   in Loop: Header=BB1_79 Depth=2
	global_load_b32 v0, v[34:35], off offset:20 scope:SCOPE_SYS
	s_wait_loadcnt 0x0
	global_inv scope:SCOPE_SYS
	v_and_b32_e32 v0, 1, v0
	s_branch .LBB1_76
.LBB1_81:                               ;   in Loop: Header=BB1_3 Depth=1
	global_load_b64 v[6:7], v[6:7], off
	s_and_saveexec_b32 s10, s0
	s_cbranch_execz .LBB1_2
; %bb.82:                               ;   in Loop: Header=BB1_3 Depth=1
	s_clause 0x2
	global_load_b64 v[8:9], v11, s[2:3] offset:40
	global_load_b64 v[18:19], v11, s[2:3] offset:24 scope:SCOPE_SYS
	global_load_b64 v[14:15], v11, s[2:3]
	s_wait_loadcnt 0x2
	v_readfirstlane_b32 s12, v8
	v_readfirstlane_b32 s13, v9
	s_add_nc_u64 s[0:1], s[12:13], 1
	s_wait_alu 0xfffe
	s_add_nc_u64 s[4:5], s[0:1], s[4:5]
	s_wait_alu 0xfffe
	s_cmp_eq_u64 s[4:5], 0
	s_cselect_b32 s1, s1, s5
	s_cselect_b32 s0, s0, s4
	s_wait_alu 0xfffe
	v_dual_mov_b32 v17, s1 :: v_dual_mov_b32 v16, s0
	s_and_b64 s[4:5], s[0:1], s[12:13]
	s_wait_alu 0xfffe
	s_mul_u64 s[4:5], s[4:5], 24
	s_wait_loadcnt 0x0
	s_wait_alu 0xfffe
	v_add_co_u32 v8, vcc_lo, v14, s4
	s_wait_alu 0xfffd
	v_add_co_ci_u32_e64 v9, null, s5, v15, vcc_lo
	global_store_b64 v[8:9], v[18:19], off
	global_wb scope:SCOPE_SYS
	s_wait_storecnt 0x0
	global_atomic_cmpswap_b64 v[16:17], v11, v[16:19], s[2:3] offset:24 th:TH_ATOMIC_RETURN scope:SCOPE_SYS
	s_wait_loadcnt 0x0
	v_cmp_ne_u64_e32 vcc_lo, v[16:17], v[18:19]
	s_and_b32 exec_lo, exec_lo, vcc_lo
	s_cbranch_execz .LBB1_2
; %bb.83:                               ;   in Loop: Header=BB1_3 Depth=1
	s_mov_b32 s4, 0
.LBB1_84:                               ;   Parent Loop BB1_3 Depth=1
                                        ; =>  This Inner Loop Header: Depth=2
	v_dual_mov_b32 v14, s0 :: v_dual_mov_b32 v15, s1
	s_sleep 1
	global_store_b64 v[8:9], v[16:17], off
	global_wb scope:SCOPE_SYS
	s_wait_storecnt 0x0
	global_atomic_cmpswap_b64 v[14:15], v11, v[14:17], s[2:3] offset:24 th:TH_ATOMIC_RETURN scope:SCOPE_SYS
	s_wait_loadcnt 0x0
	v_cmp_eq_u64_e32 vcc_lo, v[14:15], v[16:17]
	v_dual_mov_b32 v17, v15 :: v_dual_mov_b32 v16, v14
	s_wait_alu 0xfffe
	s_or_b32 s4, vcc_lo, s4
	s_wait_alu 0xfffe
	s_and_not1_b32 exec_lo, exec_lo, s4
	s_cbranch_execnz .LBB1_84
	s_branch .LBB1_2
.LBB1_85:
	s_or_b32 exec_lo, exec_lo, s6
.LBB1_86:
	s_wait_loadcnt 0x0
	v_dual_mov_b32 v0, v6 :: v_dual_mov_b32 v1, v7
	s_wait_kmcnt 0x0
	s_setpc_b64 s[30:31]
.LBB1_87:
                                        ; implicit-def: $vgpr6_vgpr7
	s_cbranch_execz .LBB1_86
; %bb.88:
	s_load_b64 s[2:3], s[8:9], 0x50
	v_readfirstlane_b32 s0, v38
	v_mov_b32_e32 v8, 0
	v_mov_b32_e32 v9, 0
	s_wait_alu 0xf1ff
	s_delay_alu instid0(VALU_DEP_3)
	v_cmp_eq_u32_e64 s0, s0, v38
	s_and_saveexec_b32 s1, s0
	s_cbranch_execz .LBB1_94
; %bb.89:
	v_mov_b32_e32 v0, 0
	s_mov_b32 s4, exec_lo
	s_wait_loadcnt 0x0
	s_wait_kmcnt 0x0
	global_load_b64 v[6:7], v0, s[2:3] offset:24 scope:SCOPE_SYS
	s_wait_loadcnt 0x0
	global_inv scope:SCOPE_SYS
	s_clause 0x1
	global_load_b64 v[4:5], v0, s[2:3] offset:40
	global_load_b64 v[8:9], v0, s[2:3]
	s_wait_loadcnt 0x1
	v_and_b32_e32 v2, v5, v7
	v_and_b32_e32 v4, v4, v6
	s_delay_alu instid0(VALU_DEP_2) | instskip(NEXT) | instid1(VALU_DEP_2)
	v_mul_lo_u32 v2, 24, v2
	v_mul_lo_u32 v5, 0, v4
	v_mul_hi_u32 v10, 24, v4
	v_mul_lo_u32 v4, 24, v4
	s_delay_alu instid0(VALU_DEP_3) | instskip(SKIP_1) | instid1(VALU_DEP_2)
	v_add_nc_u32_e32 v2, v2, v5
	s_wait_loadcnt 0x0
	v_add_co_u32 v4, vcc_lo, v8, v4
	s_delay_alu instid0(VALU_DEP_2) | instskip(SKIP_1) | instid1(VALU_DEP_1)
	v_add_nc_u32_e32 v2, v2, v10
	s_wait_alu 0xfffd
	v_add_co_ci_u32_e64 v5, null, v9, v2, vcc_lo
	global_load_b64 v[4:5], v[4:5], off scope:SCOPE_SYS
	s_wait_loadcnt 0x0
	global_atomic_cmpswap_b64 v[8:9], v0, v[4:7], s[2:3] offset:24 th:TH_ATOMIC_RETURN scope:SCOPE_SYS
	s_wait_loadcnt 0x0
	global_inv scope:SCOPE_SYS
	v_cmpx_ne_u64_e64 v[8:9], v[6:7]
	s_cbranch_execz .LBB1_93
; %bb.90:
	s_mov_b32 s5, 0
.LBB1_91:                               ; =>This Inner Loop Header: Depth=1
	s_sleep 1
	s_clause 0x1
	global_load_b64 v[4:5], v0, s[2:3] offset:40
	global_load_b64 v[10:11], v0, s[2:3]
	v_dual_mov_b32 v6, v8 :: v_dual_mov_b32 v7, v9
	s_wait_loadcnt 0x1
	s_delay_alu instid0(VALU_DEP_1) | instskip(NEXT) | instid1(VALU_DEP_2)
	v_and_b32_e32 v2, v4, v6
	v_and_b32_e32 v4, v5, v7
	s_wait_loadcnt 0x0
	s_delay_alu instid0(VALU_DEP_2) | instskip(NEXT) | instid1(VALU_DEP_1)
	v_mad_co_u64_u32 v[8:9], null, v2, 24, v[10:11]
	v_mov_b32_e32 v2, v9
	s_delay_alu instid0(VALU_DEP_1) | instskip(NEXT) | instid1(VALU_DEP_1)
	v_mad_co_u64_u32 v[4:5], null, v4, 24, v[2:3]
	v_mov_b32_e32 v9, v4
	global_load_b64 v[4:5], v[8:9], off scope:SCOPE_SYS
	s_wait_loadcnt 0x0
	global_atomic_cmpswap_b64 v[8:9], v0, v[4:7], s[2:3] offset:24 th:TH_ATOMIC_RETURN scope:SCOPE_SYS
	s_wait_loadcnt 0x0
	global_inv scope:SCOPE_SYS
	v_cmp_eq_u64_e32 vcc_lo, v[8:9], v[6:7]
	s_wait_alu 0xfffe
	s_or_b32 s5, vcc_lo, s5
	s_wait_alu 0xfffe
	s_and_not1_b32 exec_lo, exec_lo, s5
	s_cbranch_execnz .LBB1_91
; %bb.92:
	s_or_b32 exec_lo, exec_lo, s5
.LBB1_93:
	s_wait_alu 0xfffe
	s_or_b32 exec_lo, exec_lo, s4
.LBB1_94:
	s_wait_alu 0xfffe
	s_or_b32 exec_lo, exec_lo, s1
	v_readfirstlane_b32 s5, v9
	v_mov_b32_e32 v2, 0
	v_readfirstlane_b32 s4, v8
	s_mov_b32 s1, exec_lo
	s_wait_kmcnt 0x0
	global_load_b64 v[10:11], v2, s[2:3] offset:40
	s_wait_loadcnt 0x1
	global_load_b128 v[4:7], v2, s[2:3]
	s_wait_loadcnt 0x1
	s_wait_alu 0xf1ff
	v_and_b32_e32 v11, s5, v11
	v_and_b32_e32 v10, s4, v10
	s_delay_alu instid0(VALU_DEP_2) | instskip(NEXT) | instid1(VALU_DEP_2)
	v_mul_lo_u32 v0, 24, v11
	v_mul_lo_u32 v8, 0, v10
	v_mul_hi_u32 v9, 24, v10
	v_mul_lo_u32 v12, 24, v10
	s_delay_alu instid0(VALU_DEP_3) | instskip(SKIP_1) | instid1(VALU_DEP_2)
	v_add_nc_u32_e32 v0, v0, v8
	s_wait_loadcnt 0x0
	v_add_co_u32 v8, vcc_lo, v4, v12
	s_delay_alu instid0(VALU_DEP_2) | instskip(SKIP_1) | instid1(VALU_DEP_1)
	v_add_nc_u32_e32 v0, v0, v9
	s_wait_alu 0xfffd
	v_add_co_ci_u32_e64 v9, null, v5, v0, vcc_lo
	s_and_saveexec_b32 s6, s0
	s_cbranch_execz .LBB1_96
; %bb.95:
	s_wait_alu 0xfffe
	v_dual_mov_b32 v12, s1 :: v_dual_mov_b32 v13, v2
	v_dual_mov_b32 v14, 2 :: v_dual_mov_b32 v15, 1
	global_store_b128 v[8:9], v[12:15], off offset:8
.LBB1_96:
	s_wait_alu 0xfffe
	s_or_b32 exec_lo, exec_lo, s6
	v_lshlrev_b64_e32 v[10:11], 12, v[10:11]
	v_lshlrev_b32_e32 v14, 6, v38
	s_mov_b32 s8, 0
	v_and_or_b32 v0, 0xffffff1f, v3, 32
	v_mov_b32_e32 v3, v2
	s_wait_alu 0xfffe
	s_mov_b32 s11, s8
	v_add_co_u32 v6, vcc_lo, v6, v10
	s_wait_alu 0xfffd
	v_add_co_ci_u32_e64 v7, null, v7, v11, vcc_lo
	s_mov_b32 s9, s8
	v_readfirstlane_b32 s6, v6
	v_add_co_u32 v6, vcc_lo, v6, v14
	s_mov_b32 s10, s8
	v_readfirstlane_b32 s7, v7
	s_wait_alu 0xfffe
	v_dual_mov_b32 v13, s11 :: v_dual_mov_b32 v12, s10
	s_wait_alu 0xfffd
	v_add_co_ci_u32_e64 v7, null, 0, v7, vcc_lo
	v_dual_mov_b32 v11, s9 :: v_dual_mov_b32 v10, s8
	s_clause 0x3
	global_store_b128 v14, v[0:3], s[6:7]
	global_store_b128 v14, v[10:13], s[6:7] offset:16
	global_store_b128 v14, v[10:13], s[6:7] offset:32
	;; [unrolled: 1-line block ×3, first 2 shown]
	s_and_saveexec_b32 s1, s0
	s_cbranch_execz .LBB1_104
; %bb.97:
	v_mov_b32_e32 v10, 0
	s_mov_b32 s6, exec_lo
	s_clause 0x1
	global_load_b64 v[13:14], v10, s[2:3] offset:32 scope:SCOPE_SYS
	global_load_b64 v[0:1], v10, s[2:3] offset:40
	v_dual_mov_b32 v11, s4 :: v_dual_mov_b32 v12, s5
	s_wait_loadcnt 0x0
	v_and_b32_e32 v1, s5, v1
	v_and_b32_e32 v0, s4, v0
	s_delay_alu instid0(VALU_DEP_2) | instskip(NEXT) | instid1(VALU_DEP_2)
	v_mul_lo_u32 v1, 24, v1
	v_mul_lo_u32 v2, 0, v0
	v_mul_hi_u32 v3, 24, v0
	v_mul_lo_u32 v0, 24, v0
	s_delay_alu instid0(VALU_DEP_3) | instskip(NEXT) | instid1(VALU_DEP_2)
	v_add_nc_u32_e32 v1, v1, v2
	v_add_co_u32 v4, vcc_lo, v4, v0
	s_delay_alu instid0(VALU_DEP_2) | instskip(SKIP_1) | instid1(VALU_DEP_1)
	v_add_nc_u32_e32 v1, v1, v3
	s_wait_alu 0xfffd
	v_add_co_ci_u32_e64 v5, null, v5, v1, vcc_lo
	global_store_b64 v[4:5], v[13:14], off
	global_wb scope:SCOPE_SYS
	s_wait_storecnt 0x0
	global_atomic_cmpswap_b64 v[2:3], v10, v[11:14], s[2:3] offset:32 th:TH_ATOMIC_RETURN scope:SCOPE_SYS
	s_wait_loadcnt 0x0
	v_cmpx_ne_u64_e64 v[2:3], v[13:14]
	s_cbranch_execz .LBB1_100
; %bb.98:
	s_mov_b32 s7, 0
.LBB1_99:                               ; =>This Inner Loop Header: Depth=1
	v_dual_mov_b32 v0, s4 :: v_dual_mov_b32 v1, s5
	s_sleep 1
	global_store_b64 v[4:5], v[2:3], off
	global_wb scope:SCOPE_SYS
	s_wait_storecnt 0x0
	global_atomic_cmpswap_b64 v[0:1], v10, v[0:3], s[2:3] offset:32 th:TH_ATOMIC_RETURN scope:SCOPE_SYS
	s_wait_loadcnt 0x0
	v_cmp_eq_u64_e32 vcc_lo, v[0:1], v[2:3]
	v_dual_mov_b32 v3, v1 :: v_dual_mov_b32 v2, v0
	s_wait_alu 0xfffe
	s_or_b32 s7, vcc_lo, s7
	s_wait_alu 0xfffe
	s_and_not1_b32 exec_lo, exec_lo, s7
	s_cbranch_execnz .LBB1_99
.LBB1_100:
	s_wait_alu 0xfffe
	s_or_b32 exec_lo, exec_lo, s6
	v_mov_b32_e32 v3, 0
	s_mov_b32 s7, exec_lo
	s_mov_b32 s6, exec_lo
	s_wait_alu 0xfffe
	v_mbcnt_lo_u32_b32 v2, s7, 0
	global_load_b64 v[0:1], v3, s[2:3] offset:16
	v_cmpx_eq_u32_e32 0, v2
	s_cbranch_execz .LBB1_102
; %bb.101:
	s_bcnt1_i32_b32 s7, s7
	s_wait_alu 0xfffe
	v_mov_b32_e32 v2, s7
	global_wb scope:SCOPE_SYS
	s_wait_loadcnt 0x0
	s_wait_storecnt 0x0
	global_atomic_add_u64 v[0:1], v[2:3], off offset:8 scope:SCOPE_SYS
.LBB1_102:
	s_or_b32 exec_lo, exec_lo, s6
	s_wait_loadcnt 0x0
	global_load_b64 v[2:3], v[0:1], off offset:16
	s_wait_loadcnt 0x0
	v_cmp_eq_u64_e32 vcc_lo, 0, v[2:3]
	s_cbranch_vccnz .LBB1_104
; %bb.103:
	global_load_b32 v0, v[0:1], off offset:24
	v_mov_b32_e32 v1, 0
	s_wait_loadcnt 0x0
	v_readfirstlane_b32 s6, v0
	global_wb scope:SCOPE_SYS
	s_wait_storecnt 0x0
	global_store_b64 v[2:3], v[0:1], off scope:SCOPE_SYS
	s_and_b32 m0, s6, 0xffffff
	s_sendmsg sendmsg(MSG_INTERRUPT)
.LBB1_104:
	s_wait_alu 0xfffe
	s_or_b32 exec_lo, exec_lo, s1
	s_branch .LBB1_108
.LBB1_105:                              ;   in Loop: Header=BB1_108 Depth=1
	s_wait_alu 0xfffe
	s_or_b32 exec_lo, exec_lo, s1
	s_delay_alu instid0(VALU_DEP_1)
	v_readfirstlane_b32 s1, v0
	s_cmp_eq_u32 s1, 0
	s_cbranch_scc1 .LBB1_107
; %bb.106:                              ;   in Loop: Header=BB1_108 Depth=1
	s_sleep 1
	s_cbranch_execnz .LBB1_108
	s_branch .LBB1_110
.LBB1_107:
	s_branch .LBB1_110
.LBB1_108:                              ; =>This Inner Loop Header: Depth=1
	v_mov_b32_e32 v0, 1
	s_and_saveexec_b32 s1, s0
	s_cbranch_execz .LBB1_105
; %bb.109:                              ;   in Loop: Header=BB1_108 Depth=1
	global_load_b32 v0, v[8:9], off offset:20 scope:SCOPE_SYS
	s_wait_loadcnt 0x0
	global_inv scope:SCOPE_SYS
	v_and_b32_e32 v0, 1, v0
	s_branch .LBB1_105
.LBB1_110:
	global_load_b64 v[6:7], v[6:7], off
	s_and_saveexec_b32 s6, s0
	s_cbranch_execz .LBB1_114
; %bb.111:
	v_mov_b32_e32 v8, 0
	s_clause 0x2
	global_load_b64 v[0:1], v8, s[2:3] offset:40
	global_load_b64 v[11:12], v8, s[2:3] offset:24 scope:SCOPE_SYS
	global_load_b64 v[2:3], v8, s[2:3]
	s_wait_loadcnt 0x2
	v_readfirstlane_b32 s8, v0
	v_readfirstlane_b32 s9, v1
	s_add_nc_u64 s[0:1], s[8:9], 1
	s_wait_alu 0xfffe
	s_add_nc_u64 s[4:5], s[0:1], s[4:5]
	s_wait_alu 0xfffe
	s_cmp_eq_u64 s[4:5], 0
	s_cselect_b32 s1, s1, s5
	s_cselect_b32 s0, s0, s4
	s_wait_alu 0xfffe
	v_mov_b32_e32 v10, s1
	s_and_b64 s[4:5], s[0:1], s[8:9]
	v_mov_b32_e32 v9, s0
	s_wait_alu 0xfffe
	s_mul_u64 s[4:5], s[4:5], 24
	s_wait_loadcnt 0x0
	s_wait_alu 0xfffe
	v_add_co_u32 v4, vcc_lo, v2, s4
	s_wait_alu 0xfffd
	v_add_co_ci_u32_e64 v5, null, s5, v3, vcc_lo
	global_store_b64 v[4:5], v[11:12], off
	global_wb scope:SCOPE_SYS
	s_wait_storecnt 0x0
	global_atomic_cmpswap_b64 v[2:3], v8, v[9:12], s[2:3] offset:24 th:TH_ATOMIC_RETURN scope:SCOPE_SYS
	s_wait_loadcnt 0x0
	v_cmp_ne_u64_e32 vcc_lo, v[2:3], v[11:12]
	s_and_b32 exec_lo, exec_lo, vcc_lo
	s_cbranch_execz .LBB1_114
; %bb.112:
	s_mov_b32 s4, 0
.LBB1_113:                              ; =>This Inner Loop Header: Depth=1
	v_dual_mov_b32 v0, s0 :: v_dual_mov_b32 v1, s1
	s_sleep 1
	global_store_b64 v[4:5], v[2:3], off
	global_wb scope:SCOPE_SYS
	s_wait_storecnt 0x0
	global_atomic_cmpswap_b64 v[0:1], v8, v[0:3], s[2:3] offset:24 th:TH_ATOMIC_RETURN scope:SCOPE_SYS
	s_wait_loadcnt 0x0
	v_cmp_eq_u64_e32 vcc_lo, v[0:1], v[2:3]
	v_dual_mov_b32 v3, v1 :: v_dual_mov_b32 v2, v0
	s_wait_alu 0xfffe
	s_or_b32 s4, vcc_lo, s4
	s_wait_alu 0xfffe
	s_and_not1_b32 exec_lo, exec_lo, s4
	s_cbranch_execnz .LBB1_113
.LBB1_114:
	s_wait_alu 0xfffe
	s_or_b32 exec_lo, exec_lo, s6
	s_wait_loadcnt 0x0
	v_dual_mov_b32 v0, v6 :: v_dual_mov_b32 v1, v7
	s_wait_kmcnt 0x0
	s_setpc_b64 s[30:31]
.Lfunc_end1:
	.size	__ockl_printf_append_string_n, .Lfunc_end1-__ockl_printf_append_string_n
                                        ; -- End function
	.set .L__ockl_printf_append_string_n.num_vgpr, 39
	.set .L__ockl_printf_append_string_n.num_agpr, 0
	.set .L__ockl_printf_append_string_n.numbered_sgpr, 32
	.set .L__ockl_printf_append_string_n.num_named_barrier, 0
	.set .L__ockl_printf_append_string_n.private_seg_size, 0
	.set .L__ockl_printf_append_string_n.uses_vcc, 1
	.set .L__ockl_printf_append_string_n.uses_flat_scratch, 0
	.set .L__ockl_printf_append_string_n.has_dyn_sized_stack, 0
	.set .L__ockl_printf_append_string_n.has_recursion, 0
	.set .L__ockl_printf_append_string_n.has_indirect_call, 0
	.section	.AMDGPU.csdata,"",@progbits
; Function info:
; codeLenInByte = 5328
; TotalNumSgprs: 34
; NumVgprs: 39
; ScratchSize: 0
; MemoryBound: 0
	.text
	.p2align	2                               ; -- Begin function __ockl_printf_append_args
	.type	__ockl_printf_append_args,@function
__ockl_printf_append_args:              ; @__ockl_printf_append_args
; %bb.0:
	s_wait_loadcnt_dscnt 0x0
	s_wait_expcnt 0x0
	s_wait_samplecnt 0x0
	s_wait_bvhcnt 0x0
	s_wait_kmcnt 0x0
	s_load_b64 s[2:3], s[8:9], 0x50
	v_mbcnt_lo_u32_b32 v17, -1, 0
	v_mov_b32_e32 v11, 0
	v_mov_b32_e32 v12, 0
	s_delay_alu instid0(VALU_DEP_3) | instskip(SKIP_1) | instid1(VALU_DEP_1)
	v_readfirstlane_b32 s0, v17
	s_wait_alu 0xf1ff
	v_cmp_eq_u32_e64 s0, s0, v17
	s_and_saveexec_b32 s1, s0
	s_cbranch_execz .LBB2_6
; %bb.1:
	v_mov_b32_e32 v5, 0
	s_mov_b32 s4, exec_lo
	s_wait_kmcnt 0x0
	global_load_b64 v[8:9], v5, s[2:3] offset:24 scope:SCOPE_SYS
	s_wait_loadcnt 0x0
	global_inv scope:SCOPE_SYS
	s_clause 0x1
	global_load_b64 v[6:7], v5, s[2:3] offset:40
	global_load_b64 v[10:11], v5, s[2:3]
	s_wait_loadcnt 0x1
	v_and_b32_e32 v7, v7, v9
	v_and_b32_e32 v6, v6, v8
	s_delay_alu instid0(VALU_DEP_2) | instskip(NEXT) | instid1(VALU_DEP_2)
	v_mul_lo_u32 v7, 24, v7
	v_mul_lo_u32 v12, 0, v6
	v_mul_hi_u32 v13, 24, v6
	v_mul_lo_u32 v6, 24, v6
	s_delay_alu instid0(VALU_DEP_3) | instskip(SKIP_1) | instid1(VALU_DEP_2)
	v_add_nc_u32_e32 v7, v7, v12
	s_wait_loadcnt 0x0
	v_add_co_u32 v6, vcc_lo, v10, v6
	s_delay_alu instid0(VALU_DEP_2) | instskip(SKIP_1) | instid1(VALU_DEP_1)
	v_add_nc_u32_e32 v7, v7, v13
	s_wait_alu 0xfffd
	v_add_co_ci_u32_e64 v7, null, v11, v7, vcc_lo
	global_load_b64 v[6:7], v[6:7], off scope:SCOPE_SYS
	s_wait_loadcnt 0x0
	global_atomic_cmpswap_b64 v[11:12], v5, v[6:9], s[2:3] offset:24 th:TH_ATOMIC_RETURN scope:SCOPE_SYS
	s_wait_loadcnt 0x0
	global_inv scope:SCOPE_SYS
	v_cmpx_ne_u64_e64 v[11:12], v[8:9]
	s_cbranch_execz .LBB2_5
; %bb.2:
	s_mov_b32 s5, 0
.LBB2_3:                                ; =>This Inner Loop Header: Depth=1
	s_sleep 1
	s_clause 0x1
	global_load_b64 v[6:7], v5, s[2:3] offset:40
	global_load_b64 v[13:14], v5, s[2:3]
	v_dual_mov_b32 v8, v11 :: v_dual_mov_b32 v9, v12
	s_wait_loadcnt 0x1
	s_delay_alu instid0(VALU_DEP_1) | instskip(NEXT) | instid1(VALU_DEP_2)
	v_and_b32_e32 v6, v6, v8
	v_and_b32_e32 v7, v7, v9
	s_wait_loadcnt 0x0
	s_delay_alu instid0(VALU_DEP_2) | instskip(NEXT) | instid1(VALU_DEP_1)
	v_mad_co_u64_u32 v[10:11], null, v6, 24, v[13:14]
	v_mov_b32_e32 v6, v11
	s_delay_alu instid0(VALU_DEP_1) | instskip(NEXT) | instid1(VALU_DEP_1)
	v_mad_co_u64_u32 v[6:7], null, v7, 24, v[6:7]
	v_mov_b32_e32 v11, v6
	global_load_b64 v[6:7], v[10:11], off scope:SCOPE_SYS
	s_wait_loadcnt 0x0
	global_atomic_cmpswap_b64 v[11:12], v5, v[6:9], s[2:3] offset:24 th:TH_ATOMIC_RETURN scope:SCOPE_SYS
	s_wait_loadcnt 0x0
	global_inv scope:SCOPE_SYS
	v_cmp_eq_u64_e32 vcc_lo, v[11:12], v[8:9]
	s_wait_alu 0xfffe
	s_or_b32 s5, vcc_lo, s5
	s_wait_alu 0xfffe
	s_and_not1_b32 exec_lo, exec_lo, s5
	s_cbranch_execnz .LBB2_3
; %bb.4:
	s_or_b32 exec_lo, exec_lo, s5
.LBB2_5:
	s_wait_alu 0xfffe
	s_or_b32 exec_lo, exec_lo, s4
.LBB2_6:
	s_wait_alu 0xfffe
	s_or_b32 exec_lo, exec_lo, s1
	v_readfirstlane_b32 s4, v11
	v_mov_b32_e32 v10, 0
	v_readfirstlane_b32 s5, v12
	s_mov_b32 s1, exec_lo
	s_wait_kmcnt 0x0
	s_clause 0x1
	global_load_b64 v[13:14], v10, s[2:3] offset:40
	global_load_b128 v[5:8], v10, s[2:3]
	s_wait_loadcnt 0x1
	s_wait_alu 0xf1ff
	v_and_b32_e32 v16, s5, v14
	v_and_b32_e32 v15, s4, v13
	s_delay_alu instid0(VALU_DEP_2) | instskip(NEXT) | instid1(VALU_DEP_2)
	v_mul_lo_u32 v9, 24, v16
	v_mul_lo_u32 v11, 0, v15
	v_mul_hi_u32 v12, 24, v15
	v_mul_lo_u32 v13, 24, v15
	s_delay_alu instid0(VALU_DEP_3) | instskip(SKIP_1) | instid1(VALU_DEP_2)
	v_add_nc_u32_e32 v9, v9, v11
	s_wait_loadcnt 0x0
	v_add_co_u32 v13, vcc_lo, v5, v13
	s_delay_alu instid0(VALU_DEP_2) | instskip(SKIP_1) | instid1(VALU_DEP_1)
	v_add_nc_u32_e32 v9, v9, v12
	s_wait_alu 0xfffd
	v_add_co_ci_u32_e64 v14, null, v6, v9, vcc_lo
	s_and_saveexec_b32 s6, s0
	s_cbranch_execz .LBB2_8
; %bb.7:
	s_wait_alu 0xfffe
	v_dual_mov_b32 v9, s1 :: v_dual_mov_b32 v12, 1
	v_mov_b32_e32 v11, 2
	global_store_b128 v[13:14], v[9:12], off offset:8
.LBB2_8:
	s_wait_alu 0xfffe
	s_or_b32 exec_lo, exec_lo, s6
	v_lshlrev_b64_e32 v[9:10], 12, v[15:16]
	v_or_b32_e32 v11, 2, v0
	v_cmp_eq_u32_e32 vcc_lo, 0, v4
	s_mov_b32 s8, 0
	s_wait_alu 0xfffe
	s_mov_b32 s9, s8
	s_mov_b32 s10, s8
	s_wait_alu 0xfffd
	v_dual_cndmask_b32 v0, v11, v0 :: v_dual_lshlrev_b32 v11, 6, v17
	v_add_co_u32 v4, vcc_lo, v7, v9
	s_wait_alu 0xfffd
	v_add_co_ci_u32_e64 v7, null, v8, v10, vcc_lo
	s_mov_b32 s11, s8
	v_and_or_b32 v0, 0xffffff1f, v0, 32
	v_readfirstlane_b32 s6, v4
	v_readfirstlane_b32 s7, v7
	s_wait_alu 0xfffe
	v_dual_mov_b32 v7, s8 :: v_dual_mov_b32 v8, s9
	v_dual_mov_b32 v9, s10 :: v_dual_mov_b32 v10, s11
	s_clause 0x3
	global_store_b128 v11, v[0:3], s[6:7]
	global_store_b128 v11, v[7:10], s[6:7] offset:16
	global_store_b128 v11, v[7:10], s[6:7] offset:32
	;; [unrolled: 1-line block ×3, first 2 shown]
	s_and_saveexec_b32 s1, s0
	s_cbranch_execz .LBB2_16
; %bb.9:
	v_mov_b32_e32 v7, 0
	v_mov_b32_e32 v9, s5
	s_mov_b32 s6, exec_lo
	s_clause 0x1
	global_load_b64 v[10:11], v7, s[2:3] offset:32 scope:SCOPE_SYS
	global_load_b64 v[0:1], v7, s[2:3] offset:40
	s_wait_loadcnt 0x0
	v_dual_mov_b32 v8, s4 :: v_dual_and_b32 v1, s5, v1
	v_and_b32_e32 v0, s4, v0
	s_delay_alu instid0(VALU_DEP_2) | instskip(NEXT) | instid1(VALU_DEP_2)
	v_mul_lo_u32 v1, 24, v1
	v_mul_lo_u32 v2, 0, v0
	v_mul_hi_u32 v3, 24, v0
	v_mul_lo_u32 v0, 24, v0
	s_delay_alu instid0(VALU_DEP_3) | instskip(NEXT) | instid1(VALU_DEP_2)
	v_add_nc_u32_e32 v1, v1, v2
	v_add_co_u32 v4, vcc_lo, v5, v0
	s_delay_alu instid0(VALU_DEP_2) | instskip(SKIP_1) | instid1(VALU_DEP_1)
	v_add_nc_u32_e32 v1, v1, v3
	s_wait_alu 0xfffd
	v_add_co_ci_u32_e64 v5, null, v6, v1, vcc_lo
	global_store_b64 v[4:5], v[10:11], off
	global_wb scope:SCOPE_SYS
	s_wait_storecnt 0x0
	global_atomic_cmpswap_b64 v[2:3], v7, v[8:11], s[2:3] offset:32 th:TH_ATOMIC_RETURN scope:SCOPE_SYS
	s_wait_loadcnt 0x0
	v_cmpx_ne_u64_e64 v[2:3], v[10:11]
	s_cbranch_execz .LBB2_12
; %bb.10:
	s_mov_b32 s7, 0
.LBB2_11:                               ; =>This Inner Loop Header: Depth=1
	v_dual_mov_b32 v0, s4 :: v_dual_mov_b32 v1, s5
	s_sleep 1
	global_store_b64 v[4:5], v[2:3], off
	global_wb scope:SCOPE_SYS
	s_wait_storecnt 0x0
	global_atomic_cmpswap_b64 v[0:1], v7, v[0:3], s[2:3] offset:32 th:TH_ATOMIC_RETURN scope:SCOPE_SYS
	s_wait_loadcnt 0x0
	v_cmp_eq_u64_e32 vcc_lo, v[0:1], v[2:3]
	v_dual_mov_b32 v3, v1 :: v_dual_mov_b32 v2, v0
	s_wait_alu 0xfffe
	s_or_b32 s7, vcc_lo, s7
	s_wait_alu 0xfffe
	s_and_not1_b32 exec_lo, exec_lo, s7
	s_cbranch_execnz .LBB2_11
.LBB2_12:
	s_wait_alu 0xfffe
	s_or_b32 exec_lo, exec_lo, s6
	v_mov_b32_e32 v3, 0
	s_mov_b32 s7, exec_lo
	s_mov_b32 s6, exec_lo
	s_wait_alu 0xfffe
	v_mbcnt_lo_u32_b32 v2, s7, 0
	global_load_b64 v[0:1], v3, s[2:3] offset:16
	v_cmpx_eq_u32_e32 0, v2
	s_cbranch_execz .LBB2_14
; %bb.13:
	s_bcnt1_i32_b32 s7, s7
	s_wait_alu 0xfffe
	v_mov_b32_e32 v2, s7
	global_wb scope:SCOPE_SYS
	s_wait_loadcnt 0x0
	s_wait_storecnt 0x0
	global_atomic_add_u64 v[0:1], v[2:3], off offset:8 scope:SCOPE_SYS
.LBB2_14:
	s_or_b32 exec_lo, exec_lo, s6
	s_wait_loadcnt 0x0
	global_load_b64 v[2:3], v[0:1], off offset:16
	s_wait_loadcnt 0x0
	v_cmp_eq_u64_e32 vcc_lo, 0, v[2:3]
	s_cbranch_vccnz .LBB2_16
; %bb.15:
	global_load_b32 v0, v[0:1], off offset:24
	v_mov_b32_e32 v1, 0
	s_wait_loadcnt 0x0
	v_readfirstlane_b32 s6, v0
	global_wb scope:SCOPE_SYS
	s_wait_storecnt 0x0
	global_store_b64 v[2:3], v[0:1], off scope:SCOPE_SYS
	s_and_b32 m0, s6, 0xffffff
	s_sendmsg sendmsg(MSG_INTERRUPT)
.LBB2_16:
	s_wait_alu 0xfffe
	s_or_b32 exec_lo, exec_lo, s1
	s_branch .LBB2_20
.LBB2_17:                               ;   in Loop: Header=BB2_20 Depth=1
	s_wait_alu 0xfffe
	s_or_b32 exec_lo, exec_lo, s1
	s_delay_alu instid0(VALU_DEP_1)
	v_readfirstlane_b32 s1, v0
	s_cmp_eq_u32 s1, 0
	s_cbranch_scc1 .LBB2_19
; %bb.18:                               ;   in Loop: Header=BB2_20 Depth=1
	s_sleep 1
	s_cbranch_execnz .LBB2_20
	s_branch .LBB2_22
.LBB2_19:
	s_branch .LBB2_22
.LBB2_20:                               ; =>This Inner Loop Header: Depth=1
	v_mov_b32_e32 v0, 1
	s_and_saveexec_b32 s1, s0
	s_cbranch_execz .LBB2_17
; %bb.21:                               ;   in Loop: Header=BB2_20 Depth=1
	global_load_b32 v0, v[13:14], off offset:20 scope:SCOPE_SYS
	s_wait_loadcnt 0x0
	global_inv scope:SCOPE_SYS
	v_and_b32_e32 v0, 1, v0
	s_branch .LBB2_17
.LBB2_22:
	s_and_saveexec_b32 s6, s0
	s_cbranch_execz .LBB2_26
; %bb.23:
	v_mov_b32_e32 v6, 0
	s_clause 0x2
	global_load_b64 v[0:1], v6, s[2:3] offset:40
	global_load_b64 v[9:10], v6, s[2:3] offset:24 scope:SCOPE_SYS
	global_load_b64 v[2:3], v6, s[2:3]
	s_wait_loadcnt 0x2
	v_readfirstlane_b32 s8, v0
	v_readfirstlane_b32 s9, v1
	s_add_nc_u64 s[0:1], s[8:9], 1
	s_wait_alu 0xfffe
	s_add_nc_u64 s[4:5], s[0:1], s[4:5]
	s_wait_alu 0xfffe
	s_cmp_eq_u64 s[4:5], 0
	s_cselect_b32 s1, s1, s5
	s_cselect_b32 s0, s0, s4
	s_wait_alu 0xfffe
	v_mov_b32_e32 v8, s1
	s_and_b64 s[4:5], s[0:1], s[8:9]
	v_mov_b32_e32 v7, s0
	s_wait_alu 0xfffe
	s_mul_u64 s[4:5], s[4:5], 24
	s_wait_loadcnt 0x0
	s_wait_alu 0xfffe
	v_add_co_u32 v4, vcc_lo, v2, s4
	s_wait_alu 0xfffd
	v_add_co_ci_u32_e64 v5, null, s5, v3, vcc_lo
	global_store_b64 v[4:5], v[9:10], off
	global_wb scope:SCOPE_SYS
	s_wait_storecnt 0x0
	global_atomic_cmpswap_b64 v[2:3], v6, v[7:10], s[2:3] offset:24 th:TH_ATOMIC_RETURN scope:SCOPE_SYS
	s_wait_loadcnt 0x0
	v_cmp_ne_u64_e32 vcc_lo, v[2:3], v[9:10]
	s_and_b32 exec_lo, exec_lo, vcc_lo
	s_cbranch_execz .LBB2_26
; %bb.24:
	s_mov_b32 s4, 0
.LBB2_25:                               ; =>This Inner Loop Header: Depth=1
	v_dual_mov_b32 v0, s0 :: v_dual_mov_b32 v1, s1
	s_sleep 1
	global_store_b64 v[4:5], v[2:3], off
	global_wb scope:SCOPE_SYS
	s_wait_storecnt 0x0
	global_atomic_cmpswap_b64 v[0:1], v6, v[0:3], s[2:3] offset:24 th:TH_ATOMIC_RETURN scope:SCOPE_SYS
	s_wait_loadcnt 0x0
	v_cmp_eq_u64_e32 vcc_lo, v[0:1], v[2:3]
	v_dual_mov_b32 v3, v1 :: v_dual_mov_b32 v2, v0
	s_wait_alu 0xfffe
	s_or_b32 s4, vcc_lo, s4
	s_wait_alu 0xfffe
	s_and_not1_b32 exec_lo, exec_lo, s4
	s_cbranch_execnz .LBB2_25
.LBB2_26:
	s_wait_alu 0xfffe
	s_or_b32 exec_lo, exec_lo, s6
	s_wait_loadcnt 0x0
	s_wait_kmcnt 0x0
	s_setpc_b64 s[30:31]
.Lfunc_end2:
	.size	__ockl_printf_append_args, .Lfunc_end2-__ockl_printf_append_args
                                        ; -- End function
	.set .L__ockl_printf_append_args.num_vgpr, 18
	.set .L__ockl_printf_append_args.num_agpr, 0
	.set .L__ockl_printf_append_args.numbered_sgpr, 32
	.set .L__ockl_printf_append_args.num_named_barrier, 0
	.set .L__ockl_printf_append_args.private_seg_size, 0
	.set .L__ockl_printf_append_args.uses_vcc, 1
	.set .L__ockl_printf_append_args.uses_flat_scratch, 0
	.set .L__ockl_printf_append_args.has_dyn_sized_stack, 0
	.set .L__ockl_printf_append_args.has_recursion, 0
	.set .L__ockl_printf_append_args.has_indirect_call, 0
	.section	.AMDGPU.csdata,"",@progbits
; Function info:
; codeLenInByte = 1696
; TotalNumSgprs: 34
; NumVgprs: 18
; ScratchSize: 0
; MemoryBound: 0
	.text
	.p2align	2                               ; -- Begin function _ZL14no_device_codePKciS0_iS0_
	.type	_ZL14no_device_codePKciS0_iS0_,@function
_ZL14no_device_codePKciS0_iS0_:         ; @_ZL14no_device_codePKciS0_iS0_
; %bb.0:
	s_wait_loadcnt_dscnt 0x0
	s_wait_expcnt 0x0
	s_wait_samplecnt 0x0
	s_wait_bvhcnt 0x0
	s_wait_kmcnt 0x0
	s_mov_b32 s20, s33
	s_mov_b32 s33, s32
	s_xor_saveexec_b32 s0, -1
	scratch_store_b32 off, v39, s33         ; 4-byte Folded Spill
	s_wait_alu 0xfffe
	s_mov_b32 exec_lo, s0
	v_writelane_b32 v39, s30, 0
	s_add_co_i32 s32, s32, 16
	v_writelane_b32 v39, s31, 1
	s_load_b64 s[2:3], s[8:9], 0x50
	v_mbcnt_lo_u32_b32 v32, -1, 0
	v_mov_b32_e32 v7, 0
	v_mov_b32_e32 v8, 0
	s_delay_alu instid0(VALU_DEP_3) | instskip(SKIP_1) | instid1(VALU_DEP_1)
	v_readfirstlane_b32 s0, v32
	s_wait_alu 0xf1ff
	v_cmp_eq_u32_e64 s0, s0, v32
	s_and_saveexec_b32 s1, s0
	s_cbranch_execz .LBB3_6
; %bb.1:
	v_mov_b32_e32 v1, 0
	s_mov_b32 s4, exec_lo
	s_wait_kmcnt 0x0
	global_load_b64 v[4:5], v1, s[2:3] offset:24 scope:SCOPE_SYS
	s_wait_loadcnt 0x0
	global_inv scope:SCOPE_SYS
	s_clause 0x1
	global_load_b64 v[2:3], v1, s[2:3] offset:40
	global_load_b64 v[6:7], v1, s[2:3]
	s_wait_loadcnt 0x1
	v_and_b32_e32 v3, v3, v5
	v_and_b32_e32 v2, v2, v4
	s_delay_alu instid0(VALU_DEP_2) | instskip(NEXT) | instid1(VALU_DEP_2)
	v_mul_lo_u32 v3, 24, v3
	v_mul_lo_u32 v8, 0, v2
	v_mul_hi_u32 v9, 24, v2
	v_mul_lo_u32 v2, 24, v2
	s_delay_alu instid0(VALU_DEP_3) | instskip(SKIP_1) | instid1(VALU_DEP_2)
	v_add_nc_u32_e32 v3, v3, v8
	s_wait_loadcnt 0x0
	v_add_co_u32 v2, vcc_lo, v6, v2
	s_delay_alu instid0(VALU_DEP_2) | instskip(SKIP_1) | instid1(VALU_DEP_1)
	v_add_nc_u32_e32 v3, v3, v9
	s_wait_alu 0xfffd
	v_add_co_ci_u32_e64 v3, null, v7, v3, vcc_lo
	global_load_b64 v[2:3], v[2:3], off scope:SCOPE_SYS
	s_wait_loadcnt 0x0
	global_atomic_cmpswap_b64 v[7:8], v1, v[2:5], s[2:3] offset:24 th:TH_ATOMIC_RETURN scope:SCOPE_SYS
	s_wait_loadcnt 0x0
	global_inv scope:SCOPE_SYS
	v_cmpx_ne_u64_e64 v[7:8], v[4:5]
	s_cbranch_execz .LBB3_5
; %bb.2:
	s_mov_b32 s5, 0
.LBB3_3:                                ; =>This Inner Loop Header: Depth=1
	s_sleep 1
	s_clause 0x1
	global_load_b64 v[2:3], v1, s[2:3] offset:40
	global_load_b64 v[9:10], v1, s[2:3]
	v_dual_mov_b32 v4, v7 :: v_dual_mov_b32 v5, v8
	s_wait_loadcnt 0x1
	s_delay_alu instid0(VALU_DEP_1) | instskip(NEXT) | instid1(VALU_DEP_2)
	v_and_b32_e32 v2, v2, v4
	v_and_b32_e32 v3, v3, v5
	s_wait_loadcnt 0x0
	s_delay_alu instid0(VALU_DEP_2) | instskip(NEXT) | instid1(VALU_DEP_1)
	v_mad_co_u64_u32 v[6:7], null, v2, 24, v[9:10]
	v_mov_b32_e32 v2, v7
	s_delay_alu instid0(VALU_DEP_1) | instskip(NEXT) | instid1(VALU_DEP_1)
	v_mad_co_u64_u32 v[2:3], null, v3, 24, v[2:3]
	v_mov_b32_e32 v7, v2
	global_load_b64 v[2:3], v[6:7], off scope:SCOPE_SYS
	s_wait_loadcnt 0x0
	global_atomic_cmpswap_b64 v[7:8], v1, v[2:5], s[2:3] offset:24 th:TH_ATOMIC_RETURN scope:SCOPE_SYS
	s_wait_loadcnt 0x0
	global_inv scope:SCOPE_SYS
	v_cmp_eq_u64_e32 vcc_lo, v[7:8], v[4:5]
	s_wait_alu 0xfffe
	s_or_b32 s5, vcc_lo, s5
	s_wait_alu 0xfffe
	s_and_not1_b32 exec_lo, exec_lo, s5
	s_cbranch_execnz .LBB3_3
; %bb.4:
	s_or_b32 exec_lo, exec_lo, s5
.LBB3_5:
	s_wait_alu 0xfffe
	s_or_b32 exec_lo, exec_lo, s4
.LBB3_6:
	s_wait_alu 0xfffe
	s_or_b32 exec_lo, exec_lo, s1
	v_readfirstlane_b32 s4, v7
	v_mov_b32_e32 v6, 0
	v_readfirstlane_b32 s5, v8
	s_mov_b32 s1, exec_lo
	s_wait_kmcnt 0x0
	s_clause 0x1
	global_load_b64 v[9:10], v6, s[2:3] offset:40
	global_load_b128 v[1:4], v6, s[2:3]
	s_wait_loadcnt 0x1
	s_wait_alu 0xf1ff
	v_and_b32_e32 v12, s5, v10
	v_and_b32_e32 v11, s4, v9
	s_delay_alu instid0(VALU_DEP_2) | instskip(NEXT) | instid1(VALU_DEP_2)
	v_mul_lo_u32 v5, 24, v12
	v_mul_lo_u32 v7, 0, v11
	v_mul_hi_u32 v8, 24, v11
	v_mul_lo_u32 v9, 24, v11
	s_delay_alu instid0(VALU_DEP_3) | instskip(SKIP_1) | instid1(VALU_DEP_2)
	v_add_nc_u32_e32 v5, v5, v7
	s_wait_loadcnt 0x0
	v_add_co_u32 v9, vcc_lo, v1, v9
	s_delay_alu instid0(VALU_DEP_2) | instskip(SKIP_1) | instid1(VALU_DEP_1)
	v_add_nc_u32_e32 v5, v5, v8
	s_wait_alu 0xfffd
	v_add_co_ci_u32_e64 v10, null, v2, v5, vcc_lo
	s_and_saveexec_b32 s6, s0
	s_cbranch_execz .LBB3_8
; %bb.7:
	s_wait_alu 0xfffe
	v_dual_mov_b32 v5, s1 :: v_dual_mov_b32 v8, 1
	v_mov_b32_e32 v7, 2
	global_store_b128 v[9:10], v[5:8], off offset:8
.LBB3_8:
	s_wait_alu 0xfffe
	s_or_b32 exec_lo, exec_lo, s6
	v_lshlrev_b64_e32 v[11:12], 12, v[11:12]
	v_dual_mov_b32 v8, v6 :: v_dual_lshlrev_b32 v31, 6, v32
	s_mov_b32 s12, 0
	s_wait_alu 0xfffe
	s_mov_b32 s15, s12
	s_delay_alu instid0(VALU_DEP_2)
	v_add_co_u32 v3, vcc_lo, v3, v11
	s_wait_alu 0xfffd
	v_add_co_ci_u32_e64 v4, null, v4, v12, vcc_lo
	s_mov_b32 s13, s12
	v_add_co_u32 v11, vcc_lo, v3, v31
	s_mov_b32 s14, s12
	s_wait_alu 0xfffe
	v_dual_mov_b32 v5, 33 :: v_dual_mov_b32 v16, s15
	v_dual_mov_b32 v7, v6 :: v_dual_mov_b32 v14, s13
	v_readfirstlane_b32 s6, v3
	v_readfirstlane_b32 s7, v4
	s_wait_alu 0xfffd
	v_add_co_ci_u32_e64 v12, null, 0, v4, vcc_lo
	v_mov_b32_e32 v15, s14
	v_mov_b32_e32 v13, s12
	s_clause 0x3
	global_store_b128 v31, v[5:8], s[6:7]
	global_store_b128 v31, v[13:16], s[6:7] offset:16
	global_store_b128 v31, v[13:16], s[6:7] offset:32
	;; [unrolled: 1-line block ×3, first 2 shown]
	s_and_saveexec_b32 s1, s0
	s_cbranch_execz .LBB3_16
; %bb.9:
	v_mov_b32_e32 v7, 0
	s_mov_b32 s6, exec_lo
	s_clause 0x1
	global_load_b64 v[15:16], v7, s[2:3] offset:32 scope:SCOPE_SYS
	global_load_b64 v[3:4], v7, s[2:3] offset:40
	v_dual_mov_b32 v14, s5 :: v_dual_mov_b32 v13, s4
	s_wait_loadcnt 0x0
	v_and_b32_e32 v4, s5, v4
	v_and_b32_e32 v3, s4, v3
	s_delay_alu instid0(VALU_DEP_2) | instskip(NEXT) | instid1(VALU_DEP_2)
	v_mul_lo_u32 v4, 24, v4
	v_mul_lo_u32 v5, 0, v3
	v_mul_hi_u32 v6, 24, v3
	v_mul_lo_u32 v3, 24, v3
	s_delay_alu instid0(VALU_DEP_3) | instskip(NEXT) | instid1(VALU_DEP_2)
	v_add_nc_u32_e32 v4, v4, v5
	v_add_co_u32 v5, vcc_lo, v1, v3
	s_delay_alu instid0(VALU_DEP_2) | instskip(SKIP_1) | instid1(VALU_DEP_1)
	v_add_nc_u32_e32 v4, v4, v6
	s_wait_alu 0xfffd
	v_add_co_ci_u32_e64 v6, null, v2, v4, vcc_lo
	global_store_b64 v[5:6], v[15:16], off
	global_wb scope:SCOPE_SYS
	s_wait_storecnt 0x0
	global_atomic_cmpswap_b64 v[3:4], v7, v[13:16], s[2:3] offset:32 th:TH_ATOMIC_RETURN scope:SCOPE_SYS
	s_wait_loadcnt 0x0
	v_cmpx_ne_u64_e64 v[3:4], v[15:16]
	s_cbranch_execz .LBB3_12
; %bb.10:
	s_mov_b32 s7, 0
.LBB3_11:                               ; =>This Inner Loop Header: Depth=1
	v_dual_mov_b32 v1, s4 :: v_dual_mov_b32 v2, s5
	s_sleep 1
	global_store_b64 v[5:6], v[3:4], off
	global_wb scope:SCOPE_SYS
	s_wait_storecnt 0x0
	global_atomic_cmpswap_b64 v[1:2], v7, v[1:4], s[2:3] offset:32 th:TH_ATOMIC_RETURN scope:SCOPE_SYS
	s_wait_loadcnt 0x0
	v_cmp_eq_u64_e32 vcc_lo, v[1:2], v[3:4]
	v_dual_mov_b32 v4, v2 :: v_dual_mov_b32 v3, v1
	s_wait_alu 0xfffe
	s_or_b32 s7, vcc_lo, s7
	s_wait_alu 0xfffe
	s_and_not1_b32 exec_lo, exec_lo, s7
	s_cbranch_execnz .LBB3_11
.LBB3_12:
	s_wait_alu 0xfffe
	s_or_b32 exec_lo, exec_lo, s6
	v_mov_b32_e32 v4, 0
	s_mov_b32 s7, exec_lo
	s_mov_b32 s6, exec_lo
	s_wait_alu 0xfffe
	v_mbcnt_lo_u32_b32 v3, s7, 0
	global_load_b64 v[1:2], v4, s[2:3] offset:16
	v_cmpx_eq_u32_e32 0, v3
	s_cbranch_execz .LBB3_14
; %bb.13:
	s_bcnt1_i32_b32 s7, s7
	s_wait_alu 0xfffe
	v_mov_b32_e32 v3, s7
	global_wb scope:SCOPE_SYS
	s_wait_loadcnt 0x0
	s_wait_storecnt 0x0
	global_atomic_add_u64 v[1:2], v[3:4], off offset:8 scope:SCOPE_SYS
.LBB3_14:
	s_or_b32 exec_lo, exec_lo, s6
	s_wait_loadcnt 0x0
	global_load_b64 v[3:4], v[1:2], off offset:16
	s_wait_loadcnt 0x0
	v_cmp_eq_u64_e32 vcc_lo, 0, v[3:4]
	s_cbranch_vccnz .LBB3_16
; %bb.15:
	global_load_b32 v1, v[1:2], off offset:24
	v_mov_b32_e32 v2, 0
	s_wait_loadcnt 0x0
	v_readfirstlane_b32 s6, v1
	global_wb scope:SCOPE_SYS
	s_wait_storecnt 0x0
	global_store_b64 v[3:4], v[1:2], off scope:SCOPE_SYS
	s_and_b32 m0, s6, 0xffffff
	s_sendmsg sendmsg(MSG_INTERRUPT)
.LBB3_16:
	s_wait_alu 0xfffe
	s_or_b32 exec_lo, exec_lo, s1
	s_branch .LBB3_20
.LBB3_17:                               ;   in Loop: Header=BB3_20 Depth=1
	s_wait_alu 0xfffe
	s_or_b32 exec_lo, exec_lo, s1
	s_delay_alu instid0(VALU_DEP_1)
	v_readfirstlane_b32 s1, v1
	s_cmp_eq_u32 s1, 0
	s_cbranch_scc1 .LBB3_19
; %bb.18:                               ;   in Loop: Header=BB3_20 Depth=1
	s_sleep 1
	s_cbranch_execnz .LBB3_20
	s_branch .LBB3_22
.LBB3_19:
	s_branch .LBB3_22
.LBB3_20:                               ; =>This Inner Loop Header: Depth=1
	v_mov_b32_e32 v1, 1
	s_and_saveexec_b32 s1, s0
	s_cbranch_execz .LBB3_17
; %bb.21:                               ;   in Loop: Header=BB3_20 Depth=1
	global_load_b32 v1, v[9:10], off offset:20 scope:SCOPE_SYS
	s_wait_loadcnt 0x0
	global_inv scope:SCOPE_SYS
	v_and_b32_e32 v1, 1, v1
	s_branch .LBB3_17
.LBB3_22:
	global_load_b64 v[5:6], v[11:12], off
	s_and_saveexec_b32 s6, s0
	s_cbranch_execz .LBB3_26
; %bb.23:
	v_mov_b32_e32 v9, 0
	s_clause 0x2
	global_load_b64 v[1:2], v9, s[2:3] offset:40
	global_load_b64 v[12:13], v9, s[2:3] offset:24 scope:SCOPE_SYS
	global_load_b64 v[3:4], v9, s[2:3]
	s_wait_loadcnt 0x2
	v_readfirstlane_b32 s10, v1
	v_readfirstlane_b32 s11, v2
	s_add_nc_u64 s[0:1], s[10:11], 1
	s_wait_alu 0xfffe
	s_add_nc_u64 s[4:5], s[0:1], s[4:5]
	s_wait_alu 0xfffe
	s_cmp_eq_u64 s[4:5], 0
	s_cselect_b32 s1, s1, s5
	s_cselect_b32 s0, s0, s4
	s_wait_alu 0xfffe
	v_mov_b32_e32 v11, s1
	s_and_b64 s[4:5], s[0:1], s[10:11]
	v_mov_b32_e32 v10, s0
	s_wait_alu 0xfffe
	s_mul_u64 s[4:5], s[4:5], 24
	s_wait_loadcnt 0x0
	s_wait_alu 0xfffe
	v_add_co_u32 v7, vcc_lo, v3, s4
	s_wait_alu 0xfffd
	v_add_co_ci_u32_e64 v8, null, s5, v4, vcc_lo
	global_store_b64 v[7:8], v[12:13], off
	global_wb scope:SCOPE_SYS
	s_wait_storecnt 0x0
	global_atomic_cmpswap_b64 v[3:4], v9, v[10:13], s[2:3] offset:24 th:TH_ATOMIC_RETURN scope:SCOPE_SYS
	s_wait_loadcnt 0x0
	v_cmp_ne_u64_e32 vcc_lo, v[3:4], v[12:13]
	s_and_b32 exec_lo, exec_lo, vcc_lo
	s_cbranch_execz .LBB3_26
; %bb.24:
	s_mov_b32 s4, 0
.LBB3_25:                               ; =>This Inner Loop Header: Depth=1
	v_dual_mov_b32 v1, s0 :: v_dual_mov_b32 v2, s1
	s_sleep 1
	global_store_b64 v[7:8], v[3:4], off
	global_wb scope:SCOPE_SYS
	s_wait_storecnt 0x0
	global_atomic_cmpswap_b64 v[1:2], v9, v[1:4], s[2:3] offset:24 th:TH_ATOMIC_RETURN scope:SCOPE_SYS
	s_wait_loadcnt 0x0
	v_cmp_eq_u64_e32 vcc_lo, v[1:2], v[3:4]
	v_dual_mov_b32 v4, v2 :: v_dual_mov_b32 v3, v1
	s_wait_alu 0xfffe
	s_or_b32 s4, vcc_lo, s4
	s_wait_alu 0xfffe
	s_and_not1_b32 exec_lo, exec_lo, s4
	s_cbranch_execnz .LBB3_25
.LBB3_26:
	s_wait_alu 0xfffe
	s_or_b32 exec_lo, exec_lo, s6
	s_getpc_b64 s[4:5]
	s_wait_alu 0xfffe
	s_sext_i32_i16 s5, s5
	s_add_co_u32 s4, s4, .str.5@rel32@lo+12
	s_wait_alu 0xfffe
	s_add_co_ci_u32 s5, s5, .str.5@rel32@hi+24
	s_wait_alu 0xfffe
	s_cmp_lg_u64 s[4:5], 0
	s_cbranch_scc0 .LBB3_104
; %bb.27:
	s_wait_loadcnt 0x0
	v_dual_mov_b32 v8, 0 :: v_dual_and_b32 v33, 2, v5
	v_dual_mov_b32 v2, v6 :: v_dual_and_b32 v1, -3, v5
	v_dual_mov_b32 v9, 2 :: v_dual_mov_b32 v10, 1
	s_mov_b64 s[6:7], 0x4d
	s_branch .LBB3_29
.LBB3_28:                               ;   in Loop: Header=BB3_29 Depth=1
	s_wait_alu 0xfffe
	s_or_b32 exec_lo, exec_lo, s14
	s_sub_nc_u64 s[6:7], s[6:7], s[10:11]
	s_add_nc_u64 s[4:5], s[4:5], s[10:11]
	s_wait_alu 0xfffe
	s_cmp_lg_u64 s[6:7], 0
	s_cbranch_scc0 .LBB3_105
.LBB3_29:                               ; =>This Loop Header: Depth=1
                                        ;     Child Loop BB3_32 Depth 2
                                        ;     Child Loop BB3_39 Depth 2
                                        ;     Child Loop BB3_46 Depth 2
                                        ;     Child Loop BB3_53 Depth 2
                                        ;     Child Loop BB3_60 Depth 2
                                        ;     Child Loop BB3_67 Depth 2
                                        ;     Child Loop BB3_74 Depth 2
                                        ;     Child Loop BB3_81 Depth 2
                                        ;     Child Loop BB3_89 Depth 2
                                        ;     Child Loop BB3_98 Depth 2
                                        ;     Child Loop BB3_103 Depth 2
	s_wait_alu 0xfffe
	v_cmp_lt_u64_e64 s0, s[6:7], 56
	v_cmp_gt_u64_e64 s1, s[6:7], 7
	s_and_b32 s0, s0, exec_lo
	s_cselect_b32 s11, s7, 0
	s_cselect_b32 s10, s6, 56
	s_and_b32 vcc_lo, exec_lo, s1
	s_wait_alu 0xfffe
	s_cbranch_vccnz .LBB3_34
; %bb.30:                               ;   in Loop: Header=BB3_29 Depth=1
	v_mov_b32_e32 v3, 0
	v_mov_b32_e32 v4, 0
	s_cmp_eq_u64 s[6:7], 0
	s_cbranch_scc1 .LBB3_33
; %bb.31:                               ;   in Loop: Header=BB3_29 Depth=1
	s_mov_b64 s[0:1], 0
	s_mov_b64 s[12:13], 0
.LBB3_32:                               ;   Parent Loop BB3_29 Depth=1
                                        ; =>  This Inner Loop Header: Depth=2
	s_wait_alu 0xfffe
	s_add_nc_u64 s[14:15], s[4:5], s[12:13]
	s_add_nc_u64 s[12:13], s[12:13], 1
	global_load_u8 v7, v8, s[14:15]
	s_wait_alu 0xfffe
	s_cmp_lg_u32 s10, s12
	s_wait_loadcnt 0x0
	v_and_b32_e32 v7, 0xffff, v7
	s_delay_alu instid0(VALU_DEP_1) | instskip(SKIP_1) | instid1(VALU_DEP_1)
	v_lshlrev_b64_e32 v[11:12], s0, v[7:8]
	s_add_nc_u64 s[0:1], s[0:1], 8
	v_or_b32_e32 v3, v11, v3
	s_delay_alu instid0(VALU_DEP_2)
	v_or_b32_e32 v4, v12, v4
	s_cbranch_scc1 .LBB3_32
.LBB3_33:                               ;   in Loop: Header=BB3_29 Depth=1
	s_mov_b64 s[12:13], s[4:5]
	s_mov_b32 s16, 0
	s_cbranch_execz .LBB3_35
	s_branch .LBB3_36
.LBB3_34:                               ;   in Loop: Header=BB3_29 Depth=1
	s_add_nc_u64 s[12:13], s[4:5], 8
	s_mov_b32 s16, 0
.LBB3_35:                               ;   in Loop: Header=BB3_29 Depth=1
	global_load_b64 v[3:4], v8, s[4:5]
	s_add_co_i32 s16, s10, -8
.LBB3_36:                               ;   in Loop: Header=BB3_29 Depth=1
	s_wait_alu 0xfffe
	s_cmp_gt_u32 s16, 7
	s_cbranch_scc1 .LBB3_41
; %bb.37:                               ;   in Loop: Header=BB3_29 Depth=1
	v_mov_b32_e32 v11, 0
	v_mov_b32_e32 v12, 0
	s_cmp_eq_u32 s16, 0
	s_cbranch_scc1 .LBB3_40
; %bb.38:                               ;   in Loop: Header=BB3_29 Depth=1
	s_mov_b64 s[0:1], 0
	s_mov_b64 s[14:15], 0
.LBB3_39:                               ;   Parent Loop BB3_29 Depth=1
                                        ; =>  This Inner Loop Header: Depth=2
	s_wait_alu 0xfffe
	s_add_nc_u64 s[18:19], s[12:13], s[14:15]
	s_add_nc_u64 s[14:15], s[14:15], 1
	global_load_u8 v7, v8, s[18:19]
	s_wait_alu 0xfffe
	s_cmp_lg_u32 s16, s14
	s_wait_loadcnt 0x0
	v_and_b32_e32 v7, 0xffff, v7
	s_delay_alu instid0(VALU_DEP_1) | instskip(SKIP_1) | instid1(VALU_DEP_1)
	v_lshlrev_b64_e32 v[13:14], s0, v[7:8]
	s_add_nc_u64 s[0:1], s[0:1], 8
	v_or_b32_e32 v11, v13, v11
	s_delay_alu instid0(VALU_DEP_2)
	v_or_b32_e32 v12, v14, v12
	s_cbranch_scc1 .LBB3_39
.LBB3_40:                               ;   in Loop: Header=BB3_29 Depth=1
	s_mov_b64 s[0:1], s[12:13]
	s_mov_b32 s17, 0
	s_cbranch_execz .LBB3_42
	s_branch .LBB3_43
.LBB3_41:                               ;   in Loop: Header=BB3_29 Depth=1
	s_add_nc_u64 s[0:1], s[12:13], 8
                                        ; implicit-def: $vgpr11_vgpr12
	s_mov_b32 s17, 0
.LBB3_42:                               ;   in Loop: Header=BB3_29 Depth=1
	global_load_b64 v[11:12], v8, s[12:13]
	s_add_co_i32 s17, s16, -8
.LBB3_43:                               ;   in Loop: Header=BB3_29 Depth=1
	s_wait_alu 0xfffe
	s_cmp_gt_u32 s17, 7
	s_cbranch_scc1 .LBB3_48
; %bb.44:                               ;   in Loop: Header=BB3_29 Depth=1
	v_mov_b32_e32 v13, 0
	v_mov_b32_e32 v14, 0
	s_cmp_eq_u32 s17, 0
	s_cbranch_scc1 .LBB3_47
; %bb.45:                               ;   in Loop: Header=BB3_29 Depth=1
	s_mov_b64 s[12:13], 0
	s_mov_b64 s[14:15], 0
.LBB3_46:                               ;   Parent Loop BB3_29 Depth=1
                                        ; =>  This Inner Loop Header: Depth=2
	s_wait_alu 0xfffe
	s_add_nc_u64 s[18:19], s[0:1], s[14:15]
	s_add_nc_u64 s[14:15], s[14:15], 1
	global_load_u8 v7, v8, s[18:19]
	s_wait_alu 0xfffe
	s_cmp_lg_u32 s17, s14
	s_wait_loadcnt 0x0
	v_and_b32_e32 v7, 0xffff, v7
	s_delay_alu instid0(VALU_DEP_1) | instskip(SKIP_1) | instid1(VALU_DEP_1)
	v_lshlrev_b64_e32 v[15:16], s12, v[7:8]
	s_add_nc_u64 s[12:13], s[12:13], 8
	v_or_b32_e32 v13, v15, v13
	s_delay_alu instid0(VALU_DEP_2)
	v_or_b32_e32 v14, v16, v14
	s_cbranch_scc1 .LBB3_46
.LBB3_47:                               ;   in Loop: Header=BB3_29 Depth=1
	s_mov_b64 s[12:13], s[0:1]
	s_mov_b32 s16, 0
	s_cbranch_execz .LBB3_49
	s_branch .LBB3_50
.LBB3_48:                               ;   in Loop: Header=BB3_29 Depth=1
	s_add_nc_u64 s[12:13], s[0:1], 8
	s_mov_b32 s16, 0
.LBB3_49:                               ;   in Loop: Header=BB3_29 Depth=1
	global_load_b64 v[13:14], v8, s[0:1]
	s_add_co_i32 s16, s17, -8
.LBB3_50:                               ;   in Loop: Header=BB3_29 Depth=1
	s_wait_alu 0xfffe
	s_cmp_gt_u32 s16, 7
	s_cbranch_scc1 .LBB3_55
; %bb.51:                               ;   in Loop: Header=BB3_29 Depth=1
	v_mov_b32_e32 v15, 0
	v_mov_b32_e32 v16, 0
	s_cmp_eq_u32 s16, 0
	s_cbranch_scc1 .LBB3_54
; %bb.52:                               ;   in Loop: Header=BB3_29 Depth=1
	s_mov_b64 s[0:1], 0
	s_mov_b64 s[14:15], 0
.LBB3_53:                               ;   Parent Loop BB3_29 Depth=1
                                        ; =>  This Inner Loop Header: Depth=2
	s_wait_alu 0xfffe
	s_add_nc_u64 s[18:19], s[12:13], s[14:15]
	s_add_nc_u64 s[14:15], s[14:15], 1
	global_load_u8 v7, v8, s[18:19]
	s_wait_alu 0xfffe
	s_cmp_lg_u32 s16, s14
	s_wait_loadcnt 0x0
	v_and_b32_e32 v7, 0xffff, v7
	s_delay_alu instid0(VALU_DEP_1) | instskip(SKIP_1) | instid1(VALU_DEP_1)
	v_lshlrev_b64_e32 v[17:18], s0, v[7:8]
	s_add_nc_u64 s[0:1], s[0:1], 8
	v_or_b32_e32 v15, v17, v15
	s_delay_alu instid0(VALU_DEP_2)
	v_or_b32_e32 v16, v18, v16
	s_cbranch_scc1 .LBB3_53
.LBB3_54:                               ;   in Loop: Header=BB3_29 Depth=1
	s_mov_b64 s[0:1], s[12:13]
	s_mov_b32 s17, 0
	s_cbranch_execz .LBB3_56
	s_branch .LBB3_57
.LBB3_55:                               ;   in Loop: Header=BB3_29 Depth=1
	s_add_nc_u64 s[0:1], s[12:13], 8
                                        ; implicit-def: $vgpr15_vgpr16
	s_mov_b32 s17, 0
.LBB3_56:                               ;   in Loop: Header=BB3_29 Depth=1
	global_load_b64 v[15:16], v8, s[12:13]
	s_add_co_i32 s17, s16, -8
.LBB3_57:                               ;   in Loop: Header=BB3_29 Depth=1
	s_wait_alu 0xfffe
	s_cmp_gt_u32 s17, 7
	s_cbranch_scc1 .LBB3_62
; %bb.58:                               ;   in Loop: Header=BB3_29 Depth=1
	v_mov_b32_e32 v17, 0
	v_mov_b32_e32 v18, 0
	s_cmp_eq_u32 s17, 0
	s_cbranch_scc1 .LBB3_61
; %bb.59:                               ;   in Loop: Header=BB3_29 Depth=1
	s_mov_b64 s[12:13], 0
	s_mov_b64 s[14:15], 0
.LBB3_60:                               ;   Parent Loop BB3_29 Depth=1
                                        ; =>  This Inner Loop Header: Depth=2
	s_wait_alu 0xfffe
	s_add_nc_u64 s[18:19], s[0:1], s[14:15]
	s_add_nc_u64 s[14:15], s[14:15], 1
	global_load_u8 v7, v8, s[18:19]
	s_wait_alu 0xfffe
	s_cmp_lg_u32 s17, s14
	s_wait_loadcnt 0x0
	v_and_b32_e32 v7, 0xffff, v7
	s_delay_alu instid0(VALU_DEP_1) | instskip(SKIP_1) | instid1(VALU_DEP_1)
	v_lshlrev_b64_e32 v[19:20], s12, v[7:8]
	s_add_nc_u64 s[12:13], s[12:13], 8
	v_or_b32_e32 v17, v19, v17
	s_delay_alu instid0(VALU_DEP_2)
	v_or_b32_e32 v18, v20, v18
	s_cbranch_scc1 .LBB3_60
.LBB3_61:                               ;   in Loop: Header=BB3_29 Depth=1
	s_mov_b64 s[12:13], s[0:1]
	s_mov_b32 s16, 0
	s_cbranch_execz .LBB3_63
	s_branch .LBB3_64
.LBB3_62:                               ;   in Loop: Header=BB3_29 Depth=1
	s_add_nc_u64 s[12:13], s[0:1], 8
	s_mov_b32 s16, 0
.LBB3_63:                               ;   in Loop: Header=BB3_29 Depth=1
	global_load_b64 v[17:18], v8, s[0:1]
	s_add_co_i32 s16, s17, -8
.LBB3_64:                               ;   in Loop: Header=BB3_29 Depth=1
	s_wait_alu 0xfffe
	s_cmp_gt_u32 s16, 7
	s_cbranch_scc1 .LBB3_69
; %bb.65:                               ;   in Loop: Header=BB3_29 Depth=1
	v_mov_b32_e32 v19, 0
	v_mov_b32_e32 v20, 0
	s_cmp_eq_u32 s16, 0
	s_cbranch_scc1 .LBB3_68
; %bb.66:                               ;   in Loop: Header=BB3_29 Depth=1
	s_mov_b64 s[0:1], 0
	s_mov_b64 s[14:15], 0
.LBB3_67:                               ;   Parent Loop BB3_29 Depth=1
                                        ; =>  This Inner Loop Header: Depth=2
	s_wait_alu 0xfffe
	s_add_nc_u64 s[18:19], s[12:13], s[14:15]
	s_add_nc_u64 s[14:15], s[14:15], 1
	global_load_u8 v7, v8, s[18:19]
	s_wait_alu 0xfffe
	s_cmp_lg_u32 s16, s14
	s_wait_loadcnt 0x0
	v_and_b32_e32 v7, 0xffff, v7
	s_delay_alu instid0(VALU_DEP_1) | instskip(SKIP_1) | instid1(VALU_DEP_1)
	v_lshlrev_b64_e32 v[21:22], s0, v[7:8]
	s_add_nc_u64 s[0:1], s[0:1], 8
	v_or_b32_e32 v19, v21, v19
	s_delay_alu instid0(VALU_DEP_2)
	v_or_b32_e32 v20, v22, v20
	s_cbranch_scc1 .LBB3_67
.LBB3_68:                               ;   in Loop: Header=BB3_29 Depth=1
	s_mov_b64 s[0:1], s[12:13]
	s_mov_b32 s17, 0
	s_cbranch_execz .LBB3_70
	s_branch .LBB3_71
.LBB3_69:                               ;   in Loop: Header=BB3_29 Depth=1
	s_add_nc_u64 s[0:1], s[12:13], 8
                                        ; implicit-def: $vgpr19_vgpr20
	s_mov_b32 s17, 0
.LBB3_70:                               ;   in Loop: Header=BB3_29 Depth=1
	global_load_b64 v[19:20], v8, s[12:13]
	s_add_co_i32 s17, s16, -8
.LBB3_71:                               ;   in Loop: Header=BB3_29 Depth=1
	s_wait_alu 0xfffe
	s_cmp_gt_u32 s17, 7
	s_cbranch_scc1 .LBB3_76
; %bb.72:                               ;   in Loop: Header=BB3_29 Depth=1
	v_mov_b32_e32 v21, 0
	v_mov_b32_e32 v22, 0
	s_cmp_eq_u32 s17, 0
	s_cbranch_scc1 .LBB3_75
; %bb.73:                               ;   in Loop: Header=BB3_29 Depth=1
	s_mov_b64 s[12:13], 0
	s_mov_b64 s[14:15], s[0:1]
.LBB3_74:                               ;   Parent Loop BB3_29 Depth=1
                                        ; =>  This Inner Loop Header: Depth=2
	global_load_u8 v7, v8, s[14:15]
	s_add_co_i32 s17, s17, -1
	s_wait_alu 0xfffe
	s_add_nc_u64 s[14:15], s[14:15], 1
	s_cmp_lg_u32 s17, 0
	s_wait_loadcnt 0x0
	v_and_b32_e32 v7, 0xffff, v7
	s_delay_alu instid0(VALU_DEP_1) | instskip(SKIP_1) | instid1(VALU_DEP_1)
	v_lshlrev_b64_e32 v[23:24], s12, v[7:8]
	s_add_nc_u64 s[12:13], s[12:13], 8
	v_or_b32_e32 v21, v23, v21
	s_delay_alu instid0(VALU_DEP_2)
	v_or_b32_e32 v22, v24, v22
	s_cbranch_scc1 .LBB3_74
.LBB3_75:                               ;   in Loop: Header=BB3_29 Depth=1
	s_cbranch_execz .LBB3_77
	s_branch .LBB3_78
.LBB3_76:                               ;   in Loop: Header=BB3_29 Depth=1
.LBB3_77:                               ;   in Loop: Header=BB3_29 Depth=1
	global_load_b64 v[21:22], v8, s[0:1]
.LBB3_78:                               ;   in Loop: Header=BB3_29 Depth=1
	v_readfirstlane_b32 s0, v32
	v_mov_b32_e32 v27, 0
	v_mov_b32_e32 v28, 0
	s_wait_alu 0xf1ff
	s_delay_alu instid0(VALU_DEP_3)
	v_cmp_eq_u32_e64 s0, s0, v32
	s_and_saveexec_b32 s1, s0
	s_cbranch_execz .LBB3_84
; %bb.79:                               ;   in Loop: Header=BB3_29 Depth=1
	global_load_b64 v[25:26], v8, s[2:3] offset:24 scope:SCOPE_SYS
	s_wait_loadcnt 0x0
	global_inv scope:SCOPE_SYS
	s_clause 0x1
	global_load_b64 v[23:24], v8, s[2:3] offset:40
	global_load_b64 v[27:28], v8, s[2:3]
	s_mov_b32 s12, exec_lo
	s_wait_loadcnt 0x1
	v_and_b32_e32 v7, v24, v26
	v_and_b32_e32 v23, v23, v25
	s_delay_alu instid0(VALU_DEP_2) | instskip(NEXT) | instid1(VALU_DEP_2)
	v_mul_lo_u32 v7, 24, v7
	v_mul_lo_u32 v24, 0, v23
	v_mul_hi_u32 v29, 24, v23
	v_mul_lo_u32 v23, 24, v23
	s_delay_alu instid0(VALU_DEP_3) | instskip(SKIP_1) | instid1(VALU_DEP_2)
	v_add_nc_u32_e32 v7, v7, v24
	s_wait_loadcnt 0x0
	v_add_co_u32 v23, vcc_lo, v27, v23
	s_delay_alu instid0(VALU_DEP_2) | instskip(SKIP_1) | instid1(VALU_DEP_1)
	v_add_nc_u32_e32 v7, v7, v29
	s_wait_alu 0xfffd
	v_add_co_ci_u32_e64 v24, null, v28, v7, vcc_lo
	global_load_b64 v[23:24], v[23:24], off scope:SCOPE_SYS
	s_wait_loadcnt 0x0
	global_atomic_cmpswap_b64 v[27:28], v8, v[23:26], s[2:3] offset:24 th:TH_ATOMIC_RETURN scope:SCOPE_SYS
	s_wait_loadcnt 0x0
	global_inv scope:SCOPE_SYS
	v_cmpx_ne_u64_e64 v[27:28], v[25:26]
	s_cbranch_execz .LBB3_83
; %bb.80:                               ;   in Loop: Header=BB3_29 Depth=1
	s_mov_b32 s13, 0
.LBB3_81:                               ;   Parent Loop BB3_29 Depth=1
                                        ; =>  This Inner Loop Header: Depth=2
	s_sleep 1
	s_clause 0x1
	global_load_b64 v[23:24], v8, s[2:3] offset:40
	global_load_b64 v[29:30], v8, s[2:3]
	v_dual_mov_b32 v25, v27 :: v_dual_mov_b32 v26, v28
	s_wait_loadcnt 0x1
	s_delay_alu instid0(VALU_DEP_1) | instskip(NEXT) | instid1(VALU_DEP_2)
	v_and_b32_e32 v7, v23, v25
	v_and_b32_e32 v23, v24, v26
	s_wait_loadcnt 0x0
	s_delay_alu instid0(VALU_DEP_2) | instskip(NEXT) | instid1(VALU_DEP_1)
	v_mad_co_u64_u32 v[27:28], null, v7, 24, v[29:30]
	v_mov_b32_e32 v7, v28
	s_delay_alu instid0(VALU_DEP_1) | instskip(NEXT) | instid1(VALU_DEP_1)
	v_mad_co_u64_u32 v[23:24], null, v23, 24, v[7:8]
	v_mov_b32_e32 v28, v23
	global_load_b64 v[23:24], v[27:28], off scope:SCOPE_SYS
	s_wait_loadcnt 0x0
	global_atomic_cmpswap_b64 v[27:28], v8, v[23:26], s[2:3] offset:24 th:TH_ATOMIC_RETURN scope:SCOPE_SYS
	s_wait_loadcnt 0x0
	global_inv scope:SCOPE_SYS
	v_cmp_eq_u64_e32 vcc_lo, v[27:28], v[25:26]
	s_wait_alu 0xfffe
	s_or_b32 s13, vcc_lo, s13
	s_wait_alu 0xfffe
	s_and_not1_b32 exec_lo, exec_lo, s13
	s_cbranch_execnz .LBB3_81
; %bb.82:                               ;   in Loop: Header=BB3_29 Depth=1
	s_or_b32 exec_lo, exec_lo, s13
.LBB3_83:                               ;   in Loop: Header=BB3_29 Depth=1
	s_wait_alu 0xfffe
	s_or_b32 exec_lo, exec_lo, s12
.LBB3_84:                               ;   in Loop: Header=BB3_29 Depth=1
	s_wait_alu 0xfffe
	s_or_b32 exec_lo, exec_lo, s1
	s_clause 0x1
	global_load_b64 v[29:30], v8, s[2:3] offset:40
	global_load_b128 v[23:26], v8, s[2:3]
	v_readfirstlane_b32 s13, v28
	v_readfirstlane_b32 s12, v27
	s_mov_b32 s1, exec_lo
	s_wait_loadcnt 0x1
	s_wait_alu 0xf1ff
	v_and_b32_e32 v30, s13, v30
	v_and_b32_e32 v29, s12, v29
	s_delay_alu instid0(VALU_DEP_2) | instskip(NEXT) | instid1(VALU_DEP_2)
	v_mul_lo_u32 v7, 24, v30
	v_mul_lo_u32 v27, 0, v29
	v_mul_hi_u32 v28, 24, v29
	v_mul_lo_u32 v34, 24, v29
	s_delay_alu instid0(VALU_DEP_3) | instskip(SKIP_1) | instid1(VALU_DEP_2)
	v_add_nc_u32_e32 v7, v7, v27
	s_wait_loadcnt 0x0
	v_add_co_u32 v27, vcc_lo, v23, v34
	s_delay_alu instid0(VALU_DEP_2) | instskip(SKIP_1) | instid1(VALU_DEP_1)
	v_add_nc_u32_e32 v7, v7, v28
	s_wait_alu 0xfffd
	v_add_co_ci_u32_e64 v28, null, v24, v7, vcc_lo
	s_and_saveexec_b32 s14, s0
	s_cbranch_execz .LBB3_86
; %bb.85:                               ;   in Loop: Header=BB3_29 Depth=1
	s_wait_alu 0xfffe
	v_mov_b32_e32 v7, s1
	global_store_b128 v[27:28], v[7:10], off offset:8
.LBB3_86:                               ;   in Loop: Header=BB3_29 Depth=1
	s_wait_alu 0xfffe
	s_or_b32 exec_lo, exec_lo, s14
	v_cmp_lt_u64_e64 vcc_lo, s[6:7], 57
	v_lshlrev_b64_e32 v[29:30], 12, v[29:30]
	v_and_b32_e32 v1, 0xffffff1f, v1
	s_lshl_b32 s1, s10, 2
	s_wait_alu 0xfffe
	s_add_co_i32 s1, s1, 28
	s_wait_alu 0xfffd
	v_cndmask_b32_e32 v7, 0, v33, vcc_lo
	v_add_co_u32 v25, vcc_lo, v25, v29
	s_wait_alu 0xfffd
	v_add_co_ci_u32_e64 v26, null, v26, v30, vcc_lo
	s_delay_alu instid0(VALU_DEP_3) | instskip(NEXT) | instid1(VALU_DEP_3)
	v_or_b32_e32 v1, v1, v7
	v_readfirstlane_b32 s14, v25
	s_delay_alu instid0(VALU_DEP_3) | instskip(SKIP_1) | instid1(VALU_DEP_3)
	v_readfirstlane_b32 s15, v26
	s_wait_alu 0xfffe
	v_and_or_b32 v1, 0x1e0, s1, v1
	s_clause 0x3
	global_store_b128 v31, v[1:4], s[14:15]
	global_store_b128 v31, v[11:14], s[14:15] offset:16
	global_store_b128 v31, v[15:18], s[14:15] offset:32
	;; [unrolled: 1-line block ×3, first 2 shown]
	s_and_saveexec_b32 s1, s0
	s_cbranch_execz .LBB3_94
; %bb.87:                               ;   in Loop: Header=BB3_29 Depth=1
	s_clause 0x1
	global_load_b64 v[15:16], v8, s[2:3] offset:32 scope:SCOPE_SYS
	global_load_b64 v[1:2], v8, s[2:3] offset:40
	s_mov_b32 s14, exec_lo
	v_dual_mov_b32 v13, s12 :: v_dual_mov_b32 v14, s13
	s_wait_loadcnt 0x0
	v_and_b32_e32 v1, s12, v1
	v_and_b32_e32 v2, s13, v2
	s_delay_alu instid0(VALU_DEP_2) | instskip(NEXT) | instid1(VALU_DEP_2)
	v_mul_lo_u32 v3, 0, v1
	v_mul_lo_u32 v2, 24, v2
	v_mul_hi_u32 v4, 24, v1
	v_mul_lo_u32 v1, 24, v1
	s_delay_alu instid0(VALU_DEP_3) | instskip(NEXT) | instid1(VALU_DEP_2)
	v_add_nc_u32_e32 v2, v2, v3
	v_add_co_u32 v11, vcc_lo, v23, v1
	s_delay_alu instid0(VALU_DEP_2) | instskip(SKIP_1) | instid1(VALU_DEP_1)
	v_add_nc_u32_e32 v2, v2, v4
	s_wait_alu 0xfffd
	v_add_co_ci_u32_e64 v12, null, v24, v2, vcc_lo
	global_store_b64 v[11:12], v[15:16], off
	global_wb scope:SCOPE_SYS
	s_wait_storecnt 0x0
	global_atomic_cmpswap_b64 v[3:4], v8, v[13:16], s[2:3] offset:32 th:TH_ATOMIC_RETURN scope:SCOPE_SYS
	s_wait_loadcnt 0x0
	v_cmpx_ne_u64_e64 v[3:4], v[15:16]
	s_cbranch_execz .LBB3_90
; %bb.88:                               ;   in Loop: Header=BB3_29 Depth=1
	s_mov_b32 s15, 0
.LBB3_89:                               ;   Parent Loop BB3_29 Depth=1
                                        ; =>  This Inner Loop Header: Depth=2
	v_dual_mov_b32 v1, s12 :: v_dual_mov_b32 v2, s13
	s_sleep 1
	global_store_b64 v[11:12], v[3:4], off
	global_wb scope:SCOPE_SYS
	s_wait_storecnt 0x0
	global_atomic_cmpswap_b64 v[1:2], v8, v[1:4], s[2:3] offset:32 th:TH_ATOMIC_RETURN scope:SCOPE_SYS
	s_wait_loadcnt 0x0
	v_cmp_eq_u64_e32 vcc_lo, v[1:2], v[3:4]
	v_dual_mov_b32 v4, v2 :: v_dual_mov_b32 v3, v1
	s_wait_alu 0xfffe
	s_or_b32 s15, vcc_lo, s15
	s_wait_alu 0xfffe
	s_and_not1_b32 exec_lo, exec_lo, s15
	s_cbranch_execnz .LBB3_89
.LBB3_90:                               ;   in Loop: Header=BB3_29 Depth=1
	s_wait_alu 0xfffe
	s_or_b32 exec_lo, exec_lo, s14
	global_load_b64 v[1:2], v8, s[2:3] offset:16
	s_mov_b32 s15, exec_lo
	s_mov_b32 s14, exec_lo
	s_wait_alu 0xfffe
	v_mbcnt_lo_u32_b32 v3, s15, 0
	s_delay_alu instid0(VALU_DEP_1)
	v_cmpx_eq_u32_e32 0, v3
	s_cbranch_execz .LBB3_92
; %bb.91:                               ;   in Loop: Header=BB3_29 Depth=1
	s_bcnt1_i32_b32 s15, s15
	s_wait_alu 0xfffe
	v_mov_b32_e32 v7, s15
	global_wb scope:SCOPE_SYS
	s_wait_loadcnt 0x0
	s_wait_storecnt 0x0
	global_atomic_add_u64 v[1:2], v[7:8], off offset:8 scope:SCOPE_SYS
.LBB3_92:                               ;   in Loop: Header=BB3_29 Depth=1
	s_or_b32 exec_lo, exec_lo, s14
	s_wait_loadcnt 0x0
	global_load_b64 v[3:4], v[1:2], off offset:16
	s_wait_loadcnt 0x0
	v_cmp_eq_u64_e32 vcc_lo, 0, v[3:4]
	s_cbranch_vccnz .LBB3_94
; %bb.93:                               ;   in Loop: Header=BB3_29 Depth=1
	global_load_b32 v7, v[1:2], off offset:24
	s_wait_loadcnt 0x0
	v_readfirstlane_b32 s14, v7
	global_wb scope:SCOPE_SYS
	s_wait_storecnt 0x0
	global_store_b64 v[3:4], v[7:8], off scope:SCOPE_SYS
	s_and_b32 m0, s14, 0xffffff
	s_sendmsg sendmsg(MSG_INTERRUPT)
.LBB3_94:                               ;   in Loop: Header=BB3_29 Depth=1
	s_wait_alu 0xfffe
	s_or_b32 exec_lo, exec_lo, s1
	v_add_co_u32 v1, vcc_lo, v25, v31
	s_wait_alu 0xfffd
	v_add_co_ci_u32_e64 v2, null, 0, v26, vcc_lo
	s_branch .LBB3_98
.LBB3_95:                               ;   in Loop: Header=BB3_98 Depth=2
	s_wait_alu 0xfffe
	s_or_b32 exec_lo, exec_lo, s1
	s_delay_alu instid0(VALU_DEP_1)
	v_readfirstlane_b32 s1, v3
	s_cmp_eq_u32 s1, 0
	s_cbranch_scc1 .LBB3_97
; %bb.96:                               ;   in Loop: Header=BB3_98 Depth=2
	s_sleep 1
	s_cbranch_execnz .LBB3_98
	s_branch .LBB3_100
.LBB3_97:                               ;   in Loop: Header=BB3_29 Depth=1
	s_branch .LBB3_100
.LBB3_98:                               ;   Parent Loop BB3_29 Depth=1
                                        ; =>  This Inner Loop Header: Depth=2
	v_mov_b32_e32 v3, 1
	s_and_saveexec_b32 s1, s0
	s_cbranch_execz .LBB3_95
; %bb.99:                               ;   in Loop: Header=BB3_98 Depth=2
	global_load_b32 v3, v[27:28], off offset:20 scope:SCOPE_SYS
	s_wait_loadcnt 0x0
	global_inv scope:SCOPE_SYS
	v_and_b32_e32 v3, 1, v3
	s_branch .LBB3_95
.LBB3_100:                              ;   in Loop: Header=BB3_29 Depth=1
	global_load_b64 v[1:2], v[1:2], off
	s_and_saveexec_b32 s14, s0
	s_cbranch_execz .LBB3_28
; %bb.101:                              ;   in Loop: Header=BB3_29 Depth=1
	s_clause 0x2
	global_load_b64 v[3:4], v8, s[2:3] offset:40
	global_load_b64 v[15:16], v8, s[2:3] offset:24 scope:SCOPE_SYS
	global_load_b64 v[11:12], v8, s[2:3]
	s_wait_loadcnt 0x2
	v_readfirstlane_b32 s16, v3
	v_readfirstlane_b32 s17, v4
	s_add_nc_u64 s[0:1], s[16:17], 1
	s_wait_alu 0xfffe
	s_add_nc_u64 s[12:13], s[0:1], s[12:13]
	s_wait_alu 0xfffe
	s_cmp_eq_u64 s[12:13], 0
	s_cselect_b32 s1, s1, s13
	s_cselect_b32 s0, s0, s12
	s_wait_alu 0xfffe
	v_dual_mov_b32 v14, s1 :: v_dual_mov_b32 v13, s0
	s_and_b64 s[12:13], s[0:1], s[16:17]
	s_wait_alu 0xfffe
	s_mul_u64 s[12:13], s[12:13], 24
	s_wait_loadcnt 0x0
	s_wait_alu 0xfffe
	v_add_co_u32 v3, vcc_lo, v11, s12
	s_wait_alu 0xfffd
	v_add_co_ci_u32_e64 v4, null, s13, v12, vcc_lo
	global_store_b64 v[3:4], v[15:16], off
	global_wb scope:SCOPE_SYS
	s_wait_storecnt 0x0
	global_atomic_cmpswap_b64 v[13:14], v8, v[13:16], s[2:3] offset:24 th:TH_ATOMIC_RETURN scope:SCOPE_SYS
	s_wait_loadcnt 0x0
	v_cmp_ne_u64_e32 vcc_lo, v[13:14], v[15:16]
	s_and_b32 exec_lo, exec_lo, vcc_lo
	s_cbranch_execz .LBB3_28
; %bb.102:                              ;   in Loop: Header=BB3_29 Depth=1
	s_mov_b32 s12, 0
.LBB3_103:                              ;   Parent Loop BB3_29 Depth=1
                                        ; =>  This Inner Loop Header: Depth=2
	v_dual_mov_b32 v11, s0 :: v_dual_mov_b32 v12, s1
	s_sleep 1
	global_store_b64 v[3:4], v[13:14], off
	global_wb scope:SCOPE_SYS
	s_wait_storecnt 0x0
	global_atomic_cmpswap_b64 v[11:12], v8, v[11:14], s[2:3] offset:24 th:TH_ATOMIC_RETURN scope:SCOPE_SYS
	s_wait_loadcnt 0x0
	v_cmp_eq_u64_e32 vcc_lo, v[11:12], v[13:14]
	v_dual_mov_b32 v14, v12 :: v_dual_mov_b32 v13, v11
	s_wait_alu 0xfffe
	s_or_b32 s12, vcc_lo, s12
	s_wait_alu 0xfffe
	s_and_not1_b32 exec_lo, exec_lo, s12
	s_cbranch_execnz .LBB3_103
	s_branch .LBB3_28
.LBB3_104:
                                        ; implicit-def: $vgpr1_vgpr2
	s_cbranch_execnz .LBB3_106
	s_branch .LBB3_133
.LBB3_105:
	s_branch .LBB3_133
.LBB3_106:
	v_readfirstlane_b32 s0, v32
	v_mov_b32_e32 v8, 0
	v_mov_b32_e32 v9, 0
	s_wait_alu 0xf1ff
	s_delay_alu instid0(VALU_DEP_3)
	v_cmp_eq_u32_e64 s0, s0, v32
	s_and_saveexec_b32 s1, s0
	s_cbranch_execz .LBB3_112
; %bb.107:
	s_wait_loadcnt 0x0
	v_mov_b32_e32 v1, 0
	s_mov_b32 s4, exec_lo
	global_load_b64 v[10:11], v1, s[2:3] offset:24 scope:SCOPE_SYS
	s_wait_loadcnt 0x0
	global_inv scope:SCOPE_SYS
	s_clause 0x1
	global_load_b64 v[2:3], v1, s[2:3] offset:40
	global_load_b64 v[7:8], v1, s[2:3]
	s_wait_loadcnt 0x1
	v_and_b32_e32 v3, v3, v11
	v_and_b32_e32 v2, v2, v10
	s_delay_alu instid0(VALU_DEP_2) | instskip(NEXT) | instid1(VALU_DEP_2)
	v_mul_lo_u32 v3, 24, v3
	v_mul_lo_u32 v4, 0, v2
	v_mul_hi_u32 v9, 24, v2
	v_mul_lo_u32 v2, 24, v2
	s_delay_alu instid0(VALU_DEP_3) | instskip(SKIP_1) | instid1(VALU_DEP_2)
	v_add_nc_u32_e32 v3, v3, v4
	s_wait_loadcnt 0x0
	v_add_co_u32 v2, vcc_lo, v7, v2
	s_delay_alu instid0(VALU_DEP_2) | instskip(SKIP_1) | instid1(VALU_DEP_1)
	v_add_nc_u32_e32 v3, v3, v9
	s_wait_alu 0xfffd
	v_add_co_ci_u32_e64 v3, null, v8, v3, vcc_lo
	global_load_b64 v[8:9], v[2:3], off scope:SCOPE_SYS
	s_wait_loadcnt 0x0
	global_atomic_cmpswap_b64 v[8:9], v1, v[8:11], s[2:3] offset:24 th:TH_ATOMIC_RETURN scope:SCOPE_SYS
	s_wait_loadcnt 0x0
	global_inv scope:SCOPE_SYS
	v_cmpx_ne_u64_e64 v[8:9], v[10:11]
	s_cbranch_execz .LBB3_111
; %bb.108:
	s_mov_b32 s5, 0
.LBB3_109:                              ; =>This Inner Loop Header: Depth=1
	s_sleep 1
	s_clause 0x1
	global_load_b64 v[2:3], v1, s[2:3] offset:40
	global_load_b64 v[12:13], v1, s[2:3]
	v_dual_mov_b32 v11, v9 :: v_dual_mov_b32 v10, v8
	s_wait_loadcnt 0x1
	s_delay_alu instid0(VALU_DEP_1) | instskip(SKIP_1) | instid1(VALU_DEP_1)
	v_and_b32_e32 v2, v2, v10
	s_wait_loadcnt 0x0
	v_mad_co_u64_u32 v[7:8], null, v2, 24, v[12:13]
	s_delay_alu instid0(VALU_DEP_1) | instskip(NEXT) | instid1(VALU_DEP_1)
	v_dual_mov_b32 v2, v8 :: v_dual_and_b32 v3, v3, v11
	v_mad_co_u64_u32 v[2:3], null, v3, 24, v[2:3]
	s_delay_alu instid0(VALU_DEP_1)
	v_mov_b32_e32 v8, v2
	global_load_b64 v[8:9], v[7:8], off scope:SCOPE_SYS
	s_wait_loadcnt 0x0
	global_atomic_cmpswap_b64 v[8:9], v1, v[8:11], s[2:3] offset:24 th:TH_ATOMIC_RETURN scope:SCOPE_SYS
	s_wait_loadcnt 0x0
	global_inv scope:SCOPE_SYS
	v_cmp_eq_u64_e32 vcc_lo, v[8:9], v[10:11]
	s_wait_alu 0xfffe
	s_or_b32 s5, vcc_lo, s5
	s_wait_alu 0xfffe
	s_and_not1_b32 exec_lo, exec_lo, s5
	s_cbranch_execnz .LBB3_109
; %bb.110:
	s_or_b32 exec_lo, exec_lo, s5
.LBB3_111:
	s_wait_alu 0xfffe
	s_or_b32 exec_lo, exec_lo, s4
.LBB3_112:
	s_wait_alu 0xfffe
	s_or_b32 exec_lo, exec_lo, s1
	v_readfirstlane_b32 s5, v9
	v_mov_b32_e32 v7, 0
	v_readfirstlane_b32 s4, v8
	s_mov_b32 s1, exec_lo
	global_load_b64 v[10:11], v7, s[2:3] offset:40
	s_wait_loadcnt 0x1
	global_load_b128 v[1:4], v7, s[2:3]
	s_wait_loadcnt 0x1
	s_wait_alu 0xf1ff
	v_and_b32_e32 v12, s5, v11
	v_and_b32_e32 v11, s4, v10
	s_delay_alu instid0(VALU_DEP_2) | instskip(NEXT) | instid1(VALU_DEP_2)
	v_mul_lo_u32 v8, 24, v12
	v_mul_lo_u32 v9, 0, v11
	v_mul_hi_u32 v10, 24, v11
	v_mul_lo_u32 v13, 24, v11
	s_delay_alu instid0(VALU_DEP_3) | instskip(SKIP_1) | instid1(VALU_DEP_2)
	v_add_nc_u32_e32 v8, v8, v9
	s_wait_loadcnt 0x0
	v_add_co_u32 v9, vcc_lo, v1, v13
	s_delay_alu instid0(VALU_DEP_2) | instskip(SKIP_1) | instid1(VALU_DEP_1)
	v_add_nc_u32_e32 v8, v8, v10
	s_wait_alu 0xfffd
	v_add_co_ci_u32_e64 v10, null, v2, v8, vcc_lo
	s_and_saveexec_b32 s6, s0
	s_cbranch_execz .LBB3_114
; %bb.113:
	s_wait_alu 0xfffe
	v_dual_mov_b32 v13, s1 :: v_dual_mov_b32 v14, v7
	v_dual_mov_b32 v15, 2 :: v_dual_mov_b32 v16, 1
	global_store_b128 v[9:10], v[13:16], off offset:8
.LBB3_114:
	s_wait_alu 0xfffe
	s_or_b32 exec_lo, exec_lo, s6
	v_lshlrev_b64_e32 v[11:12], 12, v[11:12]
	s_mov_b32 s12, 0
	v_and_or_b32 v5, 0xffffff1f, v5, 32
	s_wait_alu 0xfffe
	s_mov_b32 s15, s12
	s_mov_b32 s13, s12
	;; [unrolled: 1-line block ×3, first 2 shown]
	v_add_co_u32 v3, vcc_lo, v3, v11
	s_wait_alu 0xfffd
	v_add_co_ci_u32_e64 v4, null, v4, v12, vcc_lo
	v_mov_b32_e32 v8, v7
	s_delay_alu instid0(VALU_DEP_3) | instskip(SKIP_1) | instid1(VALU_DEP_4)
	v_add_co_u32 v11, vcc_lo, v3, v31
	v_readfirstlane_b32 s6, v3
	v_readfirstlane_b32 s7, v4
	s_wait_alu 0xfffe
	v_dual_mov_b32 v16, s15 :: v_dual_mov_b32 v13, s12
	s_wait_alu 0xfffd
	v_add_co_ci_u32_e64 v12, null, 0, v4, vcc_lo
	v_dual_mov_b32 v15, s14 :: v_dual_mov_b32 v14, s13
	s_clause 0x3
	global_store_b128 v31, v[5:8], s[6:7]
	global_store_b128 v31, v[13:16], s[6:7] offset:16
	global_store_b128 v31, v[13:16], s[6:7] offset:32
	;; [unrolled: 1-line block ×3, first 2 shown]
	s_and_saveexec_b32 s1, s0
	s_cbranch_execz .LBB3_122
; %bb.115:
	v_mov_b32_e32 v7, 0
	s_mov_b32 s6, exec_lo
	s_clause 0x1
	global_load_b64 v[15:16], v7, s[2:3] offset:32 scope:SCOPE_SYS
	global_load_b64 v[3:4], v7, s[2:3] offset:40
	v_dual_mov_b32 v14, s5 :: v_dual_mov_b32 v13, s4
	s_wait_loadcnt 0x0
	v_and_b32_e32 v4, s5, v4
	v_and_b32_e32 v3, s4, v3
	s_delay_alu instid0(VALU_DEP_2) | instskip(NEXT) | instid1(VALU_DEP_2)
	v_mul_lo_u32 v4, 24, v4
	v_mul_lo_u32 v5, 0, v3
	v_mul_hi_u32 v6, 24, v3
	v_mul_lo_u32 v3, 24, v3
	s_delay_alu instid0(VALU_DEP_3) | instskip(NEXT) | instid1(VALU_DEP_2)
	v_add_nc_u32_e32 v4, v4, v5
	v_add_co_u32 v5, vcc_lo, v1, v3
	s_delay_alu instid0(VALU_DEP_2) | instskip(SKIP_1) | instid1(VALU_DEP_1)
	v_add_nc_u32_e32 v4, v4, v6
	s_wait_alu 0xfffd
	v_add_co_ci_u32_e64 v6, null, v2, v4, vcc_lo
	global_store_b64 v[5:6], v[15:16], off
	global_wb scope:SCOPE_SYS
	s_wait_storecnt 0x0
	global_atomic_cmpswap_b64 v[3:4], v7, v[13:16], s[2:3] offset:32 th:TH_ATOMIC_RETURN scope:SCOPE_SYS
	s_wait_loadcnt 0x0
	v_cmpx_ne_u64_e64 v[3:4], v[15:16]
	s_cbranch_execz .LBB3_118
; %bb.116:
	s_mov_b32 s7, 0
.LBB3_117:                              ; =>This Inner Loop Header: Depth=1
	v_dual_mov_b32 v1, s4 :: v_dual_mov_b32 v2, s5
	s_sleep 1
	global_store_b64 v[5:6], v[3:4], off
	global_wb scope:SCOPE_SYS
	s_wait_storecnt 0x0
	global_atomic_cmpswap_b64 v[1:2], v7, v[1:4], s[2:3] offset:32 th:TH_ATOMIC_RETURN scope:SCOPE_SYS
	s_wait_loadcnt 0x0
	v_cmp_eq_u64_e32 vcc_lo, v[1:2], v[3:4]
	v_dual_mov_b32 v4, v2 :: v_dual_mov_b32 v3, v1
	s_wait_alu 0xfffe
	s_or_b32 s7, vcc_lo, s7
	s_wait_alu 0xfffe
	s_and_not1_b32 exec_lo, exec_lo, s7
	s_cbranch_execnz .LBB3_117
.LBB3_118:
	s_wait_alu 0xfffe
	s_or_b32 exec_lo, exec_lo, s6
	v_mov_b32_e32 v4, 0
	s_mov_b32 s7, exec_lo
	s_mov_b32 s6, exec_lo
	s_wait_alu 0xfffe
	v_mbcnt_lo_u32_b32 v3, s7, 0
	global_load_b64 v[1:2], v4, s[2:3] offset:16
	v_cmpx_eq_u32_e32 0, v3
	s_cbranch_execz .LBB3_120
; %bb.119:
	s_bcnt1_i32_b32 s7, s7
	s_wait_alu 0xfffe
	v_mov_b32_e32 v3, s7
	global_wb scope:SCOPE_SYS
	s_wait_loadcnt 0x0
	s_wait_storecnt 0x0
	global_atomic_add_u64 v[1:2], v[3:4], off offset:8 scope:SCOPE_SYS
.LBB3_120:
	s_or_b32 exec_lo, exec_lo, s6
	s_wait_loadcnt 0x0
	global_load_b64 v[3:4], v[1:2], off offset:16
	s_wait_loadcnt 0x0
	v_cmp_eq_u64_e32 vcc_lo, 0, v[3:4]
	s_cbranch_vccnz .LBB3_122
; %bb.121:
	global_load_b32 v1, v[1:2], off offset:24
	v_mov_b32_e32 v2, 0
	s_wait_loadcnt 0x0
	v_readfirstlane_b32 s6, v1
	global_wb scope:SCOPE_SYS
	s_wait_storecnt 0x0
	global_store_b64 v[3:4], v[1:2], off scope:SCOPE_SYS
	s_and_b32 m0, s6, 0xffffff
	s_sendmsg sendmsg(MSG_INTERRUPT)
.LBB3_122:
	s_wait_alu 0xfffe
	s_or_b32 exec_lo, exec_lo, s1
	s_branch .LBB3_126
.LBB3_123:                              ;   in Loop: Header=BB3_126 Depth=1
	s_wait_alu 0xfffe
	s_or_b32 exec_lo, exec_lo, s1
	s_delay_alu instid0(VALU_DEP_1)
	v_readfirstlane_b32 s1, v1
	s_cmp_eq_u32 s1, 0
	s_cbranch_scc1 .LBB3_125
; %bb.124:                              ;   in Loop: Header=BB3_126 Depth=1
	s_sleep 1
	s_cbranch_execnz .LBB3_126
	s_branch .LBB3_128
.LBB3_125:
	s_branch .LBB3_128
.LBB3_126:                              ; =>This Inner Loop Header: Depth=1
	v_mov_b32_e32 v1, 1
	s_and_saveexec_b32 s1, s0
	s_cbranch_execz .LBB3_123
; %bb.127:                              ;   in Loop: Header=BB3_126 Depth=1
	global_load_b32 v1, v[9:10], off offset:20 scope:SCOPE_SYS
	s_wait_loadcnt 0x0
	global_inv scope:SCOPE_SYS
	v_and_b32_e32 v1, 1, v1
	s_branch .LBB3_123
.LBB3_128:
	global_load_b64 v[1:2], v[11:12], off
	s_and_saveexec_b32 s6, s0
	s_cbranch_execz .LBB3_132
; %bb.129:
	v_mov_b32_e32 v9, 0
	s_clause 0x2
	global_load_b64 v[3:4], v9, s[2:3] offset:40
	global_load_b64 v[12:13], v9, s[2:3] offset:24 scope:SCOPE_SYS
	global_load_b64 v[5:6], v9, s[2:3]
	s_wait_loadcnt 0x2
	v_readfirstlane_b32 s10, v3
	v_readfirstlane_b32 s11, v4
	s_add_nc_u64 s[0:1], s[10:11], 1
	s_wait_alu 0xfffe
	s_add_nc_u64 s[4:5], s[0:1], s[4:5]
	s_wait_alu 0xfffe
	s_cmp_eq_u64 s[4:5], 0
	s_cselect_b32 s1, s1, s5
	s_cselect_b32 s0, s0, s4
	s_wait_alu 0xfffe
	v_mov_b32_e32 v11, s1
	s_and_b64 s[4:5], s[0:1], s[10:11]
	v_mov_b32_e32 v10, s0
	s_wait_alu 0xfffe
	s_mul_u64 s[4:5], s[4:5], 24
	s_wait_loadcnt 0x0
	s_wait_alu 0xfffe
	v_add_co_u32 v7, vcc_lo, v5, s4
	s_wait_alu 0xfffd
	v_add_co_ci_u32_e64 v8, null, s5, v6, vcc_lo
	global_store_b64 v[7:8], v[12:13], off
	global_wb scope:SCOPE_SYS
	s_wait_storecnt 0x0
	global_atomic_cmpswap_b64 v[5:6], v9, v[10:13], s[2:3] offset:24 th:TH_ATOMIC_RETURN scope:SCOPE_SYS
	s_wait_loadcnt 0x0
	v_cmp_ne_u64_e32 vcc_lo, v[5:6], v[12:13]
	s_and_b32 exec_lo, exec_lo, vcc_lo
	s_cbranch_execz .LBB3_132
; %bb.130:
	s_mov_b32 s4, 0
.LBB3_131:                              ; =>This Inner Loop Header: Depth=1
	v_dual_mov_b32 v3, s0 :: v_dual_mov_b32 v4, s1
	s_sleep 1
	global_store_b64 v[7:8], v[5:6], off
	global_wb scope:SCOPE_SYS
	s_wait_storecnt 0x0
	global_atomic_cmpswap_b64 v[3:4], v9, v[3:6], s[2:3] offset:24 th:TH_ATOMIC_RETURN scope:SCOPE_SYS
	s_wait_loadcnt 0x0
	v_cmp_eq_u64_e32 vcc_lo, v[3:4], v[5:6]
	v_dual_mov_b32 v6, v4 :: v_dual_mov_b32 v5, v3
	s_wait_alu 0xfffe
	s_or_b32 s4, vcc_lo, s4
	s_wait_alu 0xfffe
	s_and_not1_b32 exec_lo, exec_lo, s4
	s_cbranch_execnz .LBB3_131
.LBB3_132:
	s_wait_alu 0xfffe
	s_or_b32 exec_lo, exec_lo, s6
.LBB3_133:
	s_getpc_b64 s[0:1]
	s_wait_alu 0xfffe
	s_sext_i32_i16 s1, s1
	s_add_co_u32 s0, s0, .str.3@rel32@lo+12
	s_wait_alu 0xfffe
	s_add_co_ci_u32 s1, s1, .str.3@rel32@hi+24
	s_mov_b64 s[4:5], 0
	s_wait_alu 0xfffe
	s_cmp_lg_u64 s[0:1], 0
	s_cselect_b32 s6, -1, 0
	s_cmp_eq_u64 s[0:1], 0
	s_cbranch_scc1 .LBB3_137
; %bb.134:
	s_getpc_b64 s[0:1]
	s_wait_alu 0xfffe
	s_sext_i32_i16 s1, s1
	s_add_co_u32 s0, s0, .str.3@rel32@lo+11
	s_wait_alu 0xfffe
	s_add_co_ci_u32 s1, s1, .str.3@rel32@hi+23
.LBB3_135:                              ; =>This Inner Loop Header: Depth=1
	s_load_u8 s4, s[0:1], 0x1
	s_add_nc_u64 s[0:1], s[0:1], 1
	s_wait_kmcnt 0x0
	s_cmp_lg_u32 s4, 0
	s_cbranch_scc1 .LBB3_135
; %bb.136:
	s_getpc_b64 s[4:5]
	s_wait_alu 0xfffe
	s_sext_i32_i16 s5, s5
	s_add_co_u32 s4, s4, .str.3@rel32@lo+12
	s_wait_alu 0xfffe
	s_add_co_ci_u32 s5, s5, .str.3@rel32@hi+24
	s_wait_alu 0xfffe
	s_sub_nc_u64 s[0:1], s[0:1], s[4:5]
	s_wait_alu 0xfffe
	s_add_nc_u64 s[4:5], s[0:1], 1
.LBB3_137:
	s_wait_alu 0xfffe
	s_and_b32 vcc_lo, exec_lo, s6
	s_wait_alu 0xfffe
	s_cbranch_vccz .LBB3_215
; %bb.138:
	s_wait_loadcnt 0x0
	v_dual_mov_b32 v8, 0 :: v_dual_and_b32 v33, 2, v1
	v_dual_mov_b32 v4, v2 :: v_dual_and_b32 v3, -3, v1
	v_dual_mov_b32 v9, 2 :: v_dual_mov_b32 v10, 1
	s_getpc_b64 s[6:7]
	s_wait_alu 0xfffe
	s_sext_i32_i16 s7, s7
	s_add_co_u32 s6, s6, .str.3@rel32@lo+12
	s_wait_alu 0xfffe
	s_add_co_ci_u32 s7, s7, .str.3@rel32@hi+24
	s_branch .LBB3_140
.LBB3_139:                              ;   in Loop: Header=BB3_140 Depth=1
	s_wait_alu 0xfffe
	s_or_b32 exec_lo, exec_lo, s14
	s_sub_nc_u64 s[4:5], s[4:5], s[10:11]
	s_add_nc_u64 s[6:7], s[6:7], s[10:11]
	s_wait_alu 0xfffe
	s_cmp_lg_u64 s[4:5], 0
	s_cbranch_scc0 .LBB3_216
.LBB3_140:                              ; =>This Loop Header: Depth=1
                                        ;     Child Loop BB3_143 Depth 2
                                        ;     Child Loop BB3_150 Depth 2
	;; [unrolled: 1-line block ×11, first 2 shown]
	v_cmp_lt_u64_e64 s0, s[4:5], 56
	v_cmp_gt_u64_e64 s1, s[4:5], 7
	s_and_b32 s0, s0, exec_lo
	s_cselect_b32 s11, s5, 0
	s_cselect_b32 s10, s4, 56
	s_and_b32 vcc_lo, exec_lo, s1
	s_wait_alu 0xfffe
	s_cbranch_vccnz .LBB3_145
; %bb.141:                              ;   in Loop: Header=BB3_140 Depth=1
	v_mov_b32_e32 v5, 0
	v_mov_b32_e32 v6, 0
	s_cmp_eq_u64 s[4:5], 0
	s_cbranch_scc1 .LBB3_144
; %bb.142:                              ;   in Loop: Header=BB3_140 Depth=1
	s_mov_b64 s[0:1], 0
	s_mov_b64 s[12:13], 0
.LBB3_143:                              ;   Parent Loop BB3_140 Depth=1
                                        ; =>  This Inner Loop Header: Depth=2
	s_wait_alu 0xfffe
	s_add_nc_u64 s[14:15], s[6:7], s[12:13]
	s_add_nc_u64 s[12:13], s[12:13], 1
	global_load_u8 v7, v8, s[14:15]
	s_wait_alu 0xfffe
	s_cmp_lg_u32 s10, s12
	s_wait_loadcnt 0x0
	v_and_b32_e32 v7, 0xffff, v7
	s_delay_alu instid0(VALU_DEP_1) | instskip(SKIP_1) | instid1(VALU_DEP_1)
	v_lshlrev_b64_e32 v[11:12], s0, v[7:8]
	s_add_nc_u64 s[0:1], s[0:1], 8
	v_or_b32_e32 v5, v11, v5
	s_delay_alu instid0(VALU_DEP_2)
	v_or_b32_e32 v6, v12, v6
	s_cbranch_scc1 .LBB3_143
.LBB3_144:                              ;   in Loop: Header=BB3_140 Depth=1
	s_mov_b64 s[12:13], s[6:7]
	s_mov_b32 s16, 0
	s_cbranch_execz .LBB3_146
	s_branch .LBB3_147
.LBB3_145:                              ;   in Loop: Header=BB3_140 Depth=1
	s_add_nc_u64 s[12:13], s[6:7], 8
	s_mov_b32 s16, 0
.LBB3_146:                              ;   in Loop: Header=BB3_140 Depth=1
	global_load_b64 v[5:6], v8, s[6:7]
	s_add_co_i32 s16, s10, -8
.LBB3_147:                              ;   in Loop: Header=BB3_140 Depth=1
	s_wait_alu 0xfffe
	s_cmp_gt_u32 s16, 7
	s_cbranch_scc1 .LBB3_152
; %bb.148:                              ;   in Loop: Header=BB3_140 Depth=1
	v_mov_b32_e32 v11, 0
	v_mov_b32_e32 v12, 0
	s_cmp_eq_u32 s16, 0
	s_cbranch_scc1 .LBB3_151
; %bb.149:                              ;   in Loop: Header=BB3_140 Depth=1
	s_mov_b64 s[0:1], 0
	s_mov_b64 s[14:15], 0
.LBB3_150:                              ;   Parent Loop BB3_140 Depth=1
                                        ; =>  This Inner Loop Header: Depth=2
	s_wait_alu 0xfffe
	s_add_nc_u64 s[18:19], s[12:13], s[14:15]
	s_add_nc_u64 s[14:15], s[14:15], 1
	global_load_u8 v7, v8, s[18:19]
	s_wait_alu 0xfffe
	s_cmp_lg_u32 s16, s14
	s_wait_loadcnt 0x0
	v_and_b32_e32 v7, 0xffff, v7
	s_delay_alu instid0(VALU_DEP_1) | instskip(SKIP_1) | instid1(VALU_DEP_1)
	v_lshlrev_b64_e32 v[13:14], s0, v[7:8]
	s_add_nc_u64 s[0:1], s[0:1], 8
	v_or_b32_e32 v11, v13, v11
	s_delay_alu instid0(VALU_DEP_2)
	v_or_b32_e32 v12, v14, v12
	s_cbranch_scc1 .LBB3_150
.LBB3_151:                              ;   in Loop: Header=BB3_140 Depth=1
	s_mov_b64 s[0:1], s[12:13]
	s_mov_b32 s17, 0
	s_cbranch_execz .LBB3_153
	s_branch .LBB3_154
.LBB3_152:                              ;   in Loop: Header=BB3_140 Depth=1
	s_add_nc_u64 s[0:1], s[12:13], 8
                                        ; implicit-def: $vgpr11_vgpr12
	s_mov_b32 s17, 0
.LBB3_153:                              ;   in Loop: Header=BB3_140 Depth=1
	global_load_b64 v[11:12], v8, s[12:13]
	s_add_co_i32 s17, s16, -8
.LBB3_154:                              ;   in Loop: Header=BB3_140 Depth=1
	s_wait_alu 0xfffe
	s_cmp_gt_u32 s17, 7
	s_cbranch_scc1 .LBB3_159
; %bb.155:                              ;   in Loop: Header=BB3_140 Depth=1
	v_mov_b32_e32 v13, 0
	v_mov_b32_e32 v14, 0
	s_cmp_eq_u32 s17, 0
	s_cbranch_scc1 .LBB3_158
; %bb.156:                              ;   in Loop: Header=BB3_140 Depth=1
	s_mov_b64 s[12:13], 0
	s_mov_b64 s[14:15], 0
.LBB3_157:                              ;   Parent Loop BB3_140 Depth=1
                                        ; =>  This Inner Loop Header: Depth=2
	s_wait_alu 0xfffe
	s_add_nc_u64 s[18:19], s[0:1], s[14:15]
	s_add_nc_u64 s[14:15], s[14:15], 1
	global_load_u8 v7, v8, s[18:19]
	s_wait_alu 0xfffe
	s_cmp_lg_u32 s17, s14
	s_wait_loadcnt 0x0
	v_and_b32_e32 v7, 0xffff, v7
	s_delay_alu instid0(VALU_DEP_1) | instskip(SKIP_1) | instid1(VALU_DEP_1)
	v_lshlrev_b64_e32 v[15:16], s12, v[7:8]
	s_add_nc_u64 s[12:13], s[12:13], 8
	v_or_b32_e32 v13, v15, v13
	s_delay_alu instid0(VALU_DEP_2)
	v_or_b32_e32 v14, v16, v14
	s_cbranch_scc1 .LBB3_157
.LBB3_158:                              ;   in Loop: Header=BB3_140 Depth=1
	s_mov_b64 s[12:13], s[0:1]
	s_mov_b32 s16, 0
	s_cbranch_execz .LBB3_160
	s_branch .LBB3_161
.LBB3_159:                              ;   in Loop: Header=BB3_140 Depth=1
	s_add_nc_u64 s[12:13], s[0:1], 8
	s_mov_b32 s16, 0
.LBB3_160:                              ;   in Loop: Header=BB3_140 Depth=1
	global_load_b64 v[13:14], v8, s[0:1]
	s_add_co_i32 s16, s17, -8
.LBB3_161:                              ;   in Loop: Header=BB3_140 Depth=1
	s_wait_alu 0xfffe
	s_cmp_gt_u32 s16, 7
	s_cbranch_scc1 .LBB3_166
; %bb.162:                              ;   in Loop: Header=BB3_140 Depth=1
	v_mov_b32_e32 v15, 0
	v_mov_b32_e32 v16, 0
	s_cmp_eq_u32 s16, 0
	s_cbranch_scc1 .LBB3_165
; %bb.163:                              ;   in Loop: Header=BB3_140 Depth=1
	s_mov_b64 s[0:1], 0
	s_mov_b64 s[14:15], 0
.LBB3_164:                              ;   Parent Loop BB3_140 Depth=1
                                        ; =>  This Inner Loop Header: Depth=2
	s_wait_alu 0xfffe
	s_add_nc_u64 s[18:19], s[12:13], s[14:15]
	s_add_nc_u64 s[14:15], s[14:15], 1
	global_load_u8 v7, v8, s[18:19]
	s_wait_alu 0xfffe
	s_cmp_lg_u32 s16, s14
	s_wait_loadcnt 0x0
	v_and_b32_e32 v7, 0xffff, v7
	s_delay_alu instid0(VALU_DEP_1) | instskip(SKIP_1) | instid1(VALU_DEP_1)
	v_lshlrev_b64_e32 v[17:18], s0, v[7:8]
	s_add_nc_u64 s[0:1], s[0:1], 8
	v_or_b32_e32 v15, v17, v15
	s_delay_alu instid0(VALU_DEP_2)
	v_or_b32_e32 v16, v18, v16
	s_cbranch_scc1 .LBB3_164
.LBB3_165:                              ;   in Loop: Header=BB3_140 Depth=1
	s_mov_b64 s[0:1], s[12:13]
	s_mov_b32 s17, 0
	s_cbranch_execz .LBB3_167
	s_branch .LBB3_168
.LBB3_166:                              ;   in Loop: Header=BB3_140 Depth=1
	s_add_nc_u64 s[0:1], s[12:13], 8
                                        ; implicit-def: $vgpr15_vgpr16
	s_mov_b32 s17, 0
.LBB3_167:                              ;   in Loop: Header=BB3_140 Depth=1
	global_load_b64 v[15:16], v8, s[12:13]
	s_add_co_i32 s17, s16, -8
.LBB3_168:                              ;   in Loop: Header=BB3_140 Depth=1
	s_wait_alu 0xfffe
	s_cmp_gt_u32 s17, 7
	s_cbranch_scc1 .LBB3_173
; %bb.169:                              ;   in Loop: Header=BB3_140 Depth=1
	v_mov_b32_e32 v17, 0
	v_mov_b32_e32 v18, 0
	s_cmp_eq_u32 s17, 0
	s_cbranch_scc1 .LBB3_172
; %bb.170:                              ;   in Loop: Header=BB3_140 Depth=1
	s_mov_b64 s[12:13], 0
	s_mov_b64 s[14:15], 0
.LBB3_171:                              ;   Parent Loop BB3_140 Depth=1
                                        ; =>  This Inner Loop Header: Depth=2
	s_wait_alu 0xfffe
	s_add_nc_u64 s[18:19], s[0:1], s[14:15]
	s_add_nc_u64 s[14:15], s[14:15], 1
	global_load_u8 v7, v8, s[18:19]
	s_wait_alu 0xfffe
	s_cmp_lg_u32 s17, s14
	s_wait_loadcnt 0x0
	v_and_b32_e32 v7, 0xffff, v7
	s_delay_alu instid0(VALU_DEP_1) | instskip(SKIP_1) | instid1(VALU_DEP_1)
	v_lshlrev_b64_e32 v[19:20], s12, v[7:8]
	s_add_nc_u64 s[12:13], s[12:13], 8
	v_or_b32_e32 v17, v19, v17
	s_delay_alu instid0(VALU_DEP_2)
	v_or_b32_e32 v18, v20, v18
	s_cbranch_scc1 .LBB3_171
.LBB3_172:                              ;   in Loop: Header=BB3_140 Depth=1
	s_mov_b64 s[12:13], s[0:1]
	s_mov_b32 s16, 0
	s_cbranch_execz .LBB3_174
	s_branch .LBB3_175
.LBB3_173:                              ;   in Loop: Header=BB3_140 Depth=1
	s_add_nc_u64 s[12:13], s[0:1], 8
	s_mov_b32 s16, 0
.LBB3_174:                              ;   in Loop: Header=BB3_140 Depth=1
	global_load_b64 v[17:18], v8, s[0:1]
	s_add_co_i32 s16, s17, -8
.LBB3_175:                              ;   in Loop: Header=BB3_140 Depth=1
	s_wait_alu 0xfffe
	s_cmp_gt_u32 s16, 7
	s_cbranch_scc1 .LBB3_180
; %bb.176:                              ;   in Loop: Header=BB3_140 Depth=1
	v_mov_b32_e32 v19, 0
	v_mov_b32_e32 v20, 0
	s_cmp_eq_u32 s16, 0
	s_cbranch_scc1 .LBB3_179
; %bb.177:                              ;   in Loop: Header=BB3_140 Depth=1
	s_mov_b64 s[0:1], 0
	s_mov_b64 s[14:15], 0
.LBB3_178:                              ;   Parent Loop BB3_140 Depth=1
                                        ; =>  This Inner Loop Header: Depth=2
	s_wait_alu 0xfffe
	s_add_nc_u64 s[18:19], s[12:13], s[14:15]
	s_add_nc_u64 s[14:15], s[14:15], 1
	global_load_u8 v7, v8, s[18:19]
	s_wait_alu 0xfffe
	s_cmp_lg_u32 s16, s14
	s_wait_loadcnt 0x0
	v_and_b32_e32 v7, 0xffff, v7
	s_delay_alu instid0(VALU_DEP_1) | instskip(SKIP_1) | instid1(VALU_DEP_1)
	v_lshlrev_b64_e32 v[21:22], s0, v[7:8]
	s_add_nc_u64 s[0:1], s[0:1], 8
	v_or_b32_e32 v19, v21, v19
	s_delay_alu instid0(VALU_DEP_2)
	v_or_b32_e32 v20, v22, v20
	s_cbranch_scc1 .LBB3_178
.LBB3_179:                              ;   in Loop: Header=BB3_140 Depth=1
	s_mov_b64 s[0:1], s[12:13]
	s_mov_b32 s17, 0
	s_cbranch_execz .LBB3_181
	s_branch .LBB3_182
.LBB3_180:                              ;   in Loop: Header=BB3_140 Depth=1
	s_add_nc_u64 s[0:1], s[12:13], 8
                                        ; implicit-def: $vgpr19_vgpr20
	s_mov_b32 s17, 0
.LBB3_181:                              ;   in Loop: Header=BB3_140 Depth=1
	global_load_b64 v[19:20], v8, s[12:13]
	s_add_co_i32 s17, s16, -8
.LBB3_182:                              ;   in Loop: Header=BB3_140 Depth=1
	s_wait_alu 0xfffe
	s_cmp_gt_u32 s17, 7
	s_cbranch_scc1 .LBB3_187
; %bb.183:                              ;   in Loop: Header=BB3_140 Depth=1
	v_mov_b32_e32 v21, 0
	v_mov_b32_e32 v22, 0
	s_cmp_eq_u32 s17, 0
	s_cbranch_scc1 .LBB3_186
; %bb.184:                              ;   in Loop: Header=BB3_140 Depth=1
	s_mov_b64 s[12:13], 0
	s_mov_b64 s[14:15], s[0:1]
.LBB3_185:                              ;   Parent Loop BB3_140 Depth=1
                                        ; =>  This Inner Loop Header: Depth=2
	global_load_u8 v7, v8, s[14:15]
	s_add_co_i32 s17, s17, -1
	s_wait_alu 0xfffe
	s_add_nc_u64 s[14:15], s[14:15], 1
	s_cmp_lg_u32 s17, 0
	s_wait_loadcnt 0x0
	v_and_b32_e32 v7, 0xffff, v7
	s_delay_alu instid0(VALU_DEP_1) | instskip(SKIP_1) | instid1(VALU_DEP_1)
	v_lshlrev_b64_e32 v[23:24], s12, v[7:8]
	s_add_nc_u64 s[12:13], s[12:13], 8
	v_or_b32_e32 v21, v23, v21
	s_delay_alu instid0(VALU_DEP_2)
	v_or_b32_e32 v22, v24, v22
	s_cbranch_scc1 .LBB3_185
.LBB3_186:                              ;   in Loop: Header=BB3_140 Depth=1
	s_cbranch_execz .LBB3_188
	s_branch .LBB3_189
.LBB3_187:                              ;   in Loop: Header=BB3_140 Depth=1
.LBB3_188:                              ;   in Loop: Header=BB3_140 Depth=1
	global_load_b64 v[21:22], v8, s[0:1]
.LBB3_189:                              ;   in Loop: Header=BB3_140 Depth=1
	v_readfirstlane_b32 s0, v32
	v_mov_b32_e32 v27, 0
	v_mov_b32_e32 v28, 0
	s_wait_alu 0xf1ff
	s_delay_alu instid0(VALU_DEP_3)
	v_cmp_eq_u32_e64 s0, s0, v32
	s_and_saveexec_b32 s1, s0
	s_cbranch_execz .LBB3_195
; %bb.190:                              ;   in Loop: Header=BB3_140 Depth=1
	global_load_b64 v[25:26], v8, s[2:3] offset:24 scope:SCOPE_SYS
	s_wait_loadcnt 0x0
	global_inv scope:SCOPE_SYS
	s_clause 0x1
	global_load_b64 v[23:24], v8, s[2:3] offset:40
	global_load_b64 v[27:28], v8, s[2:3]
	s_mov_b32 s12, exec_lo
	s_wait_loadcnt 0x1
	v_and_b32_e32 v7, v24, v26
	v_and_b32_e32 v23, v23, v25
	s_delay_alu instid0(VALU_DEP_2) | instskip(NEXT) | instid1(VALU_DEP_2)
	v_mul_lo_u32 v7, 24, v7
	v_mul_lo_u32 v24, 0, v23
	v_mul_hi_u32 v29, 24, v23
	v_mul_lo_u32 v23, 24, v23
	s_delay_alu instid0(VALU_DEP_3) | instskip(SKIP_1) | instid1(VALU_DEP_2)
	v_add_nc_u32_e32 v7, v7, v24
	s_wait_loadcnt 0x0
	v_add_co_u32 v23, vcc_lo, v27, v23
	s_delay_alu instid0(VALU_DEP_2) | instskip(SKIP_1) | instid1(VALU_DEP_1)
	v_add_nc_u32_e32 v7, v7, v29
	s_wait_alu 0xfffd
	v_add_co_ci_u32_e64 v24, null, v28, v7, vcc_lo
	global_load_b64 v[23:24], v[23:24], off scope:SCOPE_SYS
	s_wait_loadcnt 0x0
	global_atomic_cmpswap_b64 v[27:28], v8, v[23:26], s[2:3] offset:24 th:TH_ATOMIC_RETURN scope:SCOPE_SYS
	s_wait_loadcnt 0x0
	global_inv scope:SCOPE_SYS
	v_cmpx_ne_u64_e64 v[27:28], v[25:26]
	s_cbranch_execz .LBB3_194
; %bb.191:                              ;   in Loop: Header=BB3_140 Depth=1
	s_mov_b32 s13, 0
.LBB3_192:                              ;   Parent Loop BB3_140 Depth=1
                                        ; =>  This Inner Loop Header: Depth=2
	s_sleep 1
	s_clause 0x1
	global_load_b64 v[23:24], v8, s[2:3] offset:40
	global_load_b64 v[29:30], v8, s[2:3]
	v_dual_mov_b32 v25, v27 :: v_dual_mov_b32 v26, v28
	s_wait_loadcnt 0x1
	s_delay_alu instid0(VALU_DEP_1) | instskip(NEXT) | instid1(VALU_DEP_2)
	v_and_b32_e32 v7, v23, v25
	v_and_b32_e32 v23, v24, v26
	s_wait_loadcnt 0x0
	s_delay_alu instid0(VALU_DEP_2) | instskip(NEXT) | instid1(VALU_DEP_1)
	v_mad_co_u64_u32 v[27:28], null, v7, 24, v[29:30]
	v_mov_b32_e32 v7, v28
	s_delay_alu instid0(VALU_DEP_1) | instskip(NEXT) | instid1(VALU_DEP_1)
	v_mad_co_u64_u32 v[23:24], null, v23, 24, v[7:8]
	v_mov_b32_e32 v28, v23
	global_load_b64 v[23:24], v[27:28], off scope:SCOPE_SYS
	s_wait_loadcnt 0x0
	global_atomic_cmpswap_b64 v[27:28], v8, v[23:26], s[2:3] offset:24 th:TH_ATOMIC_RETURN scope:SCOPE_SYS
	s_wait_loadcnt 0x0
	global_inv scope:SCOPE_SYS
	v_cmp_eq_u64_e32 vcc_lo, v[27:28], v[25:26]
	s_wait_alu 0xfffe
	s_or_b32 s13, vcc_lo, s13
	s_wait_alu 0xfffe
	s_and_not1_b32 exec_lo, exec_lo, s13
	s_cbranch_execnz .LBB3_192
; %bb.193:                              ;   in Loop: Header=BB3_140 Depth=1
	s_or_b32 exec_lo, exec_lo, s13
.LBB3_194:                              ;   in Loop: Header=BB3_140 Depth=1
	s_wait_alu 0xfffe
	s_or_b32 exec_lo, exec_lo, s12
.LBB3_195:                              ;   in Loop: Header=BB3_140 Depth=1
	s_wait_alu 0xfffe
	s_or_b32 exec_lo, exec_lo, s1
	s_clause 0x1
	global_load_b64 v[29:30], v8, s[2:3] offset:40
	global_load_b128 v[23:26], v8, s[2:3]
	v_readfirstlane_b32 s13, v28
	v_readfirstlane_b32 s12, v27
	s_mov_b32 s1, exec_lo
	s_wait_loadcnt 0x1
	s_wait_alu 0xf1ff
	v_and_b32_e32 v30, s13, v30
	v_and_b32_e32 v29, s12, v29
	s_delay_alu instid0(VALU_DEP_2) | instskip(NEXT) | instid1(VALU_DEP_2)
	v_mul_lo_u32 v7, 24, v30
	v_mul_lo_u32 v27, 0, v29
	v_mul_hi_u32 v28, 24, v29
	v_mul_lo_u32 v34, 24, v29
	s_delay_alu instid0(VALU_DEP_3) | instskip(SKIP_1) | instid1(VALU_DEP_2)
	v_add_nc_u32_e32 v7, v7, v27
	s_wait_loadcnt 0x0
	v_add_co_u32 v27, vcc_lo, v23, v34
	s_delay_alu instid0(VALU_DEP_2) | instskip(SKIP_1) | instid1(VALU_DEP_1)
	v_add_nc_u32_e32 v7, v7, v28
	s_wait_alu 0xfffd
	v_add_co_ci_u32_e64 v28, null, v24, v7, vcc_lo
	s_and_saveexec_b32 s14, s0
	s_cbranch_execz .LBB3_197
; %bb.196:                              ;   in Loop: Header=BB3_140 Depth=1
	s_wait_alu 0xfffe
	v_mov_b32_e32 v7, s1
	global_store_b128 v[27:28], v[7:10], off offset:8
.LBB3_197:                              ;   in Loop: Header=BB3_140 Depth=1
	s_wait_alu 0xfffe
	s_or_b32 exec_lo, exec_lo, s14
	v_cmp_lt_u64_e64 vcc_lo, s[4:5], 57
	v_lshlrev_b64_e32 v[29:30], 12, v[29:30]
	v_and_b32_e32 v3, 0xffffff1f, v3
	s_lshl_b32 s1, s10, 2
	s_wait_alu 0xfffe
	s_add_co_i32 s1, s1, 28
	s_wait_alu 0xfffd
	v_cndmask_b32_e32 v7, 0, v33, vcc_lo
	v_add_co_u32 v25, vcc_lo, v25, v29
	s_wait_alu 0xfffd
	v_add_co_ci_u32_e64 v26, null, v26, v30, vcc_lo
	s_delay_alu instid0(VALU_DEP_3) | instskip(NEXT) | instid1(VALU_DEP_3)
	v_or_b32_e32 v3, v3, v7
	v_readfirstlane_b32 s14, v25
	s_delay_alu instid0(VALU_DEP_3) | instskip(SKIP_1) | instid1(VALU_DEP_3)
	v_readfirstlane_b32 s15, v26
	s_wait_alu 0xfffe
	v_and_or_b32 v3, 0x1e0, s1, v3
	s_clause 0x3
	global_store_b128 v31, v[3:6], s[14:15]
	global_store_b128 v31, v[11:14], s[14:15] offset:16
	global_store_b128 v31, v[15:18], s[14:15] offset:32
	;; [unrolled: 1-line block ×3, first 2 shown]
	s_and_saveexec_b32 s1, s0
	s_cbranch_execz .LBB3_205
; %bb.198:                              ;   in Loop: Header=BB3_140 Depth=1
	s_clause 0x1
	global_load_b64 v[15:16], v8, s[2:3] offset:32 scope:SCOPE_SYS
	global_load_b64 v[3:4], v8, s[2:3] offset:40
	s_mov_b32 s14, exec_lo
	v_dual_mov_b32 v13, s12 :: v_dual_mov_b32 v14, s13
	s_wait_loadcnt 0x0
	v_and_b32_e32 v3, s12, v3
	v_and_b32_e32 v4, s13, v4
	s_delay_alu instid0(VALU_DEP_2) | instskip(NEXT) | instid1(VALU_DEP_2)
	v_mul_lo_u32 v5, 0, v3
	v_mul_lo_u32 v4, 24, v4
	v_mul_hi_u32 v6, 24, v3
	v_mul_lo_u32 v3, 24, v3
	s_delay_alu instid0(VALU_DEP_3) | instskip(NEXT) | instid1(VALU_DEP_2)
	v_add_nc_u32_e32 v4, v4, v5
	v_add_co_u32 v11, vcc_lo, v23, v3
	s_delay_alu instid0(VALU_DEP_2) | instskip(SKIP_1) | instid1(VALU_DEP_1)
	v_add_nc_u32_e32 v4, v4, v6
	s_wait_alu 0xfffd
	v_add_co_ci_u32_e64 v12, null, v24, v4, vcc_lo
	global_store_b64 v[11:12], v[15:16], off
	global_wb scope:SCOPE_SYS
	s_wait_storecnt 0x0
	global_atomic_cmpswap_b64 v[5:6], v8, v[13:16], s[2:3] offset:32 th:TH_ATOMIC_RETURN scope:SCOPE_SYS
	s_wait_loadcnt 0x0
	v_cmpx_ne_u64_e64 v[5:6], v[15:16]
	s_cbranch_execz .LBB3_201
; %bb.199:                              ;   in Loop: Header=BB3_140 Depth=1
	s_mov_b32 s15, 0
.LBB3_200:                              ;   Parent Loop BB3_140 Depth=1
                                        ; =>  This Inner Loop Header: Depth=2
	v_dual_mov_b32 v3, s12 :: v_dual_mov_b32 v4, s13
	s_sleep 1
	global_store_b64 v[11:12], v[5:6], off
	global_wb scope:SCOPE_SYS
	s_wait_storecnt 0x0
	global_atomic_cmpswap_b64 v[3:4], v8, v[3:6], s[2:3] offset:32 th:TH_ATOMIC_RETURN scope:SCOPE_SYS
	s_wait_loadcnt 0x0
	v_cmp_eq_u64_e32 vcc_lo, v[3:4], v[5:6]
	v_dual_mov_b32 v6, v4 :: v_dual_mov_b32 v5, v3
	s_wait_alu 0xfffe
	s_or_b32 s15, vcc_lo, s15
	s_wait_alu 0xfffe
	s_and_not1_b32 exec_lo, exec_lo, s15
	s_cbranch_execnz .LBB3_200
.LBB3_201:                              ;   in Loop: Header=BB3_140 Depth=1
	s_wait_alu 0xfffe
	s_or_b32 exec_lo, exec_lo, s14
	global_load_b64 v[3:4], v8, s[2:3] offset:16
	s_mov_b32 s15, exec_lo
	s_mov_b32 s14, exec_lo
	s_wait_alu 0xfffe
	v_mbcnt_lo_u32_b32 v5, s15, 0
	s_delay_alu instid0(VALU_DEP_1)
	v_cmpx_eq_u32_e32 0, v5
	s_cbranch_execz .LBB3_203
; %bb.202:                              ;   in Loop: Header=BB3_140 Depth=1
	s_bcnt1_i32_b32 s15, s15
	s_wait_alu 0xfffe
	v_mov_b32_e32 v7, s15
	global_wb scope:SCOPE_SYS
	s_wait_loadcnt 0x0
	s_wait_storecnt 0x0
	global_atomic_add_u64 v[3:4], v[7:8], off offset:8 scope:SCOPE_SYS
.LBB3_203:                              ;   in Loop: Header=BB3_140 Depth=1
	s_or_b32 exec_lo, exec_lo, s14
	s_wait_loadcnt 0x0
	global_load_b64 v[5:6], v[3:4], off offset:16
	s_wait_loadcnt 0x0
	v_cmp_eq_u64_e32 vcc_lo, 0, v[5:6]
	s_cbranch_vccnz .LBB3_205
; %bb.204:                              ;   in Loop: Header=BB3_140 Depth=1
	global_load_b32 v7, v[3:4], off offset:24
	s_wait_loadcnt 0x0
	v_readfirstlane_b32 s14, v7
	global_wb scope:SCOPE_SYS
	s_wait_storecnt 0x0
	global_store_b64 v[5:6], v[7:8], off scope:SCOPE_SYS
	s_and_b32 m0, s14, 0xffffff
	s_sendmsg sendmsg(MSG_INTERRUPT)
.LBB3_205:                              ;   in Loop: Header=BB3_140 Depth=1
	s_wait_alu 0xfffe
	s_or_b32 exec_lo, exec_lo, s1
	v_add_co_u32 v3, vcc_lo, v25, v31
	s_wait_alu 0xfffd
	v_add_co_ci_u32_e64 v4, null, 0, v26, vcc_lo
	s_branch .LBB3_209
.LBB3_206:                              ;   in Loop: Header=BB3_209 Depth=2
	s_wait_alu 0xfffe
	s_or_b32 exec_lo, exec_lo, s1
	s_delay_alu instid0(VALU_DEP_1)
	v_readfirstlane_b32 s1, v5
	s_cmp_eq_u32 s1, 0
	s_cbranch_scc1 .LBB3_208
; %bb.207:                              ;   in Loop: Header=BB3_209 Depth=2
	s_sleep 1
	s_cbranch_execnz .LBB3_209
	s_branch .LBB3_211
.LBB3_208:                              ;   in Loop: Header=BB3_140 Depth=1
	s_branch .LBB3_211
.LBB3_209:                              ;   Parent Loop BB3_140 Depth=1
                                        ; =>  This Inner Loop Header: Depth=2
	v_mov_b32_e32 v5, 1
	s_and_saveexec_b32 s1, s0
	s_cbranch_execz .LBB3_206
; %bb.210:                              ;   in Loop: Header=BB3_209 Depth=2
	global_load_b32 v5, v[27:28], off offset:20 scope:SCOPE_SYS
	s_wait_loadcnt 0x0
	global_inv scope:SCOPE_SYS
	v_and_b32_e32 v5, 1, v5
	s_branch .LBB3_206
.LBB3_211:                              ;   in Loop: Header=BB3_140 Depth=1
	global_load_b64 v[3:4], v[3:4], off
	s_and_saveexec_b32 s14, s0
	s_cbranch_execz .LBB3_139
; %bb.212:                              ;   in Loop: Header=BB3_140 Depth=1
	s_clause 0x2
	global_load_b64 v[5:6], v8, s[2:3] offset:40
	global_load_b64 v[15:16], v8, s[2:3] offset:24 scope:SCOPE_SYS
	global_load_b64 v[11:12], v8, s[2:3]
	s_wait_loadcnt 0x2
	v_readfirstlane_b32 s16, v5
	v_readfirstlane_b32 s17, v6
	s_add_nc_u64 s[0:1], s[16:17], 1
	s_wait_alu 0xfffe
	s_add_nc_u64 s[12:13], s[0:1], s[12:13]
	s_wait_alu 0xfffe
	s_cmp_eq_u64 s[12:13], 0
	s_cselect_b32 s1, s1, s13
	s_cselect_b32 s0, s0, s12
	s_wait_alu 0xfffe
	v_dual_mov_b32 v14, s1 :: v_dual_mov_b32 v13, s0
	s_and_b64 s[12:13], s[0:1], s[16:17]
	s_wait_alu 0xfffe
	s_mul_u64 s[12:13], s[12:13], 24
	s_wait_loadcnt 0x0
	s_wait_alu 0xfffe
	v_add_co_u32 v5, vcc_lo, v11, s12
	s_wait_alu 0xfffd
	v_add_co_ci_u32_e64 v6, null, s13, v12, vcc_lo
	global_store_b64 v[5:6], v[15:16], off
	global_wb scope:SCOPE_SYS
	s_wait_storecnt 0x0
	global_atomic_cmpswap_b64 v[13:14], v8, v[13:16], s[2:3] offset:24 th:TH_ATOMIC_RETURN scope:SCOPE_SYS
	s_wait_loadcnt 0x0
	v_cmp_ne_u64_e32 vcc_lo, v[13:14], v[15:16]
	s_and_b32 exec_lo, exec_lo, vcc_lo
	s_cbranch_execz .LBB3_139
; %bb.213:                              ;   in Loop: Header=BB3_140 Depth=1
	s_mov_b32 s12, 0
.LBB3_214:                              ;   Parent Loop BB3_140 Depth=1
                                        ; =>  This Inner Loop Header: Depth=2
	v_dual_mov_b32 v11, s0 :: v_dual_mov_b32 v12, s1
	s_sleep 1
	global_store_b64 v[5:6], v[13:14], off
	global_wb scope:SCOPE_SYS
	s_wait_storecnt 0x0
	global_atomic_cmpswap_b64 v[11:12], v8, v[11:14], s[2:3] offset:24 th:TH_ATOMIC_RETURN scope:SCOPE_SYS
	s_wait_loadcnt 0x0
	v_cmp_eq_u64_e32 vcc_lo, v[11:12], v[13:14]
	v_dual_mov_b32 v14, v12 :: v_dual_mov_b32 v13, v11
	s_wait_alu 0xfffe
	s_or_b32 s12, vcc_lo, s12
	s_wait_alu 0xfffe
	s_and_not1_b32 exec_lo, exec_lo, s12
	s_cbranch_execnz .LBB3_214
	s_branch .LBB3_139
.LBB3_215:
                                        ; implicit-def: $vgpr3_vgpr4
	s_cbranch_execnz .LBB3_217
	s_branch .LBB3_244
.LBB3_216:
	s_branch .LBB3_244
.LBB3_217:
	v_readfirstlane_b32 s0, v32
	v_mov_b32_e32 v9, 0
	v_mov_b32_e32 v10, 0
	s_wait_alu 0xf1ff
	s_delay_alu instid0(VALU_DEP_3)
	v_cmp_eq_u32_e64 s0, s0, v32
	s_and_saveexec_b32 s1, s0
	s_cbranch_execz .LBB3_223
; %bb.218:
	s_wait_loadcnt 0x0
	v_mov_b32_e32 v3, 0
	s_mov_b32 s4, exec_lo
	global_load_b64 v[6:7], v3, s[2:3] offset:24 scope:SCOPE_SYS
	s_wait_loadcnt 0x0
	global_inv scope:SCOPE_SYS
	s_clause 0x1
	global_load_b64 v[4:5], v3, s[2:3] offset:40
	global_load_b64 v[8:9], v3, s[2:3]
	s_wait_loadcnt 0x1
	v_and_b32_e32 v5, v5, v7
	v_and_b32_e32 v4, v4, v6
	s_delay_alu instid0(VALU_DEP_2) | instskip(NEXT) | instid1(VALU_DEP_2)
	v_mul_lo_u32 v5, 24, v5
	v_mul_lo_u32 v10, 0, v4
	v_mul_hi_u32 v11, 24, v4
	v_mul_lo_u32 v4, 24, v4
	s_delay_alu instid0(VALU_DEP_3) | instskip(SKIP_1) | instid1(VALU_DEP_2)
	v_add_nc_u32_e32 v5, v5, v10
	s_wait_loadcnt 0x0
	v_add_co_u32 v4, vcc_lo, v8, v4
	s_delay_alu instid0(VALU_DEP_2) | instskip(SKIP_1) | instid1(VALU_DEP_1)
	v_add_nc_u32_e32 v5, v5, v11
	s_wait_alu 0xfffd
	v_add_co_ci_u32_e64 v5, null, v9, v5, vcc_lo
	global_load_b64 v[4:5], v[4:5], off scope:SCOPE_SYS
	s_wait_loadcnt 0x0
	global_atomic_cmpswap_b64 v[9:10], v3, v[4:7], s[2:3] offset:24 th:TH_ATOMIC_RETURN scope:SCOPE_SYS
	s_wait_loadcnt 0x0
	global_inv scope:SCOPE_SYS
	v_cmpx_ne_u64_e64 v[9:10], v[6:7]
	s_cbranch_execz .LBB3_222
; %bb.219:
	s_mov_b32 s5, 0
.LBB3_220:                              ; =>This Inner Loop Header: Depth=1
	s_sleep 1
	s_clause 0x1
	global_load_b64 v[4:5], v3, s[2:3] offset:40
	global_load_b64 v[11:12], v3, s[2:3]
	v_dual_mov_b32 v6, v9 :: v_dual_mov_b32 v7, v10
	s_wait_loadcnt 0x1
	s_delay_alu instid0(VALU_DEP_1) | instskip(NEXT) | instid1(VALU_DEP_2)
	v_and_b32_e32 v4, v4, v6
	v_and_b32_e32 v5, v5, v7
	s_wait_loadcnt 0x0
	s_delay_alu instid0(VALU_DEP_2) | instskip(NEXT) | instid1(VALU_DEP_1)
	v_mad_co_u64_u32 v[8:9], null, v4, 24, v[11:12]
	v_mov_b32_e32 v4, v9
	s_delay_alu instid0(VALU_DEP_1) | instskip(NEXT) | instid1(VALU_DEP_1)
	v_mad_co_u64_u32 v[4:5], null, v5, 24, v[4:5]
	v_mov_b32_e32 v9, v4
	global_load_b64 v[4:5], v[8:9], off scope:SCOPE_SYS
	s_wait_loadcnt 0x0
	global_atomic_cmpswap_b64 v[9:10], v3, v[4:7], s[2:3] offset:24 th:TH_ATOMIC_RETURN scope:SCOPE_SYS
	s_wait_loadcnt 0x0
	global_inv scope:SCOPE_SYS
	v_cmp_eq_u64_e32 vcc_lo, v[9:10], v[6:7]
	s_wait_alu 0xfffe
	s_or_b32 s5, vcc_lo, s5
	s_wait_alu 0xfffe
	s_and_not1_b32 exec_lo, exec_lo, s5
	s_cbranch_execnz .LBB3_220
; %bb.221:
	s_or_b32 exec_lo, exec_lo, s5
.LBB3_222:
	s_wait_alu 0xfffe
	s_or_b32 exec_lo, exec_lo, s4
.LBB3_223:
	s_wait_alu 0xfffe
	s_or_b32 exec_lo, exec_lo, s1
	v_readfirstlane_b32 s5, v10
	s_wait_loadcnt 0x0
	v_mov_b32_e32 v3, 0
	v_readfirstlane_b32 s4, v9
	s_mov_b32 s1, exec_lo
	s_clause 0x1
	global_load_b64 v[11:12], v3, s[2:3] offset:40
	global_load_b128 v[5:8], v3, s[2:3]
	s_wait_loadcnt 0x1
	s_wait_alu 0xf1ff
	v_and_b32_e32 v12, s5, v12
	v_and_b32_e32 v11, s4, v11
	s_delay_alu instid0(VALU_DEP_2) | instskip(NEXT) | instid1(VALU_DEP_2)
	v_mul_lo_u32 v4, 24, v12
	v_mul_lo_u32 v9, 0, v11
	v_mul_hi_u32 v10, 24, v11
	v_mul_lo_u32 v13, 24, v11
	s_delay_alu instid0(VALU_DEP_3) | instskip(SKIP_1) | instid1(VALU_DEP_2)
	v_add_nc_u32_e32 v4, v4, v9
	s_wait_loadcnt 0x0
	v_add_co_u32 v9, vcc_lo, v5, v13
	s_delay_alu instid0(VALU_DEP_2) | instskip(SKIP_1) | instid1(VALU_DEP_1)
	v_add_nc_u32_e32 v4, v4, v10
	s_wait_alu 0xfffd
	v_add_co_ci_u32_e64 v10, null, v6, v4, vcc_lo
	s_and_saveexec_b32 s6, s0
	s_cbranch_execz .LBB3_225
; %bb.224:
	s_wait_alu 0xfffe
	v_dual_mov_b32 v13, s1 :: v_dual_mov_b32 v14, v3
	v_dual_mov_b32 v15, 2 :: v_dual_mov_b32 v16, 1
	global_store_b128 v[9:10], v[13:16], off offset:8
.LBB3_225:
	s_wait_alu 0xfffe
	s_or_b32 exec_lo, exec_lo, s6
	v_lshlrev_b64_e32 v[11:12], 12, v[11:12]
	s_mov_b32 s12, 0
	v_and_or_b32 v1, 0xffffff1f, v1, 32
	s_wait_alu 0xfffe
	s_mov_b32 s13, s12
	s_mov_b32 s14, s12
	;; [unrolled: 1-line block ×3, first 2 shown]
	v_add_co_u32 v7, vcc_lo, v7, v11
	s_wait_alu 0xfffd
	v_add_co_ci_u32_e64 v8, null, v8, v12, vcc_lo
	v_dual_mov_b32 v4, v3 :: v_dual_mov_b32 v11, s12
	s_delay_alu instid0(VALU_DEP_3) | instskip(SKIP_1) | instid1(VALU_DEP_4)
	v_readfirstlane_b32 s6, v7
	v_add_co_u32 v7, vcc_lo, v7, v31
	v_readfirstlane_b32 s7, v8
	s_wait_alu 0xfffd
	v_add_co_ci_u32_e64 v8, null, 0, v8, vcc_lo
	s_wait_alu 0xfffe
	v_dual_mov_b32 v12, s13 :: v_dual_mov_b32 v13, s14
	v_mov_b32_e32 v14, s15
	s_clause 0x3
	global_store_b128 v31, v[1:4], s[6:7]
	global_store_b128 v31, v[11:14], s[6:7] offset:16
	global_store_b128 v31, v[11:14], s[6:7] offset:32
	global_store_b128 v31, v[11:14], s[6:7] offset:48
	s_and_saveexec_b32 s1, s0
	s_cbranch_execz .LBB3_233
; %bb.226:
	v_mov_b32_e32 v11, 0
	s_mov_b32 s6, exec_lo
	s_clause 0x1
	global_load_b64 v[14:15], v11, s[2:3] offset:32 scope:SCOPE_SYS
	global_load_b64 v[1:2], v11, s[2:3] offset:40
	v_dual_mov_b32 v12, s4 :: v_dual_mov_b32 v13, s5
	s_wait_loadcnt 0x0
	v_and_b32_e32 v2, s5, v2
	v_and_b32_e32 v1, s4, v1
	s_delay_alu instid0(VALU_DEP_2) | instskip(NEXT) | instid1(VALU_DEP_2)
	v_mul_lo_u32 v2, 24, v2
	v_mul_lo_u32 v3, 0, v1
	v_mul_hi_u32 v4, 24, v1
	v_mul_lo_u32 v1, 24, v1
	s_delay_alu instid0(VALU_DEP_3) | instskip(NEXT) | instid1(VALU_DEP_2)
	v_add_nc_u32_e32 v2, v2, v3
	v_add_co_u32 v5, vcc_lo, v5, v1
	s_delay_alu instid0(VALU_DEP_2) | instskip(SKIP_1) | instid1(VALU_DEP_1)
	v_add_nc_u32_e32 v2, v2, v4
	s_wait_alu 0xfffd
	v_add_co_ci_u32_e64 v6, null, v6, v2, vcc_lo
	global_store_b64 v[5:6], v[14:15], off
	global_wb scope:SCOPE_SYS
	s_wait_storecnt 0x0
	global_atomic_cmpswap_b64 v[3:4], v11, v[12:15], s[2:3] offset:32 th:TH_ATOMIC_RETURN scope:SCOPE_SYS
	s_wait_loadcnt 0x0
	v_cmpx_ne_u64_e64 v[3:4], v[14:15]
	s_cbranch_execz .LBB3_229
; %bb.227:
	s_mov_b32 s7, 0
.LBB3_228:                              ; =>This Inner Loop Header: Depth=1
	v_dual_mov_b32 v1, s4 :: v_dual_mov_b32 v2, s5
	s_sleep 1
	global_store_b64 v[5:6], v[3:4], off
	global_wb scope:SCOPE_SYS
	s_wait_storecnt 0x0
	global_atomic_cmpswap_b64 v[1:2], v11, v[1:4], s[2:3] offset:32 th:TH_ATOMIC_RETURN scope:SCOPE_SYS
	s_wait_loadcnt 0x0
	v_cmp_eq_u64_e32 vcc_lo, v[1:2], v[3:4]
	v_dual_mov_b32 v4, v2 :: v_dual_mov_b32 v3, v1
	s_wait_alu 0xfffe
	s_or_b32 s7, vcc_lo, s7
	s_wait_alu 0xfffe
	s_and_not1_b32 exec_lo, exec_lo, s7
	s_cbranch_execnz .LBB3_228
.LBB3_229:
	s_wait_alu 0xfffe
	s_or_b32 exec_lo, exec_lo, s6
	v_mov_b32_e32 v4, 0
	s_mov_b32 s7, exec_lo
	s_mov_b32 s6, exec_lo
	s_wait_alu 0xfffe
	v_mbcnt_lo_u32_b32 v3, s7, 0
	global_load_b64 v[1:2], v4, s[2:3] offset:16
	v_cmpx_eq_u32_e32 0, v3
	s_cbranch_execz .LBB3_231
; %bb.230:
	s_bcnt1_i32_b32 s7, s7
	s_wait_alu 0xfffe
	v_mov_b32_e32 v3, s7
	global_wb scope:SCOPE_SYS
	s_wait_loadcnt 0x0
	s_wait_storecnt 0x0
	global_atomic_add_u64 v[1:2], v[3:4], off offset:8 scope:SCOPE_SYS
.LBB3_231:
	s_or_b32 exec_lo, exec_lo, s6
	s_wait_loadcnt 0x0
	global_load_b64 v[3:4], v[1:2], off offset:16
	s_wait_loadcnt 0x0
	v_cmp_eq_u64_e32 vcc_lo, 0, v[3:4]
	s_cbranch_vccnz .LBB3_233
; %bb.232:
	global_load_b32 v1, v[1:2], off offset:24
	v_mov_b32_e32 v2, 0
	s_wait_loadcnt 0x0
	v_readfirstlane_b32 s6, v1
	global_wb scope:SCOPE_SYS
	s_wait_storecnt 0x0
	global_store_b64 v[3:4], v[1:2], off scope:SCOPE_SYS
	s_and_b32 m0, s6, 0xffffff
	s_sendmsg sendmsg(MSG_INTERRUPT)
.LBB3_233:
	s_wait_alu 0xfffe
	s_or_b32 exec_lo, exec_lo, s1
	s_branch .LBB3_237
.LBB3_234:                              ;   in Loop: Header=BB3_237 Depth=1
	s_wait_alu 0xfffe
	s_or_b32 exec_lo, exec_lo, s1
	s_delay_alu instid0(VALU_DEP_1)
	v_readfirstlane_b32 s1, v1
	s_cmp_eq_u32 s1, 0
	s_cbranch_scc1 .LBB3_236
; %bb.235:                              ;   in Loop: Header=BB3_237 Depth=1
	s_sleep 1
	s_cbranch_execnz .LBB3_237
	s_branch .LBB3_239
.LBB3_236:
	s_branch .LBB3_239
.LBB3_237:                              ; =>This Inner Loop Header: Depth=1
	v_mov_b32_e32 v1, 1
	s_and_saveexec_b32 s1, s0
	s_cbranch_execz .LBB3_234
; %bb.238:                              ;   in Loop: Header=BB3_237 Depth=1
	global_load_b32 v1, v[9:10], off offset:20 scope:SCOPE_SYS
	s_wait_loadcnt 0x0
	global_inv scope:SCOPE_SYS
	v_and_b32_e32 v1, 1, v1
	s_branch .LBB3_234
.LBB3_239:
	global_load_b64 v[3:4], v[7:8], off
	s_and_saveexec_b32 s6, s0
	s_cbranch_execz .LBB3_243
; %bb.240:
	v_mov_b32_e32 v9, 0
	s_clause 0x2
	global_load_b64 v[1:2], v9, s[2:3] offset:40
	global_load_b64 v[12:13], v9, s[2:3] offset:24 scope:SCOPE_SYS
	global_load_b64 v[5:6], v9, s[2:3]
	s_wait_loadcnt 0x2
	v_readfirstlane_b32 s10, v1
	v_readfirstlane_b32 s11, v2
	s_add_nc_u64 s[0:1], s[10:11], 1
	s_wait_alu 0xfffe
	s_add_nc_u64 s[4:5], s[0:1], s[4:5]
	s_wait_alu 0xfffe
	s_cmp_eq_u64 s[4:5], 0
	s_cselect_b32 s1, s1, s5
	s_cselect_b32 s0, s0, s4
	s_wait_alu 0xfffe
	v_mov_b32_e32 v11, s1
	s_and_b64 s[4:5], s[0:1], s[10:11]
	v_mov_b32_e32 v10, s0
	s_wait_alu 0xfffe
	s_mul_u64 s[4:5], s[4:5], 24
	s_wait_loadcnt 0x0
	s_wait_alu 0xfffe
	v_add_co_u32 v1, vcc_lo, v5, s4
	s_wait_alu 0xfffd
	v_add_co_ci_u32_e64 v2, null, s5, v6, vcc_lo
	global_store_b64 v[1:2], v[12:13], off
	global_wb scope:SCOPE_SYS
	s_wait_storecnt 0x0
	global_atomic_cmpswap_b64 v[7:8], v9, v[10:13], s[2:3] offset:24 th:TH_ATOMIC_RETURN scope:SCOPE_SYS
	s_wait_loadcnt 0x0
	v_cmp_ne_u64_e32 vcc_lo, v[7:8], v[12:13]
	s_and_b32 exec_lo, exec_lo, vcc_lo
	s_cbranch_execz .LBB3_243
; %bb.241:
	s_mov_b32 s4, 0
.LBB3_242:                              ; =>This Inner Loop Header: Depth=1
	v_dual_mov_b32 v5, s0 :: v_dual_mov_b32 v6, s1
	s_sleep 1
	global_store_b64 v[1:2], v[7:8], off
	global_wb scope:SCOPE_SYS
	s_wait_storecnt 0x0
	global_atomic_cmpswap_b64 v[5:6], v9, v[5:8], s[2:3] offset:24 th:TH_ATOMIC_RETURN scope:SCOPE_SYS
	s_wait_loadcnt 0x0
	v_cmp_eq_u64_e32 vcc_lo, v[5:6], v[7:8]
	v_dual_mov_b32 v8, v6 :: v_dual_mov_b32 v7, v5
	s_wait_alu 0xfffe
	s_or_b32 s4, vcc_lo, s4
	s_wait_alu 0xfffe
	s_and_not1_b32 exec_lo, exec_lo, s4
	s_cbranch_execnz .LBB3_242
.LBB3_243:
	s_wait_alu 0xfffe
	s_or_b32 exec_lo, exec_lo, s6
.LBB3_244:
	v_readfirstlane_b32 s0, v32
	s_wait_loadcnt 0x0
	v_mov_b32_e32 v1, 0
	v_mov_b32_e32 v2, 0
	s_wait_alu 0xf1ff
	v_cmp_eq_u32_e64 s0, s0, v32
	s_and_saveexec_b32 s1, s0
	s_cbranch_execz .LBB3_250
; %bb.245:
	v_mov_b32_e32 v5, 0
	s_mov_b32 s4, exec_lo
	global_load_b64 v[8:9], v5, s[2:3] offset:24 scope:SCOPE_SYS
	s_wait_loadcnt 0x0
	global_inv scope:SCOPE_SYS
	s_clause 0x1
	global_load_b64 v[1:2], v5, s[2:3] offset:40
	global_load_b64 v[6:7], v5, s[2:3]
	s_wait_loadcnt 0x1
	v_and_b32_e32 v2, v2, v9
	v_and_b32_e32 v1, v1, v8
	s_delay_alu instid0(VALU_DEP_2) | instskip(NEXT) | instid1(VALU_DEP_2)
	v_mul_lo_u32 v2, 24, v2
	v_mul_lo_u32 v10, 0, v1
	v_mul_hi_u32 v11, 24, v1
	v_mul_lo_u32 v1, 24, v1
	s_delay_alu instid0(VALU_DEP_3) | instskip(SKIP_1) | instid1(VALU_DEP_2)
	v_add_nc_u32_e32 v2, v2, v10
	s_wait_loadcnt 0x0
	v_add_co_u32 v1, vcc_lo, v6, v1
	s_delay_alu instid0(VALU_DEP_2) | instskip(SKIP_1) | instid1(VALU_DEP_1)
	v_add_nc_u32_e32 v2, v2, v11
	s_wait_alu 0xfffd
	v_add_co_ci_u32_e64 v2, null, v7, v2, vcc_lo
	global_load_b64 v[6:7], v[1:2], off scope:SCOPE_SYS
	s_wait_loadcnt 0x0
	global_atomic_cmpswap_b64 v[1:2], v5, v[6:9], s[2:3] offset:24 th:TH_ATOMIC_RETURN scope:SCOPE_SYS
	s_wait_loadcnt 0x0
	global_inv scope:SCOPE_SYS
	v_cmpx_ne_u64_e64 v[1:2], v[8:9]
	s_cbranch_execz .LBB3_249
; %bb.246:
	s_mov_b32 s5, 0
.LBB3_247:                              ; =>This Inner Loop Header: Depth=1
	s_sleep 1
	s_clause 0x1
	global_load_b64 v[6:7], v5, s[2:3] offset:40
	global_load_b64 v[10:11], v5, s[2:3]
	v_dual_mov_b32 v9, v2 :: v_dual_mov_b32 v8, v1
	s_wait_loadcnt 0x1
	s_delay_alu instid0(VALU_DEP_1) | instskip(NEXT) | instid1(VALU_DEP_2)
	v_and_b32_e32 v1, v6, v8
	v_and_b32_e32 v6, v7, v9
	s_wait_loadcnt 0x0
	s_delay_alu instid0(VALU_DEP_2) | instskip(NEXT) | instid1(VALU_DEP_1)
	v_mad_co_u64_u32 v[1:2], null, v1, 24, v[10:11]
	v_mad_co_u64_u32 v[6:7], null, v6, 24, v[2:3]
	s_delay_alu instid0(VALU_DEP_1)
	v_mov_b32_e32 v2, v6
	global_load_b64 v[6:7], v[1:2], off scope:SCOPE_SYS
	s_wait_loadcnt 0x0
	global_atomic_cmpswap_b64 v[1:2], v5, v[6:9], s[2:3] offset:24 th:TH_ATOMIC_RETURN scope:SCOPE_SYS
	s_wait_loadcnt 0x0
	global_inv scope:SCOPE_SYS
	v_cmp_eq_u64_e32 vcc_lo, v[1:2], v[8:9]
	s_wait_alu 0xfffe
	s_or_b32 s5, vcc_lo, s5
	s_wait_alu 0xfffe
	s_and_not1_b32 exec_lo, exec_lo, s5
	s_cbranch_execnz .LBB3_247
; %bb.248:
	s_or_b32 exec_lo, exec_lo, s5
.LBB3_249:
	s_wait_alu 0xfffe
	s_or_b32 exec_lo, exec_lo, s4
.LBB3_250:
	s_wait_alu 0xfffe
	s_or_b32 exec_lo, exec_lo, s1
	v_readfirstlane_b32 s4, v1
	v_mov_b32_e32 v6, 0
	v_readfirstlane_b32 s5, v2
	s_mov_b32 s1, exec_lo
	s_clause 0x1
	global_load_b64 v[11:12], v6, s[2:3] offset:40
	global_load_b128 v[7:10], v6, s[2:3]
	s_wait_loadcnt 0x1
	s_wait_alu 0xf1ff
	v_and_b32_e32 v2, s5, v12
	v_and_b32_e32 v1, s4, v11
	s_delay_alu instid0(VALU_DEP_2) | instskip(NEXT) | instid1(VALU_DEP_2)
	v_mul_lo_u32 v5, 24, v2
	v_mul_lo_u32 v11, 0, v1
	v_mul_hi_u32 v12, 24, v1
	v_mul_lo_u32 v13, 24, v1
	s_delay_alu instid0(VALU_DEP_3) | instskip(SKIP_1) | instid1(VALU_DEP_2)
	v_add_nc_u32_e32 v5, v5, v11
	s_wait_loadcnt 0x0
	v_add_co_u32 v11, vcc_lo, v7, v13
	s_delay_alu instid0(VALU_DEP_2) | instskip(SKIP_1) | instid1(VALU_DEP_1)
	v_add_nc_u32_e32 v5, v5, v12
	s_wait_alu 0xfffd
	v_add_co_ci_u32_e64 v12, null, v8, v5, vcc_lo
	s_and_saveexec_b32 s6, s0
	s_cbranch_execz .LBB3_252
; %bb.251:
	s_wait_alu 0xfffe
	v_dual_mov_b32 v5, s1 :: v_dual_mov_b32 v16, 1
	v_dual_mov_b32 v15, 2 :: v_dual_mov_b32 v14, v6
	s_delay_alu instid0(VALU_DEP_2)
	v_mov_b32_e32 v13, v5
	global_store_b128 v[11:12], v[13:16], off offset:8
.LBB3_252:
	s_wait_alu 0xfffe
	s_or_b32 exec_lo, exec_lo, s6
	v_lshlrev_b64_e32 v[1:2], 12, v[1:2]
	s_mov_b32 s12, 0
	v_and_or_b32 v3, 0xffffff1f, v3, 32
	s_wait_alu 0xfffe
	s_mov_b32 s13, s12
	s_mov_b32 s14, s12
	;; [unrolled: 1-line block ×3, first 2 shown]
	s_wait_alu 0xfffe
	v_dual_mov_b32 v5, v0 :: v_dual_mov_b32 v16, s15
	v_add_co_u32 v0, vcc_lo, v9, v1
	s_wait_alu 0xfffd
	v_add_co_ci_u32_e64 v1, null, v10, v2, vcc_lo
	v_dual_mov_b32 v15, s14 :: v_dual_mov_b32 v14, s13
	s_delay_alu instid0(VALU_DEP_3) | instskip(SKIP_1) | instid1(VALU_DEP_4)
	v_add_co_u32 v9, vcc_lo, v0, v31
	v_readfirstlane_b32 s6, v0
	v_readfirstlane_b32 s7, v1
	s_wait_alu 0xfffd
	v_add_co_ci_u32_e64 v10, null, 0, v1, vcc_lo
	v_mov_b32_e32 v13, s12
	s_clause 0x3
	global_store_b128 v31, v[3:6], s[6:7]
	global_store_b128 v31, v[13:16], s[6:7] offset:16
	global_store_b128 v31, v[13:16], s[6:7] offset:32
	global_store_b128 v31, v[13:16], s[6:7] offset:48
	s_and_saveexec_b32 s1, s0
	s_cbranch_execz .LBB3_260
; %bb.253:
	v_mov_b32_e32 v6, 0
	s_mov_b32 s6, exec_lo
	s_clause 0x1
	global_load_b64 v[15:16], v6, s[2:3] offset:32 scope:SCOPE_SYS
	global_load_b64 v[0:1], v6, s[2:3] offset:40
	v_dual_mov_b32 v13, s4 :: v_dual_mov_b32 v14, s5
	s_wait_loadcnt 0x0
	v_and_b32_e32 v1, s5, v1
	v_and_b32_e32 v0, s4, v0
	s_delay_alu instid0(VALU_DEP_2) | instskip(NEXT) | instid1(VALU_DEP_2)
	v_mul_lo_u32 v1, 24, v1
	v_mul_lo_u32 v2, 0, v0
	v_mul_hi_u32 v3, 24, v0
	v_mul_lo_u32 v0, 24, v0
	s_delay_alu instid0(VALU_DEP_3) | instskip(NEXT) | instid1(VALU_DEP_2)
	v_add_nc_u32_e32 v1, v1, v2
	v_add_co_u32 v4, vcc_lo, v7, v0
	s_delay_alu instid0(VALU_DEP_2) | instskip(SKIP_1) | instid1(VALU_DEP_1)
	v_add_nc_u32_e32 v1, v1, v3
	s_wait_alu 0xfffd
	v_add_co_ci_u32_e64 v5, null, v8, v1, vcc_lo
	global_store_b64 v[4:5], v[15:16], off
	global_wb scope:SCOPE_SYS
	s_wait_storecnt 0x0
	global_atomic_cmpswap_b64 v[2:3], v6, v[13:16], s[2:3] offset:32 th:TH_ATOMIC_RETURN scope:SCOPE_SYS
	s_wait_loadcnt 0x0
	v_cmpx_ne_u64_e64 v[2:3], v[15:16]
	s_cbranch_execz .LBB3_256
; %bb.254:
	s_mov_b32 s7, 0
.LBB3_255:                              ; =>This Inner Loop Header: Depth=1
	v_dual_mov_b32 v0, s4 :: v_dual_mov_b32 v1, s5
	s_sleep 1
	global_store_b64 v[4:5], v[2:3], off
	global_wb scope:SCOPE_SYS
	s_wait_storecnt 0x0
	global_atomic_cmpswap_b64 v[0:1], v6, v[0:3], s[2:3] offset:32 th:TH_ATOMIC_RETURN scope:SCOPE_SYS
	s_wait_loadcnt 0x0
	v_cmp_eq_u64_e32 vcc_lo, v[0:1], v[2:3]
	v_dual_mov_b32 v3, v1 :: v_dual_mov_b32 v2, v0
	s_wait_alu 0xfffe
	s_or_b32 s7, vcc_lo, s7
	s_wait_alu 0xfffe
	s_and_not1_b32 exec_lo, exec_lo, s7
	s_cbranch_execnz .LBB3_255
.LBB3_256:
	s_wait_alu 0xfffe
	s_or_b32 exec_lo, exec_lo, s6
	v_mov_b32_e32 v3, 0
	s_mov_b32 s7, exec_lo
	s_mov_b32 s6, exec_lo
	s_wait_alu 0xfffe
	v_mbcnt_lo_u32_b32 v2, s7, 0
	global_load_b64 v[0:1], v3, s[2:3] offset:16
	v_cmpx_eq_u32_e32 0, v2
	s_cbranch_execz .LBB3_258
; %bb.257:
	s_bcnt1_i32_b32 s7, s7
	s_wait_alu 0xfffe
	v_mov_b32_e32 v2, s7
	global_wb scope:SCOPE_SYS
	s_wait_loadcnt 0x0
	s_wait_storecnt 0x0
	global_atomic_add_u64 v[0:1], v[2:3], off offset:8 scope:SCOPE_SYS
.LBB3_258:
	s_or_b32 exec_lo, exec_lo, s6
	s_wait_loadcnt 0x0
	global_load_b64 v[2:3], v[0:1], off offset:16
	s_wait_loadcnt 0x0
	v_cmp_eq_u64_e32 vcc_lo, 0, v[2:3]
	s_cbranch_vccnz .LBB3_260
; %bb.259:
	global_load_b32 v0, v[0:1], off offset:24
	v_mov_b32_e32 v1, 0
	s_wait_loadcnt 0x0
	v_readfirstlane_b32 s6, v0
	global_wb scope:SCOPE_SYS
	s_wait_storecnt 0x0
	global_store_b64 v[2:3], v[0:1], off scope:SCOPE_SYS
	s_and_b32 m0, s6, 0xffffff
	s_sendmsg sendmsg(MSG_INTERRUPT)
.LBB3_260:
	s_wait_alu 0xfffe
	s_or_b32 exec_lo, exec_lo, s1
	s_branch .LBB3_264
.LBB3_261:                              ;   in Loop: Header=BB3_264 Depth=1
	s_wait_alu 0xfffe
	s_or_b32 exec_lo, exec_lo, s1
	s_delay_alu instid0(VALU_DEP_1)
	v_readfirstlane_b32 s1, v0
	s_cmp_eq_u32 s1, 0
	s_cbranch_scc1 .LBB3_263
; %bb.262:                              ;   in Loop: Header=BB3_264 Depth=1
	s_sleep 1
	s_cbranch_execnz .LBB3_264
	s_branch .LBB3_266
.LBB3_263:
	s_branch .LBB3_266
.LBB3_264:                              ; =>This Inner Loop Header: Depth=1
	v_mov_b32_e32 v0, 1
	s_and_saveexec_b32 s1, s0
	s_cbranch_execz .LBB3_261
; %bb.265:                              ;   in Loop: Header=BB3_264 Depth=1
	global_load_b32 v0, v[11:12], off offset:20 scope:SCOPE_SYS
	s_wait_loadcnt 0x0
	global_inv scope:SCOPE_SYS
	v_and_b32_e32 v0, 1, v0
	s_branch .LBB3_261
.LBB3_266:
	global_load_b64 v[0:1], v[9:10], off
	s_and_saveexec_b32 s6, s0
	s_cbranch_execz .LBB3_270
; %bb.267:
	v_mov_b32_e32 v8, 0
	s_clause 0x2
	global_load_b64 v[2:3], v8, s[2:3] offset:40
	global_load_b64 v[11:12], v8, s[2:3] offset:24 scope:SCOPE_SYS
	global_load_b64 v[4:5], v8, s[2:3]
	s_wait_loadcnt 0x2
	v_readfirstlane_b32 s10, v2
	v_readfirstlane_b32 s11, v3
	s_add_nc_u64 s[0:1], s[10:11], 1
	s_wait_alu 0xfffe
	s_add_nc_u64 s[4:5], s[0:1], s[4:5]
	s_wait_alu 0xfffe
	s_cmp_eq_u64 s[4:5], 0
	s_cselect_b32 s1, s1, s5
	s_cselect_b32 s0, s0, s4
	s_wait_alu 0xfffe
	v_mov_b32_e32 v10, s1
	s_and_b64 s[4:5], s[0:1], s[10:11]
	v_mov_b32_e32 v9, s0
	s_wait_alu 0xfffe
	s_mul_u64 s[4:5], s[4:5], 24
	s_wait_loadcnt 0x0
	s_wait_alu 0xfffe
	v_add_co_u32 v6, vcc_lo, v4, s4
	s_wait_alu 0xfffd
	v_add_co_ci_u32_e64 v7, null, s5, v5, vcc_lo
	global_store_b64 v[6:7], v[11:12], off
	global_wb scope:SCOPE_SYS
	s_wait_storecnt 0x0
	global_atomic_cmpswap_b64 v[4:5], v8, v[9:12], s[2:3] offset:24 th:TH_ATOMIC_RETURN scope:SCOPE_SYS
	s_wait_loadcnt 0x0
	v_cmp_ne_u64_e32 vcc_lo, v[4:5], v[11:12]
	s_and_b32 exec_lo, exec_lo, vcc_lo
	s_cbranch_execz .LBB3_270
; %bb.268:
	s_mov_b32 s4, 0
.LBB3_269:                              ; =>This Inner Loop Header: Depth=1
	v_dual_mov_b32 v2, s0 :: v_dual_mov_b32 v3, s1
	s_sleep 1
	global_store_b64 v[6:7], v[4:5], off
	global_wb scope:SCOPE_SYS
	s_wait_storecnt 0x0
	global_atomic_cmpswap_b64 v[2:3], v8, v[2:5], s[2:3] offset:24 th:TH_ATOMIC_RETURN scope:SCOPE_SYS
	s_wait_loadcnt 0x0
	v_cmp_eq_u64_e32 vcc_lo, v[2:3], v[4:5]
	v_dual_mov_b32 v5, v3 :: v_dual_mov_b32 v4, v2
	s_wait_alu 0xfffe
	s_or_b32 s4, vcc_lo, s4
	s_wait_alu 0xfffe
	s_and_not1_b32 exec_lo, exec_lo, s4
	s_cbranch_execnz .LBB3_269
.LBB3_270:
	s_wait_alu 0xfffe
	s_or_b32 exec_lo, exec_lo, s6
	s_getpc_b64 s[0:1]
	s_wait_alu 0xfffe
	s_sext_i32_i16 s1, s1
	s_add_co_u32 s0, s0, __FUNCTION__._ZL18flash_attn_ext_f16ILi64ELi64ELi32ELi2ELb1ELb0EEvPKcS1_S1_S1_S1_PKiPfP15HIP_vector_typeIfLj2EEffffjfiS5_IjLj3EEiiiiiiiiiiiliiliiiiil@rel32@lo+12
	s_wait_alu 0xfffe
	s_add_co_ci_u32 s1, s1, __FUNCTION__._ZL18flash_attn_ext_f16ILi64ELi64ELi32ELi2ELb1ELb0EEvPKcS1_S1_S1_S1_PKiPfP15HIP_vector_typeIfLj2EEffffjfiS5_IjLj3EEiiiiiiiiiiiliiliiiiil@rel32@hi+24
	s_wait_alu 0xfffe
	v_dual_mov_b32 v2, s0 :: v_dual_mov_b32 v3, s1
	s_cmp_lg_u64 s[0:1], 0
	s_mov_b64 s[14:15], s[8:9]
	s_cselect_b32 s4, 19, 0
	s_wait_alu 0xfffe
	v_dual_mov_b32 v5, 0 :: v_dual_mov_b32 v4, s4
	s_getpc_b64 s[2:3]
	s_wait_alu 0xfffe
	s_sext_i32_i16 s3, s3
	s_add_co_u32 s2, s2, __ockl_printf_append_string_n@rel32@lo+12
	s_wait_alu 0xfffe
	s_add_co_ci_u32 s3, s3, __ockl_printf_append_string_n@rel32@hi+24
	s_wait_alu 0xfffe
	s_swappc_b64 s[30:31], s[2:3]
	v_dual_mov_b32 v2, 0x514 :: v_dual_mov_b32 v3, 0
	v_mov_b32_e32 v4, 1
	s_getpc_b64 s[0:1]
	s_wait_alu 0xfffe
	s_sext_i32_i16 s1, s1
	s_add_co_u32 s0, s0, __ockl_printf_append_args@rel32@lo+12
	s_wait_alu 0xfffe
	s_add_co_ci_u32 s1, s1, __ockl_printf_append_args@rel32@hi+24
	s_mov_b64 s[8:9], s[14:15]
	s_wait_alu 0xfffe
	s_swappc_b64 s[30:31], s[0:1]
	s_trap 2
.Lfunc_end3:
	.size	_ZL14no_device_codePKciS0_iS0_, .Lfunc_end3-_ZL14no_device_codePKciS0_iS0_
                                        ; -- End function
	.set .L_ZL14no_device_codePKciS0_iS0_.num_vgpr, max(40, .L__ockl_printf_append_string_n.num_vgpr, .L__ockl_printf_append_args.num_vgpr)
	.set .L_ZL14no_device_codePKciS0_iS0_.num_agpr, max(0, .L__ockl_printf_append_string_n.num_agpr, .L__ockl_printf_append_args.num_agpr)
	.set .L_ZL14no_device_codePKciS0_iS0_.numbered_sgpr, max(34, .L__ockl_printf_append_string_n.numbered_sgpr, .L__ockl_printf_append_args.numbered_sgpr)
	.set .L_ZL14no_device_codePKciS0_iS0_.num_named_barrier, max(0, .L__ockl_printf_append_string_n.num_named_barrier, .L__ockl_printf_append_args.num_named_barrier)
	.set .L_ZL14no_device_codePKciS0_iS0_.private_seg_size, 16+max(.L__ockl_printf_append_string_n.private_seg_size, .L__ockl_printf_append_args.private_seg_size)
	.set .L_ZL14no_device_codePKciS0_iS0_.uses_vcc, or(1, .L__ockl_printf_append_string_n.uses_vcc, .L__ockl_printf_append_args.uses_vcc)
	.set .L_ZL14no_device_codePKciS0_iS0_.uses_flat_scratch, or(0, .L__ockl_printf_append_string_n.uses_flat_scratch, .L__ockl_printf_append_args.uses_flat_scratch)
	.set .L_ZL14no_device_codePKciS0_iS0_.has_dyn_sized_stack, or(0, .L__ockl_printf_append_string_n.has_dyn_sized_stack, .L__ockl_printf_append_args.has_dyn_sized_stack)
	.set .L_ZL14no_device_codePKciS0_iS0_.has_recursion, or(0, .L__ockl_printf_append_string_n.has_recursion, .L__ockl_printf_append_args.has_recursion)
	.set .L_ZL14no_device_codePKciS0_iS0_.has_indirect_call, or(0, .L__ockl_printf_append_string_n.has_indirect_call, .L__ockl_printf_append_args.has_indirect_call)
	.section	.AMDGPU.csdata,"",@progbits
; Function info:
; codeLenInByte = 12688
; TotalNumSgprs: 36
; NumVgprs: 40
; ScratchSize: 16
; MemoryBound: 0
	.section	.text._ZL18flash_attn_ext_f16ILi64ELi64ELi32ELi2ELb1ELb0EEvPKcS1_S1_S1_S1_PKiPfP15HIP_vector_typeIfLj2EEffffjfiS5_IjLj3EEiiiiiiiiiiiliiliiiiil,"axG",@progbits,_ZL18flash_attn_ext_f16ILi64ELi64ELi32ELi2ELb1ELb0EEvPKcS1_S1_S1_S1_PKiPfP15HIP_vector_typeIfLj2EEffffjfiS5_IjLj3EEiiiiiiiiiiiliiliiiiil,comdat
	.globl	_ZL18flash_attn_ext_f16ILi64ELi64ELi32ELi2ELb1ELb0EEvPKcS1_S1_S1_S1_PKiPfP15HIP_vector_typeIfLj2EEffffjfiS5_IjLj3EEiiiiiiiiiiiliiliiiiil ; -- Begin function _ZL18flash_attn_ext_f16ILi64ELi64ELi32ELi2ELb1ELb0EEvPKcS1_S1_S1_S1_PKiPfP15HIP_vector_typeIfLj2EEffffjfiS5_IjLj3EEiiiiiiiiiiiliiliiiiil
	.p2align	8
	.type	_ZL18flash_attn_ext_f16ILi64ELi64ELi32ELi2ELb1ELb0EEvPKcS1_S1_S1_S1_PKiPfP15HIP_vector_typeIfLj2EEffffjfiS5_IjLj3EEiiiiiiiiiiiliiliiiiil,@function
_ZL18flash_attn_ext_f16ILi64ELi64ELi32ELi2ELb1ELb0EEvPKcS1_S1_S1_S1_PKiPfP15HIP_vector_typeIfLj2EEffffjfiS5_IjLj3EEiiiiiiiiiiiliiliiiiil: ; @_ZL18flash_attn_ext_f16ILi64ELi64ELi32ELi2ELb1ELb0EEvPKcS1_S1_S1_S1_PKiPfP15HIP_vector_typeIfLj2EEffffjfiS5_IjLj3EEiiiiiiiiiiiliiliiiiil
; %bb.0:
	v_mov_b32_e32 v0, 0x6cc
	s_add_nc_u64 s[8:9], s[0:1], 0xd0
	s_getpc_b64 s[0:1]
	s_sext_i32_i16 s1, s1
	s_add_co_u32 s0, s0, _ZL14no_device_codePKciS0_iS0_@rel32@lo+8
	s_add_co_ci_u32 s1, s1, _ZL14no_device_codePKciS0_iS0_@rel32@hi+16
	s_mov_b32 s32, 0
	s_swappc_b64 s[30:31], s[0:1]
	.section	.rodata,"a",@progbits
	.p2align	6, 0x0
	.amdhsa_kernel _ZL18flash_attn_ext_f16ILi64ELi64ELi32ELi2ELb1ELb0EEvPKcS1_S1_S1_S1_PKiPfP15HIP_vector_typeIfLj2EEffffjfiS5_IjLj3EEiiiiiiiiiiiliiliiiiil
		.amdhsa_group_segment_fixed_size 0
		.amdhsa_private_segment_fixed_size 16
		.amdhsa_kernarg_size 464
		.amdhsa_user_sgpr_count 2
		.amdhsa_user_sgpr_dispatch_ptr 0
		.amdhsa_user_sgpr_queue_ptr 0
		.amdhsa_user_sgpr_kernarg_segment_ptr 1
		.amdhsa_user_sgpr_dispatch_id 0
		.amdhsa_user_sgpr_private_segment_size 0
		.amdhsa_wavefront_size32 1
		.amdhsa_uses_dynamic_stack 0
		.amdhsa_enable_private_segment 1
		.amdhsa_system_sgpr_workgroup_id_x 1
		.amdhsa_system_sgpr_workgroup_id_y 0
		.amdhsa_system_sgpr_workgroup_id_z 0
		.amdhsa_system_sgpr_workgroup_info 0
		.amdhsa_system_vgpr_workitem_id 0
		.amdhsa_next_free_vgpr 40
		.amdhsa_next_free_sgpr 34
		.amdhsa_reserve_vcc 1
		.amdhsa_float_round_mode_32 0
		.amdhsa_float_round_mode_16_64 0
		.amdhsa_float_denorm_mode_32 3
		.amdhsa_float_denorm_mode_16_64 3
		.amdhsa_fp16_overflow 0
		.amdhsa_workgroup_processor_mode 1
		.amdhsa_memory_ordered 1
		.amdhsa_forward_progress 1
		.amdhsa_inst_pref_size 1
		.amdhsa_round_robin_scheduling 0
		.amdhsa_exception_fp_ieee_invalid_op 0
		.amdhsa_exception_fp_denorm_src 0
		.amdhsa_exception_fp_ieee_div_zero 0
		.amdhsa_exception_fp_ieee_overflow 0
		.amdhsa_exception_fp_ieee_underflow 0
		.amdhsa_exception_fp_ieee_inexact 0
		.amdhsa_exception_int_div_zero 0
	.end_amdhsa_kernel
	.section	.text._ZL18flash_attn_ext_f16ILi64ELi64ELi32ELi2ELb1ELb0EEvPKcS1_S1_S1_S1_PKiPfP15HIP_vector_typeIfLj2EEffffjfiS5_IjLj3EEiiiiiiiiiiiliiliiiiil,"axG",@progbits,_ZL18flash_attn_ext_f16ILi64ELi64ELi32ELi2ELb1ELb0EEvPKcS1_S1_S1_S1_PKiPfP15HIP_vector_typeIfLj2EEffffjfiS5_IjLj3EEiiiiiiiiiiiliiliiiiil,comdat
.Lfunc_end4:
	.size	_ZL18flash_attn_ext_f16ILi64ELi64ELi32ELi2ELb1ELb0EEvPKcS1_S1_S1_S1_PKiPfP15HIP_vector_typeIfLj2EEffffjfiS5_IjLj3EEiiiiiiiiiiiliiliiiiil, .Lfunc_end4-_ZL18flash_attn_ext_f16ILi64ELi64ELi32ELi2ELb1ELb0EEvPKcS1_S1_S1_S1_PKiPfP15HIP_vector_typeIfLj2EEffffjfiS5_IjLj3EEiiiiiiiiiiiliiliiiiil
                                        ; -- End function
	.set _ZL18flash_attn_ext_f16ILi64ELi64ELi32ELi2ELb1ELb0EEvPKcS1_S1_S1_S1_PKiPfP15HIP_vector_typeIfLj2EEffffjfiS5_IjLj3EEiiiiiiiiiiiliiliiiiil.num_vgpr, max(1, .L_ZL14no_device_codePKciS0_iS0_.num_vgpr)
	.set _ZL18flash_attn_ext_f16ILi64ELi64ELi32ELi2ELb1ELb0EEvPKcS1_S1_S1_S1_PKiPfP15HIP_vector_typeIfLj2EEffffjfiS5_IjLj3EEiiiiiiiiiiiliiliiiiil.num_agpr, max(0, .L_ZL14no_device_codePKciS0_iS0_.num_agpr)
	.set _ZL18flash_attn_ext_f16ILi64ELi64ELi32ELi2ELb1ELb0EEvPKcS1_S1_S1_S1_PKiPfP15HIP_vector_typeIfLj2EEffffjfiS5_IjLj3EEiiiiiiiiiiiliiliiiiil.numbered_sgpr, max(33, .L_ZL14no_device_codePKciS0_iS0_.numbered_sgpr)
	.set _ZL18flash_attn_ext_f16ILi64ELi64ELi32ELi2ELb1ELb0EEvPKcS1_S1_S1_S1_PKiPfP15HIP_vector_typeIfLj2EEffffjfiS5_IjLj3EEiiiiiiiiiiiliiliiiiil.num_named_barrier, max(0, .L_ZL14no_device_codePKciS0_iS0_.num_named_barrier)
	.set _ZL18flash_attn_ext_f16ILi64ELi64ELi32ELi2ELb1ELb0EEvPKcS1_S1_S1_S1_PKiPfP15HIP_vector_typeIfLj2EEffffjfiS5_IjLj3EEiiiiiiiiiiiliiliiiiil.private_seg_size, 0+max(.L_ZL14no_device_codePKciS0_iS0_.private_seg_size)
	.set _ZL18flash_attn_ext_f16ILi64ELi64ELi32ELi2ELb1ELb0EEvPKcS1_S1_S1_S1_PKiPfP15HIP_vector_typeIfLj2EEffffjfiS5_IjLj3EEiiiiiiiiiiiliiliiiiil.uses_vcc, or(1, .L_ZL14no_device_codePKciS0_iS0_.uses_vcc)
	.set _ZL18flash_attn_ext_f16ILi64ELi64ELi32ELi2ELb1ELb0EEvPKcS1_S1_S1_S1_PKiPfP15HIP_vector_typeIfLj2EEffffjfiS5_IjLj3EEiiiiiiiiiiiliiliiiiil.uses_flat_scratch, or(0, .L_ZL14no_device_codePKciS0_iS0_.uses_flat_scratch)
	.set _ZL18flash_attn_ext_f16ILi64ELi64ELi32ELi2ELb1ELb0EEvPKcS1_S1_S1_S1_PKiPfP15HIP_vector_typeIfLj2EEffffjfiS5_IjLj3EEiiiiiiiiiiiliiliiiiil.has_dyn_sized_stack, or(0, .L_ZL14no_device_codePKciS0_iS0_.has_dyn_sized_stack)
	.set _ZL18flash_attn_ext_f16ILi64ELi64ELi32ELi2ELb1ELb0EEvPKcS1_S1_S1_S1_PKiPfP15HIP_vector_typeIfLj2EEffffjfiS5_IjLj3EEiiiiiiiiiiiliiliiiiil.has_recursion, or(0, .L_ZL14no_device_codePKciS0_iS0_.has_recursion)
	.set _ZL18flash_attn_ext_f16ILi64ELi64ELi32ELi2ELb1ELb0EEvPKcS1_S1_S1_S1_PKiPfP15HIP_vector_typeIfLj2EEffffjfiS5_IjLj3EEiiiiiiiiiiiliiliiiiil.has_indirect_call, or(0, .L_ZL14no_device_codePKciS0_iS0_.has_indirect_call)
	.section	.AMDGPU.csdata,"",@progbits
; Kernel info:
; codeLenInByte = 48
; TotalNumSgprs: 36
; NumVgprs: 40
; ScratchSize: 16
; MemoryBound: 0
; FloatMode: 240
; IeeeMode: 1
; LDSByteSize: 0 bytes/workgroup (compile time only)
; SGPRBlocks: 0
; VGPRBlocks: 4
; NumSGPRsForWavesPerEU: 36
; NumVGPRsForWavesPerEU: 40
; Occupancy: 16
; WaveLimiterHint : 1
; COMPUTE_PGM_RSRC2:SCRATCH_EN: 1
; COMPUTE_PGM_RSRC2:USER_SGPR: 2
; COMPUTE_PGM_RSRC2:TRAP_HANDLER: 0
; COMPUTE_PGM_RSRC2:TGID_X_EN: 1
; COMPUTE_PGM_RSRC2:TGID_Y_EN: 0
; COMPUTE_PGM_RSRC2:TGID_Z_EN: 0
; COMPUTE_PGM_RSRC2:TIDIG_COMP_CNT: 0
	.section	.text._ZL25flash_attn_mask_to_KV_maxILi32EEvPK7__half2Piiii,"axG",@progbits,_ZL25flash_attn_mask_to_KV_maxILi32EEvPK7__half2Piiii,comdat
	.globl	_ZL25flash_attn_mask_to_KV_maxILi32EEvPK7__half2Piiii ; -- Begin function _ZL25flash_attn_mask_to_KV_maxILi32EEvPK7__half2Piiii
	.p2align	8
	.type	_ZL25flash_attn_mask_to_KV_maxILi32EEvPK7__half2Piiii,@function
_ZL25flash_attn_mask_to_KV_maxILi32EEvPK7__half2Piiii: ; @_ZL25flash_attn_mask_to_KV_maxILi32EEvPK7__half2Piiii
; %bb.0:
	s_load_b64 s[8:9], s[0:1], 0x0
	s_mov_b32 s2, exec_lo
	v_cmpx_gt_u32_e32 32, v0
; %bb.1:
	v_dual_mov_b32 v2, 1 :: v_dual_lshlrev_b32 v1, 2, v0
	ds_store_b32 v1, v2
; %bb.2:
	s_or_b32 exec_lo, exec_lo, s2
	s_clause 0x2
	s_load_b96 s[4:6], s[0:1], 0x10
	s_load_b64 s[2:3], s[0:1], 0x8
	s_load_b32 s1, s[0:1], 0x20
	v_dual_mov_b32 v2, 0 :: v_dual_and_b32 v1, 31, v0
	v_lshrrev_b32_e32 v5, 3, v0
	s_wait_dscnt 0x0
	s_barrier_signal -1
	s_delay_alu instid0(VALU_DEP_2)
	v_lshlrev_b32_e32 v6, 2, v1
	s_barrier_wait -1
	global_inv scope:SCOPE_SE
	s_wait_kmcnt 0x0
	s_mul_i32 s0, ttmp9, s5
	s_mul_i32 s6, s6, ttmp7
	s_lshl_b32 s0, s0, 5
	s_delay_alu instid0(SALU_CYCLE_1) | instskip(SKIP_2) | instid1(SALU_CYCLE_1)
	s_add_co_i32 s6, s6, s0
	v_cmp_eq_u32_e64 s0, 0, v1
	s_ashr_i32 s7, s6, 31
	s_lshl_b64 s[6:7], s[6:7], 2
	s_delay_alu instid0(SALU_CYCLE_1)
	s_add_nc_u64 s[6:7], s[8:9], s[6:7]
	s_lshl_b32 s8, s4, 8
	s_branch .LBB5_4
.LBB5_3:                                ;   in Loop: Header=BB5_4 Depth=1
	s_wait_alu 0xfffe
	s_or_b32 exec_lo, exec_lo, s9
	s_wait_dscnt 0x0
	s_barrier_signal -1
	s_barrier_wait -1
	global_inv scope:SCOPE_SE
	ds_load_b32 v1, v6
	s_wait_loadcnt_dscnt 0x0
	s_barrier_signal -1
	s_barrier_wait -1
	global_inv scope:SCOPE_SE
	v_cmp_ne_u32_e32 vcc_lo, 0, v1
	s_cmp_lg_u32 vcc_lo, exec_lo
	s_cselect_b32 s9, -1, 0
	s_wait_alu 0xfffe
	s_and_b32 vcc_lo, exec_lo, s9
	s_wait_alu 0xfffe
	s_cbranch_vccnz .LBB5_132
.LBB5_4:                                ; =>This Inner Loop Header: Depth=1
	s_mov_b32 s4, s8
	s_addk_co_i32 s8, 0xff00
	s_wait_alu 0xfffe
	s_cmp_lt_i32 s8, 0
	s_cbranch_scc1 .LBB5_131
; %bb.5:                                ;   in Loop: Header=BB5_4 Depth=1
	s_lshr_b32 s9, s8, 1
	s_wait_alu 0xfffe
	v_add_nc_u32_e32 v1, s9, v0
	s_delay_alu instid0(VALU_DEP_1) | instskip(NEXT) | instid1(VALU_DEP_1)
	v_lshlrev_b64_e32 v[3:4], 2, v[1:2]
	v_add_co_u32 v3, vcc_lo, s6, v3
	s_wait_alu 0xfffd
	s_delay_alu instid0(VALU_DEP_2) | instskip(SKIP_4) | instid1(VALU_DEP_2)
	v_add_co_ci_u32_e64 v4, null, s7, v4, vcc_lo
	global_load_b32 v3, v[3:4], off
	s_wait_loadcnt 0x0
	v_lshrrev_b32_e32 v4, 16, v3
	v_cmp_class_f16_e64 s9, v3, 0x204
	v_cmp_class_f16_e64 s10, v4, 0x204
	s_and_b32 s11, s9, s10
	s_mov_b32 s10, 0
	s_wait_alu 0xfffe
	s_and_saveexec_b32 s9, s11
	s_cbranch_execz .LBB5_129
; %bb.6:                                ;   in Loop: Header=BB5_4 Depth=1
	v_add_nc_u32_e32 v3, s5, v1
	s_mov_b32 s11, 0
	s_delay_alu instid0(VALU_DEP_1) | instskip(NEXT) | instid1(VALU_DEP_1)
	v_ashrrev_i32_e32 v4, 31, v3
	v_lshlrev_b64_e32 v[7:8], 2, v[3:4]
	s_delay_alu instid0(VALU_DEP_1) | instskip(SKIP_1) | instid1(VALU_DEP_2)
	v_add_co_u32 v7, vcc_lo, s6, v7
	s_wait_alu 0xfffd
	v_add_co_ci_u32_e64 v8, null, s7, v8, vcc_lo
	global_load_b32 v1, v[7:8], off
	s_wait_loadcnt 0x0
	v_cmp_class_f16_e64 s12, v1, 0x204
	s_and_saveexec_b32 s10, s12
	s_cbranch_execz .LBB5_128
; %bb.7:                                ;   in Loop: Header=BB5_4 Depth=1
	v_lshrrev_b32_e32 v1, 16, v1
	s_mov_b32 s12, 0
	s_delay_alu instid0(VALU_DEP_1)
	v_cmp_class_f16_e64 s13, v1, 0x204
	s_and_saveexec_b32 s11, s13
	s_cbranch_execz .LBB5_127
; %bb.8:                                ;   in Loop: Header=BB5_4 Depth=1
	v_add_nc_u32_e32 v3, s5, v3
	s_mov_b32 s13, 0
	s_delay_alu instid0(VALU_DEP_1) | instskip(NEXT) | instid1(VALU_DEP_1)
	v_ashrrev_i32_e32 v4, 31, v3
	v_lshlrev_b64_e32 v[7:8], 2, v[3:4]
	s_delay_alu instid0(VALU_DEP_1) | instskip(SKIP_1) | instid1(VALU_DEP_2)
	v_add_co_u32 v7, vcc_lo, s6, v7
	s_wait_alu 0xfffd
	v_add_co_ci_u32_e64 v8, null, s7, v8, vcc_lo
	global_load_b32 v1, v[7:8], off
	s_wait_loadcnt 0x0
	v_cmp_class_f16_e64 s14, v1, 0x204
	s_and_saveexec_b32 s12, s14
	s_cbranch_execz .LBB5_126
; %bb.9:                                ;   in Loop: Header=BB5_4 Depth=1
	v_lshrrev_b32_e32 v1, 16, v1
	s_mov_b32 s14, 0
	s_delay_alu instid0(VALU_DEP_1)
	v_cmp_class_f16_e64 s15, v1, 0x204
	s_and_saveexec_b32 s13, s15
	s_cbranch_execz .LBB5_125
; %bb.10:                               ;   in Loop: Header=BB5_4 Depth=1
	v_add_nc_u32_e32 v3, s5, v3
	s_mov_b32 s15, 0
	s_delay_alu instid0(VALU_DEP_1) | instskip(NEXT) | instid1(VALU_DEP_1)
	v_ashrrev_i32_e32 v4, 31, v3
	v_lshlrev_b64_e32 v[7:8], 2, v[3:4]
	s_delay_alu instid0(VALU_DEP_1) | instskip(SKIP_1) | instid1(VALU_DEP_2)
	v_add_co_u32 v7, vcc_lo, s6, v7
	s_wait_alu 0xfffd
	v_add_co_ci_u32_e64 v8, null, s7, v8, vcc_lo
	global_load_b32 v1, v[7:8], off
	s_wait_loadcnt 0x0
	v_cmp_class_f16_e64 s16, v1, 0x204
	s_and_saveexec_b32 s14, s16
	s_cbranch_execz .LBB5_124
; %bb.11:                               ;   in Loop: Header=BB5_4 Depth=1
	v_lshrrev_b32_e32 v1, 16, v1
	s_mov_b32 s16, 0
	s_delay_alu instid0(VALU_DEP_1)
	v_cmp_class_f16_e64 s17, v1, 0x204
	s_and_saveexec_b32 s15, s17
	s_cbranch_execz .LBB5_123
; %bb.12:                               ;   in Loop: Header=BB5_4 Depth=1
	v_add_nc_u32_e32 v3, s5, v3
	s_mov_b32 s17, 0
	s_delay_alu instid0(VALU_DEP_1) | instskip(NEXT) | instid1(VALU_DEP_1)
	v_ashrrev_i32_e32 v4, 31, v3
	v_lshlrev_b64_e32 v[7:8], 2, v[3:4]
	s_delay_alu instid0(VALU_DEP_1) | instskip(SKIP_1) | instid1(VALU_DEP_2)
	v_add_co_u32 v7, vcc_lo, s6, v7
	s_wait_alu 0xfffd
	v_add_co_ci_u32_e64 v8, null, s7, v8, vcc_lo
	global_load_b32 v1, v[7:8], off
	s_wait_loadcnt 0x0
	v_cmp_class_f16_e64 s18, v1, 0x204
	s_and_saveexec_b32 s16, s18
	s_cbranch_execz .LBB5_122
; %bb.13:                               ;   in Loop: Header=BB5_4 Depth=1
	v_lshrrev_b32_e32 v1, 16, v1
	s_mov_b32 s18, 0
	s_delay_alu instid0(VALU_DEP_1)
	v_cmp_class_f16_e64 s19, v1, 0x204
	s_and_saveexec_b32 s17, s19
	s_cbranch_execz .LBB5_121
; %bb.14:                               ;   in Loop: Header=BB5_4 Depth=1
	v_add_nc_u32_e32 v3, s5, v3
	s_mov_b32 s19, 0
	s_delay_alu instid0(VALU_DEP_1) | instskip(NEXT) | instid1(VALU_DEP_1)
	v_ashrrev_i32_e32 v4, 31, v3
	v_lshlrev_b64_e32 v[7:8], 2, v[3:4]
	s_delay_alu instid0(VALU_DEP_1) | instskip(SKIP_1) | instid1(VALU_DEP_2)
	v_add_co_u32 v7, vcc_lo, s6, v7
	s_wait_alu 0xfffd
	v_add_co_ci_u32_e64 v8, null, s7, v8, vcc_lo
	global_load_b32 v1, v[7:8], off
	s_wait_loadcnt 0x0
	v_cmp_class_f16_e64 s20, v1, 0x204
	s_and_saveexec_b32 s18, s20
	s_cbranch_execz .LBB5_120
; %bb.15:                               ;   in Loop: Header=BB5_4 Depth=1
	v_lshrrev_b32_e32 v1, 16, v1
	s_mov_b32 s20, 0
	s_delay_alu instid0(VALU_DEP_1)
	v_cmp_class_f16_e64 s21, v1, 0x204
	s_and_saveexec_b32 s19, s21
	s_cbranch_execz .LBB5_119
; %bb.16:                               ;   in Loop: Header=BB5_4 Depth=1
	v_add_nc_u32_e32 v3, s5, v3
	s_mov_b32 s21, 0
	s_delay_alu instid0(VALU_DEP_1) | instskip(NEXT) | instid1(VALU_DEP_1)
	v_ashrrev_i32_e32 v4, 31, v3
	v_lshlrev_b64_e32 v[7:8], 2, v[3:4]
	s_delay_alu instid0(VALU_DEP_1) | instskip(SKIP_1) | instid1(VALU_DEP_2)
	v_add_co_u32 v7, vcc_lo, s6, v7
	s_wait_alu 0xfffd
	v_add_co_ci_u32_e64 v8, null, s7, v8, vcc_lo
	global_load_b32 v1, v[7:8], off
	s_wait_loadcnt 0x0
	v_cmp_class_f16_e64 s22, v1, 0x204
	s_and_saveexec_b32 s20, s22
	s_cbranch_execz .LBB5_118
; %bb.17:                               ;   in Loop: Header=BB5_4 Depth=1
	v_lshrrev_b32_e32 v1, 16, v1
	s_mov_b32 s22, 0
	s_delay_alu instid0(VALU_DEP_1)
	v_cmp_class_f16_e64 s23, v1, 0x204
	s_and_saveexec_b32 s21, s23
	s_cbranch_execz .LBB5_117
; %bb.18:                               ;   in Loop: Header=BB5_4 Depth=1
	v_add_nc_u32_e32 v3, s5, v3
	s_mov_b32 s23, 0
	s_delay_alu instid0(VALU_DEP_1) | instskip(NEXT) | instid1(VALU_DEP_1)
	v_ashrrev_i32_e32 v4, 31, v3
	v_lshlrev_b64_e32 v[7:8], 2, v[3:4]
	s_delay_alu instid0(VALU_DEP_1) | instskip(SKIP_1) | instid1(VALU_DEP_2)
	v_add_co_u32 v7, vcc_lo, s6, v7
	s_wait_alu 0xfffd
	v_add_co_ci_u32_e64 v8, null, s7, v8, vcc_lo
	global_load_b32 v1, v[7:8], off
	s_wait_loadcnt 0x0
	v_cmp_class_f16_e64 s24, v1, 0x204
	s_and_saveexec_b32 s22, s24
	s_cbranch_execz .LBB5_116
; %bb.19:                               ;   in Loop: Header=BB5_4 Depth=1
	v_lshrrev_b32_e32 v1, 16, v1
	s_mov_b32 s24, 0
	s_delay_alu instid0(VALU_DEP_1)
	v_cmp_class_f16_e64 s25, v1, 0x204
	s_and_saveexec_b32 s23, s25
	s_cbranch_execz .LBB5_115
; %bb.20:                               ;   in Loop: Header=BB5_4 Depth=1
	v_add_nc_u32_e32 v3, s5, v3
	s_mov_b32 s25, 0
	s_delay_alu instid0(VALU_DEP_1) | instskip(NEXT) | instid1(VALU_DEP_1)
	v_ashrrev_i32_e32 v4, 31, v3
	v_lshlrev_b64_e32 v[7:8], 2, v[3:4]
	s_delay_alu instid0(VALU_DEP_1) | instskip(SKIP_1) | instid1(VALU_DEP_2)
	v_add_co_u32 v7, vcc_lo, s6, v7
	s_wait_alu 0xfffd
	v_add_co_ci_u32_e64 v8, null, s7, v8, vcc_lo
	global_load_b32 v1, v[7:8], off
	s_wait_loadcnt 0x0
	v_cmp_class_f16_e64 s26, v1, 0x204
	s_and_saveexec_b32 s24, s26
	s_cbranch_execz .LBB5_114
; %bb.21:                               ;   in Loop: Header=BB5_4 Depth=1
	v_lshrrev_b32_e32 v1, 16, v1
	s_mov_b32 s26, 0
	s_delay_alu instid0(VALU_DEP_1)
	v_cmp_class_f16_e64 s27, v1, 0x204
	s_and_saveexec_b32 s25, s27
	s_cbranch_execz .LBB5_113
; %bb.22:                               ;   in Loop: Header=BB5_4 Depth=1
	v_add_nc_u32_e32 v3, s5, v3
	s_mov_b32 s27, 0
	s_delay_alu instid0(VALU_DEP_1) | instskip(NEXT) | instid1(VALU_DEP_1)
	v_ashrrev_i32_e32 v4, 31, v3
	v_lshlrev_b64_e32 v[7:8], 2, v[3:4]
	s_delay_alu instid0(VALU_DEP_1) | instskip(SKIP_1) | instid1(VALU_DEP_2)
	v_add_co_u32 v7, vcc_lo, s6, v7
	s_wait_alu 0xfffd
	v_add_co_ci_u32_e64 v8, null, s7, v8, vcc_lo
	global_load_b32 v1, v[7:8], off
	s_wait_loadcnt 0x0
	v_cmp_class_f16_e64 s28, v1, 0x204
	s_and_saveexec_b32 s26, s28
	s_cbranch_execz .LBB5_112
; %bb.23:                               ;   in Loop: Header=BB5_4 Depth=1
	v_lshrrev_b32_e32 v1, 16, v1
	s_mov_b32 s28, 0
	s_delay_alu instid0(VALU_DEP_1)
	v_cmp_class_f16_e64 s29, v1, 0x204
	s_and_saveexec_b32 s27, s29
	s_cbranch_execz .LBB5_111
; %bb.24:                               ;   in Loop: Header=BB5_4 Depth=1
	v_add_nc_u32_e32 v3, s5, v3
	s_mov_b32 s29, 0
	s_delay_alu instid0(VALU_DEP_1) | instskip(NEXT) | instid1(VALU_DEP_1)
	v_ashrrev_i32_e32 v4, 31, v3
	v_lshlrev_b64_e32 v[7:8], 2, v[3:4]
	s_delay_alu instid0(VALU_DEP_1) | instskip(SKIP_1) | instid1(VALU_DEP_2)
	v_add_co_u32 v7, vcc_lo, s6, v7
	s_wait_alu 0xfffd
	v_add_co_ci_u32_e64 v8, null, s7, v8, vcc_lo
	global_load_b32 v1, v[7:8], off
	s_wait_loadcnt 0x0
	v_cmp_class_f16_e64 s30, v1, 0x204
	s_and_saveexec_b32 s28, s30
	s_cbranch_execz .LBB5_110
; %bb.25:                               ;   in Loop: Header=BB5_4 Depth=1
	v_lshrrev_b32_e32 v1, 16, v1
	s_mov_b32 s30, 0
	s_delay_alu instid0(VALU_DEP_1)
	v_cmp_class_f16_e64 s31, v1, 0x204
	s_and_saveexec_b32 s29, s31
	s_cbranch_execz .LBB5_109
; %bb.26:                               ;   in Loop: Header=BB5_4 Depth=1
	v_add_nc_u32_e32 v3, s5, v3
	s_mov_b32 s31, 0
	s_delay_alu instid0(VALU_DEP_1) | instskip(NEXT) | instid1(VALU_DEP_1)
	v_ashrrev_i32_e32 v4, 31, v3
	v_lshlrev_b64_e32 v[7:8], 2, v[3:4]
	s_delay_alu instid0(VALU_DEP_1) | instskip(SKIP_1) | instid1(VALU_DEP_2)
	v_add_co_u32 v7, vcc_lo, s6, v7
	s_wait_alu 0xfffd
	v_add_co_ci_u32_e64 v8, null, s7, v8, vcc_lo
	global_load_b32 v1, v[7:8], off
	s_wait_loadcnt 0x0
	v_cmp_class_f16_e64 s33, v1, 0x204
	s_and_saveexec_b32 s30, s33
	s_cbranch_execz .LBB5_108
; %bb.27:                               ;   in Loop: Header=BB5_4 Depth=1
	v_lshrrev_b32_e32 v1, 16, v1
	s_mov_b32 s33, 0
	s_delay_alu instid0(VALU_DEP_1)
	v_cmp_class_f16_e64 s34, v1, 0x204
	s_and_saveexec_b32 s31, s34
	s_cbranch_execz .LBB5_107
; %bb.28:                               ;   in Loop: Header=BB5_4 Depth=1
	v_add_nc_u32_e32 v3, s5, v3
	s_mov_b32 s34, 0
	s_delay_alu instid0(VALU_DEP_1) | instskip(NEXT) | instid1(VALU_DEP_1)
	v_ashrrev_i32_e32 v4, 31, v3
	v_lshlrev_b64_e32 v[7:8], 2, v[3:4]
	s_delay_alu instid0(VALU_DEP_1) | instskip(SKIP_1) | instid1(VALU_DEP_2)
	v_add_co_u32 v7, vcc_lo, s6, v7
	s_wait_alu 0xfffd
	v_add_co_ci_u32_e64 v8, null, s7, v8, vcc_lo
	global_load_b32 v1, v[7:8], off
	s_wait_loadcnt 0x0
	v_cmp_class_f16_e64 s35, v1, 0x204
	s_and_saveexec_b32 s33, s35
	s_cbranch_execz .LBB5_106
; %bb.29:                               ;   in Loop: Header=BB5_4 Depth=1
	v_lshrrev_b32_e32 v1, 16, v1
	s_mov_b32 s35, 0
	s_delay_alu instid0(VALU_DEP_1)
	v_cmp_class_f16_e64 s36, v1, 0x204
	s_and_saveexec_b32 s34, s36
	s_cbranch_execz .LBB5_105
; %bb.30:                               ;   in Loop: Header=BB5_4 Depth=1
	v_add_nc_u32_e32 v3, s5, v3
	s_mov_b32 s36, 0
	s_delay_alu instid0(VALU_DEP_1) | instskip(NEXT) | instid1(VALU_DEP_1)
	v_ashrrev_i32_e32 v4, 31, v3
	v_lshlrev_b64_e32 v[7:8], 2, v[3:4]
	s_delay_alu instid0(VALU_DEP_1) | instskip(SKIP_1) | instid1(VALU_DEP_2)
	v_add_co_u32 v7, vcc_lo, s6, v7
	s_wait_alu 0xfffd
	v_add_co_ci_u32_e64 v8, null, s7, v8, vcc_lo
	global_load_b32 v1, v[7:8], off
	s_wait_loadcnt 0x0
	v_cmp_class_f16_e64 s37, v1, 0x204
	s_and_saveexec_b32 s35, s37
	s_cbranch_execz .LBB5_104
; %bb.31:                               ;   in Loop: Header=BB5_4 Depth=1
	v_lshrrev_b32_e32 v1, 16, v1
	s_mov_b32 s37, 0
	s_delay_alu instid0(VALU_DEP_1)
	v_cmp_class_f16_e64 s38, v1, 0x204
	s_and_saveexec_b32 s36, s38
	s_cbranch_execz .LBB5_103
; %bb.32:                               ;   in Loop: Header=BB5_4 Depth=1
	v_add_nc_u32_e32 v3, s5, v3
	s_mov_b32 s38, 0
	s_delay_alu instid0(VALU_DEP_1) | instskip(NEXT) | instid1(VALU_DEP_1)
	v_ashrrev_i32_e32 v4, 31, v3
	v_lshlrev_b64_e32 v[7:8], 2, v[3:4]
	s_delay_alu instid0(VALU_DEP_1) | instskip(SKIP_1) | instid1(VALU_DEP_2)
	v_add_co_u32 v7, vcc_lo, s6, v7
	s_wait_alu 0xfffd
	v_add_co_ci_u32_e64 v8, null, s7, v8, vcc_lo
	global_load_b32 v1, v[7:8], off
	s_wait_loadcnt 0x0
	v_cmp_class_f16_e64 s39, v1, 0x204
	s_and_saveexec_b32 s37, s39
	s_cbranch_execz .LBB5_102
; %bb.33:                               ;   in Loop: Header=BB5_4 Depth=1
	v_lshrrev_b32_e32 v1, 16, v1
	s_mov_b32 s39, 0
	s_delay_alu instid0(VALU_DEP_1)
	v_cmp_class_f16_e64 s40, v1, 0x204
	s_and_saveexec_b32 s38, s40
	s_cbranch_execz .LBB5_101
; %bb.34:                               ;   in Loop: Header=BB5_4 Depth=1
	v_add_nc_u32_e32 v3, s5, v3
	s_mov_b32 s40, 0
	s_delay_alu instid0(VALU_DEP_1) | instskip(NEXT) | instid1(VALU_DEP_1)
	v_ashrrev_i32_e32 v4, 31, v3
	v_lshlrev_b64_e32 v[7:8], 2, v[3:4]
	s_delay_alu instid0(VALU_DEP_1) | instskip(SKIP_1) | instid1(VALU_DEP_2)
	v_add_co_u32 v7, vcc_lo, s6, v7
	s_wait_alu 0xfffd
	v_add_co_ci_u32_e64 v8, null, s7, v8, vcc_lo
	global_load_b32 v1, v[7:8], off
	s_wait_loadcnt 0x0
	v_cmp_class_f16_e64 s41, v1, 0x204
	s_and_saveexec_b32 s39, s41
	s_cbranch_execz .LBB5_100
; %bb.35:                               ;   in Loop: Header=BB5_4 Depth=1
	v_lshrrev_b32_e32 v1, 16, v1
	s_mov_b32 s41, 0
	s_delay_alu instid0(VALU_DEP_1)
	v_cmp_class_f16_e64 s42, v1, 0x204
	s_and_saveexec_b32 s40, s42
	s_cbranch_execz .LBB5_99
; %bb.36:                               ;   in Loop: Header=BB5_4 Depth=1
	v_add_nc_u32_e32 v3, s5, v3
	s_mov_b32 s42, 0
	s_delay_alu instid0(VALU_DEP_1) | instskip(NEXT) | instid1(VALU_DEP_1)
	v_ashrrev_i32_e32 v4, 31, v3
	v_lshlrev_b64_e32 v[7:8], 2, v[3:4]
	s_delay_alu instid0(VALU_DEP_1) | instskip(SKIP_1) | instid1(VALU_DEP_2)
	v_add_co_u32 v7, vcc_lo, s6, v7
	s_wait_alu 0xfffd
	v_add_co_ci_u32_e64 v8, null, s7, v8, vcc_lo
	global_load_b32 v1, v[7:8], off
	s_wait_loadcnt 0x0
	v_cmp_class_f16_e64 s43, v1, 0x204
	s_and_saveexec_b32 s41, s43
	s_cbranch_execz .LBB5_98
; %bb.37:                               ;   in Loop: Header=BB5_4 Depth=1
	v_lshrrev_b32_e32 v1, 16, v1
	s_mov_b32 s43, 0
	s_delay_alu instid0(VALU_DEP_1)
	v_cmp_class_f16_e64 s44, v1, 0x204
	s_and_saveexec_b32 s42, s44
	s_cbranch_execz .LBB5_97
; %bb.38:                               ;   in Loop: Header=BB5_4 Depth=1
	v_add_nc_u32_e32 v3, s5, v3
	s_mov_b32 s44, 0
	s_delay_alu instid0(VALU_DEP_1) | instskip(NEXT) | instid1(VALU_DEP_1)
	v_ashrrev_i32_e32 v4, 31, v3
	v_lshlrev_b64_e32 v[7:8], 2, v[3:4]
	s_delay_alu instid0(VALU_DEP_1) | instskip(SKIP_1) | instid1(VALU_DEP_2)
	v_add_co_u32 v7, vcc_lo, s6, v7
	s_wait_alu 0xfffd
	v_add_co_ci_u32_e64 v8, null, s7, v8, vcc_lo
	global_load_b32 v1, v[7:8], off
	s_wait_loadcnt 0x0
	v_cmp_class_f16_e64 s45, v1, 0x204
	s_and_saveexec_b32 s43, s45
	s_cbranch_execz .LBB5_96
; %bb.39:                               ;   in Loop: Header=BB5_4 Depth=1
	v_lshrrev_b32_e32 v1, 16, v1
	s_mov_b32 s45, 0
	s_delay_alu instid0(VALU_DEP_1)
	v_cmp_class_f16_e64 s46, v1, 0x204
	s_and_saveexec_b32 s44, s46
	s_cbranch_execz .LBB5_95
; %bb.40:                               ;   in Loop: Header=BB5_4 Depth=1
	v_add_nc_u32_e32 v3, s5, v3
	s_mov_b32 s46, 0
	s_delay_alu instid0(VALU_DEP_1) | instskip(NEXT) | instid1(VALU_DEP_1)
	v_ashrrev_i32_e32 v4, 31, v3
	v_lshlrev_b64_e32 v[7:8], 2, v[3:4]
	s_delay_alu instid0(VALU_DEP_1) | instskip(SKIP_1) | instid1(VALU_DEP_2)
	v_add_co_u32 v7, vcc_lo, s6, v7
	s_wait_alu 0xfffd
	v_add_co_ci_u32_e64 v8, null, s7, v8, vcc_lo
	global_load_b32 v1, v[7:8], off
	s_wait_loadcnt 0x0
	v_cmp_class_f16_e64 s47, v1, 0x204
	s_and_saveexec_b32 s45, s47
	s_cbranch_execz .LBB5_94
; %bb.41:                               ;   in Loop: Header=BB5_4 Depth=1
	v_lshrrev_b32_e32 v1, 16, v1
	s_mov_b32 s47, 0
	s_delay_alu instid0(VALU_DEP_1)
	v_cmp_class_f16_e64 s48, v1, 0x204
	s_and_saveexec_b32 s46, s48
	s_cbranch_execz .LBB5_93
; %bb.42:                               ;   in Loop: Header=BB5_4 Depth=1
	v_add_nc_u32_e32 v3, s5, v3
	s_mov_b32 s48, 0
	s_delay_alu instid0(VALU_DEP_1) | instskip(NEXT) | instid1(VALU_DEP_1)
	v_ashrrev_i32_e32 v4, 31, v3
	v_lshlrev_b64_e32 v[7:8], 2, v[3:4]
	s_delay_alu instid0(VALU_DEP_1) | instskip(SKIP_1) | instid1(VALU_DEP_2)
	v_add_co_u32 v7, vcc_lo, s6, v7
	s_wait_alu 0xfffd
	v_add_co_ci_u32_e64 v8, null, s7, v8, vcc_lo
	global_load_b32 v1, v[7:8], off
	s_wait_loadcnt 0x0
	v_cmp_class_f16_e64 s49, v1, 0x204
	s_and_saveexec_b32 s47, s49
	s_cbranch_execz .LBB5_92
; %bb.43:                               ;   in Loop: Header=BB5_4 Depth=1
	v_lshrrev_b32_e32 v1, 16, v1
	s_mov_b32 s49, 0
	s_delay_alu instid0(VALU_DEP_1)
	v_cmp_class_f16_e64 s50, v1, 0x204
	s_and_saveexec_b32 s48, s50
	s_cbranch_execz .LBB5_91
; %bb.44:                               ;   in Loop: Header=BB5_4 Depth=1
	v_add_nc_u32_e32 v3, s5, v3
	s_mov_b32 s50, 0
	s_delay_alu instid0(VALU_DEP_1) | instskip(NEXT) | instid1(VALU_DEP_1)
	v_ashrrev_i32_e32 v4, 31, v3
	v_lshlrev_b64_e32 v[7:8], 2, v[3:4]
	s_delay_alu instid0(VALU_DEP_1) | instskip(SKIP_1) | instid1(VALU_DEP_2)
	v_add_co_u32 v7, vcc_lo, s6, v7
	s_wait_alu 0xfffd
	v_add_co_ci_u32_e64 v8, null, s7, v8, vcc_lo
	global_load_b32 v1, v[7:8], off
	s_wait_loadcnt 0x0
	v_cmp_class_f16_e64 s51, v1, 0x204
	s_and_saveexec_b32 s49, s51
	s_cbranch_execz .LBB5_90
; %bb.45:                               ;   in Loop: Header=BB5_4 Depth=1
	v_lshrrev_b32_e32 v1, 16, v1
	s_mov_b32 s51, 0
	s_delay_alu instid0(VALU_DEP_1)
	v_cmp_class_f16_e64 s52, v1, 0x204
	s_and_saveexec_b32 s50, s52
	s_cbranch_execz .LBB5_89
; %bb.46:                               ;   in Loop: Header=BB5_4 Depth=1
	v_add_nc_u32_e32 v3, s5, v3
	s_mov_b32 s52, 0
	s_delay_alu instid0(VALU_DEP_1) | instskip(NEXT) | instid1(VALU_DEP_1)
	v_ashrrev_i32_e32 v4, 31, v3
	v_lshlrev_b64_e32 v[7:8], 2, v[3:4]
	s_delay_alu instid0(VALU_DEP_1) | instskip(SKIP_1) | instid1(VALU_DEP_2)
	v_add_co_u32 v7, vcc_lo, s6, v7
	s_wait_alu 0xfffd
	v_add_co_ci_u32_e64 v8, null, s7, v8, vcc_lo
	global_load_b32 v1, v[7:8], off
	s_wait_loadcnt 0x0
	v_cmp_class_f16_e64 s53, v1, 0x204
	s_and_saveexec_b32 s51, s53
	s_cbranch_execz .LBB5_88
; %bb.47:                               ;   in Loop: Header=BB5_4 Depth=1
	v_lshrrev_b32_e32 v1, 16, v1
	s_mov_b32 s53, 0
	s_delay_alu instid0(VALU_DEP_1)
	v_cmp_class_f16_e64 s54, v1, 0x204
	s_and_saveexec_b32 s52, s54
	s_cbranch_execz .LBB5_87
; %bb.48:                               ;   in Loop: Header=BB5_4 Depth=1
	v_add_nc_u32_e32 v3, s5, v3
	s_mov_b32 s54, 0
	s_delay_alu instid0(VALU_DEP_1) | instskip(NEXT) | instid1(VALU_DEP_1)
	v_ashrrev_i32_e32 v4, 31, v3
	v_lshlrev_b64_e32 v[7:8], 2, v[3:4]
	s_delay_alu instid0(VALU_DEP_1) | instskip(SKIP_1) | instid1(VALU_DEP_2)
	v_add_co_u32 v7, vcc_lo, s6, v7
	s_wait_alu 0xfffd
	v_add_co_ci_u32_e64 v8, null, s7, v8, vcc_lo
	global_load_b32 v1, v[7:8], off
	s_wait_loadcnt 0x0
	v_cmp_class_f16_e64 s55, v1, 0x204
	s_and_saveexec_b32 s53, s55
	s_cbranch_execz .LBB5_86
; %bb.49:                               ;   in Loop: Header=BB5_4 Depth=1
	v_lshrrev_b32_e32 v1, 16, v1
	s_mov_b32 s55, 0
	s_delay_alu instid0(VALU_DEP_1)
	v_cmp_class_f16_e64 s56, v1, 0x204
	s_and_saveexec_b32 s54, s56
	s_cbranch_execz .LBB5_85
; %bb.50:                               ;   in Loop: Header=BB5_4 Depth=1
	v_add_nc_u32_e32 v3, s5, v3
	s_mov_b32 s56, 0
	s_delay_alu instid0(VALU_DEP_1) | instskip(NEXT) | instid1(VALU_DEP_1)
	v_ashrrev_i32_e32 v4, 31, v3
	v_lshlrev_b64_e32 v[7:8], 2, v[3:4]
	s_delay_alu instid0(VALU_DEP_1) | instskip(SKIP_1) | instid1(VALU_DEP_2)
	v_add_co_u32 v7, vcc_lo, s6, v7
	s_wait_alu 0xfffd
	v_add_co_ci_u32_e64 v8, null, s7, v8, vcc_lo
	global_load_b32 v1, v[7:8], off
	s_wait_loadcnt 0x0
	v_cmp_class_f16_e64 s57, v1, 0x204
	s_and_saveexec_b32 s55, s57
	s_cbranch_execz .LBB5_84
; %bb.51:                               ;   in Loop: Header=BB5_4 Depth=1
	v_lshrrev_b32_e32 v1, 16, v1
	s_mov_b32 s57, 0
	s_delay_alu instid0(VALU_DEP_1)
	v_cmp_class_f16_e64 s58, v1, 0x204
	s_and_saveexec_b32 s56, s58
	s_cbranch_execz .LBB5_83
; %bb.52:                               ;   in Loop: Header=BB5_4 Depth=1
	v_add_nc_u32_e32 v3, s5, v3
	s_mov_b32 s58, 0
	s_delay_alu instid0(VALU_DEP_1) | instskip(NEXT) | instid1(VALU_DEP_1)
	v_ashrrev_i32_e32 v4, 31, v3
	v_lshlrev_b64_e32 v[7:8], 2, v[3:4]
	s_delay_alu instid0(VALU_DEP_1) | instskip(SKIP_1) | instid1(VALU_DEP_2)
	v_add_co_u32 v7, vcc_lo, s6, v7
	s_wait_alu 0xfffd
	v_add_co_ci_u32_e64 v8, null, s7, v8, vcc_lo
	global_load_b32 v1, v[7:8], off
	s_wait_loadcnt 0x0
	v_cmp_class_f16_e64 s59, v1, 0x204
	s_and_saveexec_b32 s57, s59
	s_cbranch_execz .LBB5_82
; %bb.53:                               ;   in Loop: Header=BB5_4 Depth=1
	v_lshrrev_b32_e32 v1, 16, v1
	s_mov_b32 s59, 0
	s_delay_alu instid0(VALU_DEP_1)
	v_cmp_class_f16_e64 s60, v1, 0x204
	s_and_saveexec_b32 s58, s60
	s_cbranch_execz .LBB5_81
; %bb.54:                               ;   in Loop: Header=BB5_4 Depth=1
	v_add_nc_u32_e32 v3, s5, v3
	s_mov_b32 s60, 0
	s_delay_alu instid0(VALU_DEP_1) | instskip(NEXT) | instid1(VALU_DEP_1)
	v_ashrrev_i32_e32 v4, 31, v3
	v_lshlrev_b64_e32 v[7:8], 2, v[3:4]
	s_delay_alu instid0(VALU_DEP_1) | instskip(SKIP_1) | instid1(VALU_DEP_2)
	v_add_co_u32 v7, vcc_lo, s6, v7
	s_wait_alu 0xfffd
	v_add_co_ci_u32_e64 v8, null, s7, v8, vcc_lo
	global_load_b32 v1, v[7:8], off
	s_wait_loadcnt 0x0
	v_cmp_class_f16_e64 s61, v1, 0x204
	s_and_saveexec_b32 s59, s61
	s_cbranch_execz .LBB5_80
; %bb.55:                               ;   in Loop: Header=BB5_4 Depth=1
	v_lshrrev_b32_e32 v1, 16, v1
	s_mov_b32 s61, 0
	s_delay_alu instid0(VALU_DEP_1)
	v_cmp_class_f16_e64 s62, v1, 0x204
	s_and_saveexec_b32 s60, s62
	s_cbranch_execz .LBB5_79
; %bb.56:                               ;   in Loop: Header=BB5_4 Depth=1
	v_add_nc_u32_e32 v3, s5, v3
	s_mov_b32 s62, 0
	s_delay_alu instid0(VALU_DEP_1) | instskip(NEXT) | instid1(VALU_DEP_1)
	v_ashrrev_i32_e32 v4, 31, v3
	v_lshlrev_b64_e32 v[7:8], 2, v[3:4]
	s_delay_alu instid0(VALU_DEP_1) | instskip(SKIP_1) | instid1(VALU_DEP_2)
	v_add_co_u32 v7, vcc_lo, s6, v7
	s_wait_alu 0xfffd
	v_add_co_ci_u32_e64 v8, null, s7, v8, vcc_lo
	global_load_b32 v1, v[7:8], off
	s_wait_loadcnt 0x0
	v_cmp_class_f16_e64 s63, v1, 0x204
	s_and_saveexec_b32 s61, s63
	s_cbranch_execz .LBB5_78
; %bb.57:                               ;   in Loop: Header=BB5_4 Depth=1
	v_lshrrev_b32_e32 v1, 16, v1
	s_mov_b32 s63, 0
	s_delay_alu instid0(VALU_DEP_1)
	v_cmp_class_f16_e64 s64, v1, 0x204
	s_and_saveexec_b32 s62, s64
	s_cbranch_execz .LBB5_77
; %bb.58:                               ;   in Loop: Header=BB5_4 Depth=1
	v_add_nc_u32_e32 v3, s5, v3
	s_mov_b32 s64, 0
	s_delay_alu instid0(VALU_DEP_1) | instskip(NEXT) | instid1(VALU_DEP_1)
	v_ashrrev_i32_e32 v4, 31, v3
	v_lshlrev_b64_e32 v[7:8], 2, v[3:4]
	s_delay_alu instid0(VALU_DEP_1) | instskip(SKIP_1) | instid1(VALU_DEP_2)
	v_add_co_u32 v7, vcc_lo, s6, v7
	s_wait_alu 0xfffd
	v_add_co_ci_u32_e64 v8, null, s7, v8, vcc_lo
	global_load_b32 v1, v[7:8], off
	s_wait_loadcnt 0x0
	v_cmp_class_f16_e64 s65, v1, 0x204
	s_and_saveexec_b32 s63, s65
	s_cbranch_execz .LBB5_76
; %bb.59:                               ;   in Loop: Header=BB5_4 Depth=1
	v_lshrrev_b32_e32 v1, 16, v1
	s_mov_b32 s65, 0
	s_delay_alu instid0(VALU_DEP_1)
	v_cmp_class_f16_e64 s66, v1, 0x204
	s_and_saveexec_b32 s64, s66
	s_cbranch_execz .LBB5_75
; %bb.60:                               ;   in Loop: Header=BB5_4 Depth=1
	v_add_nc_u32_e32 v3, s5, v3
	s_mov_b32 s66, 0
	s_delay_alu instid0(VALU_DEP_1) | instskip(NEXT) | instid1(VALU_DEP_1)
	v_ashrrev_i32_e32 v4, 31, v3
	v_lshlrev_b64_e32 v[7:8], 2, v[3:4]
	s_delay_alu instid0(VALU_DEP_1) | instskip(SKIP_1) | instid1(VALU_DEP_2)
	v_add_co_u32 v7, vcc_lo, s6, v7
	s_wait_alu 0xfffd
	v_add_co_ci_u32_e64 v8, null, s7, v8, vcc_lo
	global_load_b32 v1, v[7:8], off
	s_wait_loadcnt 0x0
	v_cmp_class_f16_e64 s67, v1, 0x204
	s_and_saveexec_b32 s65, s67
	s_cbranch_execz .LBB5_74
; %bb.61:                               ;   in Loop: Header=BB5_4 Depth=1
	v_lshrrev_b32_e32 v1, 16, v1
	s_mov_b32 s67, 0
	s_delay_alu instid0(VALU_DEP_1)
	v_cmp_class_f16_e64 s68, v1, 0x204
	s_and_saveexec_b32 s66, s68
	s_cbranch_execz .LBB5_73
; %bb.62:                               ;   in Loop: Header=BB5_4 Depth=1
	v_add_nc_u32_e32 v3, s5, v3
	s_mov_b32 s68, 0
	s_delay_alu instid0(VALU_DEP_1) | instskip(NEXT) | instid1(VALU_DEP_1)
	v_ashrrev_i32_e32 v4, 31, v3
	v_lshlrev_b64_e32 v[7:8], 2, v[3:4]
	s_delay_alu instid0(VALU_DEP_1) | instskip(SKIP_1) | instid1(VALU_DEP_2)
	v_add_co_u32 v7, vcc_lo, s6, v7
	s_wait_alu 0xfffd
	v_add_co_ci_u32_e64 v8, null, s7, v8, vcc_lo
	global_load_b32 v1, v[7:8], off
	s_wait_loadcnt 0x0
	v_cmp_class_f16_e64 s69, v1, 0x204
	s_and_saveexec_b32 s67, s69
	s_cbranch_execz .LBB5_72
; %bb.63:                               ;   in Loop: Header=BB5_4 Depth=1
	v_lshrrev_b32_e32 v1, 16, v1
	s_mov_b32 s69, 0
	s_delay_alu instid0(VALU_DEP_1)
	v_cmp_class_f16_e64 s70, v1, 0x204
	s_and_saveexec_b32 s68, s70
	s_cbranch_execz .LBB5_71
; %bb.64:                               ;   in Loop: Header=BB5_4 Depth=1
	v_add_nc_u32_e32 v3, s5, v3
	s_mov_b32 s70, 0
	s_delay_alu instid0(VALU_DEP_1) | instskip(NEXT) | instid1(VALU_DEP_1)
	v_ashrrev_i32_e32 v4, 31, v3
	v_lshlrev_b64_e32 v[7:8], 2, v[3:4]
	s_delay_alu instid0(VALU_DEP_1) | instskip(SKIP_1) | instid1(VALU_DEP_2)
	v_add_co_u32 v7, vcc_lo, s6, v7
	s_wait_alu 0xfffd
	v_add_co_ci_u32_e64 v8, null, s7, v8, vcc_lo
	global_load_b32 v1, v[7:8], off
	s_wait_loadcnt 0x0
	v_cmp_class_f16_e64 s71, v1, 0x204
	s_and_saveexec_b32 s69, s71
	s_cbranch_execz .LBB5_70
; %bb.65:                               ;   in Loop: Header=BB5_4 Depth=1
	v_lshrrev_b32_e32 v1, 16, v1
	s_mov_b32 s71, 0
	s_delay_alu instid0(VALU_DEP_1)
	v_cmp_class_f16_e64 s72, v1, 0x204
	s_and_saveexec_b32 s70, s72
	s_cbranch_execz .LBB5_69
; %bb.66:                               ;   in Loop: Header=BB5_4 Depth=1
	v_add_nc_u32_e32 v3, s5, v3
	s_delay_alu instid0(VALU_DEP_1) | instskip(NEXT) | instid1(VALU_DEP_1)
	v_ashrrev_i32_e32 v4, 31, v3
	v_lshlrev_b64_e32 v[3:4], 2, v[3:4]
	s_delay_alu instid0(VALU_DEP_1) | instskip(SKIP_1) | instid1(VALU_DEP_2)
	v_add_co_u32 v3, vcc_lo, s6, v3
	s_wait_alu 0xfffd
	v_add_co_ci_u32_e64 v4, null, s7, v4, vcc_lo
	global_load_b32 v1, v[3:4], off
	s_wait_loadcnt 0x0
	v_cmp_class_f16_e64 s73, v1, 0x204
	s_and_saveexec_b32 s72, s73
; %bb.67:                               ;   in Loop: Header=BB5_4 Depth=1
	v_lshrrev_b32_e32 v1, 16, v1
	s_delay_alu instid0(VALU_DEP_1)
	v_cmp_class_f16_e64 s71, v1, 0x204
	s_and_b32 s71, s71, exec_lo
; %bb.68:                               ;   in Loop: Header=BB5_4 Depth=1
	s_or_b32 exec_lo, exec_lo, s72
	s_delay_alu instid0(SALU_CYCLE_1)
	s_and_b32 s71, s71, exec_lo
.LBB5_69:                               ;   in Loop: Header=BB5_4 Depth=1
	s_or_b32 exec_lo, exec_lo, s70
	s_delay_alu instid0(SALU_CYCLE_1)
	s_and_b32 s70, s71, exec_lo
.LBB5_70:                               ;   in Loop: Header=BB5_4 Depth=1
	s_or_b32 exec_lo, exec_lo, s69
	s_delay_alu instid0(SALU_CYCLE_1)
	s_and_b32 s69, s70, exec_lo
.LBB5_71:                               ;   in Loop: Header=BB5_4 Depth=1
	s_or_b32 exec_lo, exec_lo, s68
	s_delay_alu instid0(SALU_CYCLE_1)
	s_and_b32 s68, s69, exec_lo
.LBB5_72:                               ;   in Loop: Header=BB5_4 Depth=1
	s_or_b32 exec_lo, exec_lo, s67
	s_delay_alu instid0(SALU_CYCLE_1)
	s_and_b32 s67, s68, exec_lo
.LBB5_73:                               ;   in Loop: Header=BB5_4 Depth=1
	s_or_b32 exec_lo, exec_lo, s66
	s_delay_alu instid0(SALU_CYCLE_1)
	s_and_b32 s66, s67, exec_lo
.LBB5_74:                               ;   in Loop: Header=BB5_4 Depth=1
	s_or_b32 exec_lo, exec_lo, s65
	s_delay_alu instid0(SALU_CYCLE_1)
	s_and_b32 s65, s66, exec_lo
.LBB5_75:                               ;   in Loop: Header=BB5_4 Depth=1
	s_or_b32 exec_lo, exec_lo, s64
	s_delay_alu instid0(SALU_CYCLE_1)
	s_and_b32 s64, s65, exec_lo
.LBB5_76:                               ;   in Loop: Header=BB5_4 Depth=1
	s_or_b32 exec_lo, exec_lo, s63
	s_delay_alu instid0(SALU_CYCLE_1)
	s_and_b32 s63, s64, exec_lo
.LBB5_77:                               ;   in Loop: Header=BB5_4 Depth=1
	s_or_b32 exec_lo, exec_lo, s62
	s_delay_alu instid0(SALU_CYCLE_1)
	s_and_b32 s62, s63, exec_lo
.LBB5_78:                               ;   in Loop: Header=BB5_4 Depth=1
	s_or_b32 exec_lo, exec_lo, s61
	s_delay_alu instid0(SALU_CYCLE_1)
	s_and_b32 s61, s62, exec_lo
.LBB5_79:                               ;   in Loop: Header=BB5_4 Depth=1
	s_or_b32 exec_lo, exec_lo, s60
	s_delay_alu instid0(SALU_CYCLE_1)
	s_and_b32 s60, s61, exec_lo
.LBB5_80:                               ;   in Loop: Header=BB5_4 Depth=1
	s_or_b32 exec_lo, exec_lo, s59
	s_delay_alu instid0(SALU_CYCLE_1)
	s_and_b32 s59, s60, exec_lo
.LBB5_81:                               ;   in Loop: Header=BB5_4 Depth=1
	s_or_b32 exec_lo, exec_lo, s58
	s_delay_alu instid0(SALU_CYCLE_1)
	s_and_b32 s58, s59, exec_lo
.LBB5_82:                               ;   in Loop: Header=BB5_4 Depth=1
	s_or_b32 exec_lo, exec_lo, s57
	s_delay_alu instid0(SALU_CYCLE_1)
	s_and_b32 s57, s58, exec_lo
.LBB5_83:                               ;   in Loop: Header=BB5_4 Depth=1
	s_or_b32 exec_lo, exec_lo, s56
	s_delay_alu instid0(SALU_CYCLE_1)
	s_and_b32 s56, s57, exec_lo
.LBB5_84:                               ;   in Loop: Header=BB5_4 Depth=1
	s_or_b32 exec_lo, exec_lo, s55
	s_delay_alu instid0(SALU_CYCLE_1)
	s_and_b32 s55, s56, exec_lo
.LBB5_85:                               ;   in Loop: Header=BB5_4 Depth=1
	s_or_b32 exec_lo, exec_lo, s54
	s_delay_alu instid0(SALU_CYCLE_1)
	s_and_b32 s54, s55, exec_lo
.LBB5_86:                               ;   in Loop: Header=BB5_4 Depth=1
	s_or_b32 exec_lo, exec_lo, s53
	s_delay_alu instid0(SALU_CYCLE_1)
	s_and_b32 s53, s54, exec_lo
.LBB5_87:                               ;   in Loop: Header=BB5_4 Depth=1
	s_or_b32 exec_lo, exec_lo, s52
	s_delay_alu instid0(SALU_CYCLE_1)
	s_and_b32 s52, s53, exec_lo
.LBB5_88:                               ;   in Loop: Header=BB5_4 Depth=1
	s_or_b32 exec_lo, exec_lo, s51
	s_delay_alu instid0(SALU_CYCLE_1)
	s_and_b32 s51, s52, exec_lo
.LBB5_89:                               ;   in Loop: Header=BB5_4 Depth=1
	s_or_b32 exec_lo, exec_lo, s50
	s_delay_alu instid0(SALU_CYCLE_1)
	s_and_b32 s50, s51, exec_lo
.LBB5_90:                               ;   in Loop: Header=BB5_4 Depth=1
	s_or_b32 exec_lo, exec_lo, s49
	s_delay_alu instid0(SALU_CYCLE_1)
	s_and_b32 s49, s50, exec_lo
.LBB5_91:                               ;   in Loop: Header=BB5_4 Depth=1
	s_or_b32 exec_lo, exec_lo, s48
	s_delay_alu instid0(SALU_CYCLE_1)
	s_and_b32 s48, s49, exec_lo
.LBB5_92:                               ;   in Loop: Header=BB5_4 Depth=1
	s_or_b32 exec_lo, exec_lo, s47
	s_delay_alu instid0(SALU_CYCLE_1)
	s_and_b32 s47, s48, exec_lo
.LBB5_93:                               ;   in Loop: Header=BB5_4 Depth=1
	s_or_b32 exec_lo, exec_lo, s46
	s_delay_alu instid0(SALU_CYCLE_1)
	s_and_b32 s46, s47, exec_lo
.LBB5_94:                               ;   in Loop: Header=BB5_4 Depth=1
	s_or_b32 exec_lo, exec_lo, s45
	s_delay_alu instid0(SALU_CYCLE_1)
	s_and_b32 s45, s46, exec_lo
.LBB5_95:                               ;   in Loop: Header=BB5_4 Depth=1
	s_or_b32 exec_lo, exec_lo, s44
	s_delay_alu instid0(SALU_CYCLE_1)
	s_and_b32 s44, s45, exec_lo
.LBB5_96:                               ;   in Loop: Header=BB5_4 Depth=1
	s_or_b32 exec_lo, exec_lo, s43
	s_delay_alu instid0(SALU_CYCLE_1)
	s_and_b32 s43, s44, exec_lo
.LBB5_97:                               ;   in Loop: Header=BB5_4 Depth=1
	s_or_b32 exec_lo, exec_lo, s42
	s_delay_alu instid0(SALU_CYCLE_1)
	s_and_b32 s42, s43, exec_lo
.LBB5_98:                               ;   in Loop: Header=BB5_4 Depth=1
	s_or_b32 exec_lo, exec_lo, s41
	s_delay_alu instid0(SALU_CYCLE_1)
	s_and_b32 s41, s42, exec_lo
.LBB5_99:                               ;   in Loop: Header=BB5_4 Depth=1
	s_or_b32 exec_lo, exec_lo, s40
	s_delay_alu instid0(SALU_CYCLE_1)
	s_and_b32 s40, s41, exec_lo
.LBB5_100:                              ;   in Loop: Header=BB5_4 Depth=1
	s_or_b32 exec_lo, exec_lo, s39
	s_delay_alu instid0(SALU_CYCLE_1)
	s_and_b32 s39, s40, exec_lo
.LBB5_101:                              ;   in Loop: Header=BB5_4 Depth=1
	s_or_b32 exec_lo, exec_lo, s38
	s_delay_alu instid0(SALU_CYCLE_1)
	s_and_b32 s38, s39, exec_lo
.LBB5_102:                              ;   in Loop: Header=BB5_4 Depth=1
	s_or_b32 exec_lo, exec_lo, s37
	s_delay_alu instid0(SALU_CYCLE_1)
	s_and_b32 s37, s38, exec_lo
.LBB5_103:                              ;   in Loop: Header=BB5_4 Depth=1
	s_or_b32 exec_lo, exec_lo, s36
	s_delay_alu instid0(SALU_CYCLE_1)
	s_and_b32 s36, s37, exec_lo
.LBB5_104:                              ;   in Loop: Header=BB5_4 Depth=1
	s_or_b32 exec_lo, exec_lo, s35
	s_delay_alu instid0(SALU_CYCLE_1)
	s_and_b32 s35, s36, exec_lo
.LBB5_105:                              ;   in Loop: Header=BB5_4 Depth=1
	s_or_b32 exec_lo, exec_lo, s34
	s_delay_alu instid0(SALU_CYCLE_1)
	s_and_b32 s34, s35, exec_lo
.LBB5_106:                              ;   in Loop: Header=BB5_4 Depth=1
	s_or_b32 exec_lo, exec_lo, s33
	s_delay_alu instid0(SALU_CYCLE_1)
	s_and_b32 s33, s34, exec_lo
.LBB5_107:                              ;   in Loop: Header=BB5_4 Depth=1
	s_or_b32 exec_lo, exec_lo, s31
	s_delay_alu instid0(SALU_CYCLE_1)
	s_and_b32 s31, s33, exec_lo
.LBB5_108:                              ;   in Loop: Header=BB5_4 Depth=1
	s_or_b32 exec_lo, exec_lo, s30
	s_delay_alu instid0(SALU_CYCLE_1)
	s_and_b32 s30, s31, exec_lo
.LBB5_109:                              ;   in Loop: Header=BB5_4 Depth=1
	s_or_b32 exec_lo, exec_lo, s29
	s_delay_alu instid0(SALU_CYCLE_1)
	s_and_b32 s29, s30, exec_lo
.LBB5_110:                              ;   in Loop: Header=BB5_4 Depth=1
	s_or_b32 exec_lo, exec_lo, s28
	s_delay_alu instid0(SALU_CYCLE_1)
	s_and_b32 s28, s29, exec_lo
.LBB5_111:                              ;   in Loop: Header=BB5_4 Depth=1
	s_or_b32 exec_lo, exec_lo, s27
	s_delay_alu instid0(SALU_CYCLE_1)
	s_and_b32 s27, s28, exec_lo
.LBB5_112:                              ;   in Loop: Header=BB5_4 Depth=1
	s_or_b32 exec_lo, exec_lo, s26
	s_delay_alu instid0(SALU_CYCLE_1)
	s_and_b32 s26, s27, exec_lo
.LBB5_113:                              ;   in Loop: Header=BB5_4 Depth=1
	s_or_b32 exec_lo, exec_lo, s25
	s_delay_alu instid0(SALU_CYCLE_1)
	s_and_b32 s25, s26, exec_lo
.LBB5_114:                              ;   in Loop: Header=BB5_4 Depth=1
	s_or_b32 exec_lo, exec_lo, s24
	s_delay_alu instid0(SALU_CYCLE_1)
	s_and_b32 s24, s25, exec_lo
.LBB5_115:                              ;   in Loop: Header=BB5_4 Depth=1
	s_or_b32 exec_lo, exec_lo, s23
	s_delay_alu instid0(SALU_CYCLE_1)
	s_and_b32 s23, s24, exec_lo
.LBB5_116:                              ;   in Loop: Header=BB5_4 Depth=1
	s_or_b32 exec_lo, exec_lo, s22
	s_delay_alu instid0(SALU_CYCLE_1)
	s_and_b32 s22, s23, exec_lo
.LBB5_117:                              ;   in Loop: Header=BB5_4 Depth=1
	s_or_b32 exec_lo, exec_lo, s21
	s_delay_alu instid0(SALU_CYCLE_1)
	s_and_b32 s21, s22, exec_lo
.LBB5_118:                              ;   in Loop: Header=BB5_4 Depth=1
	s_or_b32 exec_lo, exec_lo, s20
	s_delay_alu instid0(SALU_CYCLE_1)
	s_and_b32 s20, s21, exec_lo
.LBB5_119:                              ;   in Loop: Header=BB5_4 Depth=1
	s_or_b32 exec_lo, exec_lo, s19
	s_delay_alu instid0(SALU_CYCLE_1)
	s_and_b32 s19, s20, exec_lo
.LBB5_120:                              ;   in Loop: Header=BB5_4 Depth=1
	s_or_b32 exec_lo, exec_lo, s18
	s_delay_alu instid0(SALU_CYCLE_1)
	s_and_b32 s18, s19, exec_lo
.LBB5_121:                              ;   in Loop: Header=BB5_4 Depth=1
	s_or_b32 exec_lo, exec_lo, s17
	s_delay_alu instid0(SALU_CYCLE_1)
	s_and_b32 s17, s18, exec_lo
.LBB5_122:                              ;   in Loop: Header=BB5_4 Depth=1
	s_or_b32 exec_lo, exec_lo, s16
	s_delay_alu instid0(SALU_CYCLE_1)
	s_and_b32 s16, s17, exec_lo
.LBB5_123:                              ;   in Loop: Header=BB5_4 Depth=1
	s_or_b32 exec_lo, exec_lo, s15
	s_delay_alu instid0(SALU_CYCLE_1)
	s_and_b32 s15, s16, exec_lo
.LBB5_124:                              ;   in Loop: Header=BB5_4 Depth=1
	s_or_b32 exec_lo, exec_lo, s14
	s_delay_alu instid0(SALU_CYCLE_1)
	s_and_b32 s14, s15, exec_lo
.LBB5_125:                              ;   in Loop: Header=BB5_4 Depth=1
	s_or_b32 exec_lo, exec_lo, s13
	s_delay_alu instid0(SALU_CYCLE_1)
	s_and_b32 s13, s14, exec_lo
.LBB5_126:                              ;   in Loop: Header=BB5_4 Depth=1
	s_or_b32 exec_lo, exec_lo, s12
	s_delay_alu instid0(SALU_CYCLE_1)
	s_and_b32 s12, s13, exec_lo
.LBB5_127:                              ;   in Loop: Header=BB5_4 Depth=1
	s_wait_alu 0xfffe
	s_or_b32 exec_lo, exec_lo, s11
	s_delay_alu instid0(SALU_CYCLE_1)
	s_and_b32 s11, s12, exec_lo
.LBB5_128:                              ;   in Loop: Header=BB5_4 Depth=1
	s_wait_alu 0xfffe
	s_or_b32 exec_lo, exec_lo, s10
	s_delay_alu instid0(SALU_CYCLE_1)
	s_and_b32 s10, s11, exec_lo
.LBB5_129:                              ;   in Loop: Header=BB5_4 Depth=1
	s_wait_alu 0xfffe
	s_or_b32 exec_lo, exec_lo, s9
	v_cndmask_b32_e64 v1, 0, 1, s10
	s_mov_b32 s11, exec_lo
	s_delay_alu instid0(VALU_DEP_1)
	v_cmp_ne_u32_e32 vcc_lo, 0, v1
	s_and_saveexec_b32 s9, s0
	s_cbranch_execz .LBB5_3
; %bb.130:                              ;   in Loop: Header=BB5_4 Depth=1
	s_wait_alu 0xfffe
	s_cmp_eq_u32 vcc_lo, s11
	s_cselect_b32 s10, -1, 0
	s_wait_alu 0xfffe
	v_cndmask_b32_e64 v1, 0, 1, s10
	ds_store_b32 v5, v1
	s_branch .LBB5_3
.LBB5_131:                              ;   in Loop: Header=BB5_4 Depth=1
	s_cbranch_execz .LBB5_4
.LBB5_132:
	s_mov_b32 s0, exec_lo
	v_cmpx_eq_u32_e32 0, v0
	s_cbranch_execz .LBB5_134
; %bb.133:
	s_mul_i32 s0, s1, ttmp7
	v_dual_mov_b32 v0, 0 :: v_dual_mov_b32 v1, s4
	s_add_co_i32 s0, s0, ttmp9
	s_delay_alu instid0(SALU_CYCLE_1) | instskip(NEXT) | instid1(SALU_CYCLE_1)
	s_ashr_i32 s1, s0, 31
	s_lshl_b64 s[0:1], s[0:1], 2
	s_delay_alu instid0(SALU_CYCLE_1)
	s_add_nc_u64 s[0:1], s[2:3], s[0:1]
	global_store_b32 v0, v1, s[0:1]
.LBB5_134:
	s_endpgm
	.section	.rodata,"a",@progbits
	.p2align	6, 0x0
	.amdhsa_kernel _ZL25flash_attn_mask_to_KV_maxILi32EEvPK7__half2Piiii
		.amdhsa_group_segment_fixed_size 128
		.amdhsa_private_segment_fixed_size 0
		.amdhsa_kernarg_size 288
		.amdhsa_user_sgpr_count 2
		.amdhsa_user_sgpr_dispatch_ptr 0
		.amdhsa_user_sgpr_queue_ptr 0
		.amdhsa_user_sgpr_kernarg_segment_ptr 1
		.amdhsa_user_sgpr_dispatch_id 0
		.amdhsa_user_sgpr_private_segment_size 0
		.amdhsa_wavefront_size32 1
		.amdhsa_uses_dynamic_stack 0
		.amdhsa_enable_private_segment 0
		.amdhsa_system_sgpr_workgroup_id_x 1
		.amdhsa_system_sgpr_workgroup_id_y 1
		.amdhsa_system_sgpr_workgroup_id_z 0
		.amdhsa_system_sgpr_workgroup_info 0
		.amdhsa_system_vgpr_workitem_id 0
		.amdhsa_next_free_vgpr 9
		.amdhsa_next_free_sgpr 74
		.amdhsa_reserve_vcc 1
		.amdhsa_float_round_mode_32 0
		.amdhsa_float_round_mode_16_64 0
		.amdhsa_float_denorm_mode_32 3
		.amdhsa_float_denorm_mode_16_64 3
		.amdhsa_fp16_overflow 0
		.amdhsa_workgroup_processor_mode 1
		.amdhsa_memory_ordered 1
		.amdhsa_forward_progress 1
		.amdhsa_inst_pref_size 37
		.amdhsa_round_robin_scheduling 0
		.amdhsa_exception_fp_ieee_invalid_op 0
		.amdhsa_exception_fp_denorm_src 0
		.amdhsa_exception_fp_ieee_div_zero 0
		.amdhsa_exception_fp_ieee_overflow 0
		.amdhsa_exception_fp_ieee_underflow 0
		.amdhsa_exception_fp_ieee_inexact 0
		.amdhsa_exception_int_div_zero 0
	.end_amdhsa_kernel
	.section	.text._ZL25flash_attn_mask_to_KV_maxILi32EEvPK7__half2Piiii,"axG",@progbits,_ZL25flash_attn_mask_to_KV_maxILi32EEvPK7__half2Piiii,comdat
.Lfunc_end5:
	.size	_ZL25flash_attn_mask_to_KV_maxILi32EEvPK7__half2Piiii, .Lfunc_end5-_ZL25flash_attn_mask_to_KV_maxILi32EEvPK7__half2Piiii
                                        ; -- End function
	.set _ZL25flash_attn_mask_to_KV_maxILi32EEvPK7__half2Piiii.num_vgpr, 9
	.set _ZL25flash_attn_mask_to_KV_maxILi32EEvPK7__half2Piiii.num_agpr, 0
	.set _ZL25flash_attn_mask_to_KV_maxILi32EEvPK7__half2Piiii.numbered_sgpr, 74
	.set _ZL25flash_attn_mask_to_KV_maxILi32EEvPK7__half2Piiii.num_named_barrier, 0
	.set _ZL25flash_attn_mask_to_KV_maxILi32EEvPK7__half2Piiii.private_seg_size, 0
	.set _ZL25flash_attn_mask_to_KV_maxILi32EEvPK7__half2Piiii.uses_vcc, 1
	.set _ZL25flash_attn_mask_to_KV_maxILi32EEvPK7__half2Piiii.uses_flat_scratch, 0
	.set _ZL25flash_attn_mask_to_KV_maxILi32EEvPK7__half2Piiii.has_dyn_sized_stack, 0
	.set _ZL25flash_attn_mask_to_KV_maxILi32EEvPK7__half2Piiii.has_recursion, 0
	.set _ZL25flash_attn_mask_to_KV_maxILi32EEvPK7__half2Piiii.has_indirect_call, 0
	.section	.AMDGPU.csdata,"",@progbits
; Kernel info:
; codeLenInByte = 4720
; TotalNumSgprs: 76
; NumVgprs: 9
; ScratchSize: 0
; MemoryBound: 0
; FloatMode: 240
; IeeeMode: 1
; LDSByteSize: 128 bytes/workgroup (compile time only)
; SGPRBlocks: 0
; VGPRBlocks: 1
; NumSGPRsForWavesPerEU: 76
; NumVGPRsForWavesPerEU: 9
; Occupancy: 16
; WaveLimiterHint : 0
; COMPUTE_PGM_RSRC2:SCRATCH_EN: 0
; COMPUTE_PGM_RSRC2:USER_SGPR: 2
; COMPUTE_PGM_RSRC2:TRAP_HANDLER: 0
; COMPUTE_PGM_RSRC2:TGID_X_EN: 1
; COMPUTE_PGM_RSRC2:TGID_Y_EN: 1
; COMPUTE_PGM_RSRC2:TGID_Z_EN: 0
; COMPUTE_PGM_RSRC2:TIDIG_COMP_CNT: 0
	.section	.text._ZL33flash_attn_stream_k_fixup_uniformILi64ELi32ELi2EEvPfPK15HIP_vector_typeIfLj2EEiiiiiiS1_IjLj3EES5_S5_,"axG",@progbits,_ZL33flash_attn_stream_k_fixup_uniformILi64ELi32ELi2EEvPfPK15HIP_vector_typeIfLj2EEiiiiiiS1_IjLj3EES5_S5_,comdat
	.globl	_ZL33flash_attn_stream_k_fixup_uniformILi64ELi32ELi2EEvPfPK15HIP_vector_typeIfLj2EEiiiiiiS1_IjLj3EES5_S5_ ; -- Begin function _ZL33flash_attn_stream_k_fixup_uniformILi64ELi32ELi2EEvPfPK15HIP_vector_typeIfLj2EEiiiiiiS1_IjLj3EES5_S5_
	.p2align	8
	.type	_ZL33flash_attn_stream_k_fixup_uniformILi64ELi32ELi2EEvPfPK15HIP_vector_typeIfLj2EEiiiiiiS1_IjLj3EES5_S5_,@function
_ZL33flash_attn_stream_k_fixup_uniformILi64ELi32ELi2EEvPfPK15HIP_vector_typeIfLj2EEiiiiiiS1_IjLj3EES5_S5_: ; @_ZL33flash_attn_stream_k_fixup_uniformILi64ELi32ELi2EEvPfPK15HIP_vector_typeIfLj2EEiiiiiiS1_IjLj3EES5_S5_
; %bb.0:
	s_clause 0x1
	s_load_b256 s[4:11], s[0:1], 0x1c
	s_load_b128 s[12:15], s[0:1], 0x3c
	s_wait_kmcnt 0x0
	s_mul_hi_u32 s2, s7, ttmp9
	s_delay_alu instid0(SALU_CYCLE_1) | instskip(NEXT) | instid1(SALU_CYCLE_1)
	s_add_co_i32 s2, ttmp9, s2
	s_lshr_b32 s2, s2, s8
	s_delay_alu instid0(SALU_CYCLE_1) | instskip(SKIP_2) | instid1(SALU_CYCLE_1)
	s_mul_i32 s3, s2, s9
	s_load_b64 s[8:9], s[0:1], 0x10
	s_sub_co_i32 s7, ttmp9, s3
	s_mul_hi_u32 s3, s7, s10
	s_delay_alu instid0(SALU_CYCLE_1) | instskip(NEXT) | instid1(SALU_CYCLE_1)
	s_add_co_i32 s3, s7, s3
	s_lshr_b32 s3, s3, s11
	s_delay_alu instid0(SALU_CYCLE_1) | instskip(NEXT) | instid1(SALU_CYCLE_1)
	s_mul_i32 s10, s3, s12
	s_sub_co_i32 s7, s7, s10
	s_delay_alu instid0(SALU_CYCLE_1) | instskip(NEXT) | instid1(SALU_CYCLE_1)
	s_mul_hi_u32 s10, s7, s13
	s_add_co_i32 s10, s7, s10
	s_delay_alu instid0(SALU_CYCLE_1) | instskip(NEXT) | instid1(SALU_CYCLE_1)
	s_lshr_b32 s12, s10, s14
	s_mul_i32 s10, s12, s15
	s_lshl_b32 s12, s12, 1
	s_sub_co_i32 s11, s7, s10
	s_and_b32 s7, ttmp7, 0xffff
	s_lshl_b32 s13, s11, 5
	s_lshr_b32 s10, ttmp7, 16
	s_add_co_i32 s13, s13, s7
	s_wait_kmcnt 0x0
	s_cmp_lt_i32 s13, s8
	s_cselect_b32 s13, -1, 0
	s_add_co_i32 s14, s12, s10
	s_delay_alu instid0(SALU_CYCLE_1) | instskip(SKIP_1) | instid1(SALU_CYCLE_1)
	s_cmp_lt_i32 s14, s5
	s_cselect_b32 s14, -1, 0
	s_and_b32 s13, s13, s14
	s_delay_alu instid0(SALU_CYCLE_1)
	s_and_not1_b32 vcc_lo, exec_lo, s13
	s_cbranch_vccnz .LBB6_6
; %bb.1:
	s_mul_i32 s2, s2, s8
	s_mul_i32 s5, s3, s5
	s_add_co_i32 s2, s2, s7
	s_delay_alu instid0(SALU_CYCLE_1) | instskip(NEXT) | instid1(SALU_CYCLE_1)
	s_mul_i32 s2, s2, s9
	s_add_co_i32 s8, s2, s10
	s_load_b128 s[0:3], s[0:1], 0x0
	s_add_co_i32 s5, s8, s5
	s_mul_i32 s8, s9, s11
	s_add_co_i32 s5, s5, s12
	s_lshl_b32 s8, s8, 11
	s_lshl_b32 s5, s5, 6
	s_delay_alu instid0(SALU_CYCLE_1)
	s_add_co_i32 s8, s8, s5
	s_lshl_b32 s5, s7, 1
	v_or_b32_e32 v1, s8, v0
	s_mul_i32 s8, s6, ttmp9
	s_wait_alu 0xfffe
	s_add_co_i32 s9, s8, s6
	s_wait_alu 0xfffe
	s_add_co_i32 s12, s9, -2
	v_ashrrev_i32_e32 v2, 31, v1
	s_delay_alu instid0(VALU_DEP_1) | instskip(SKIP_1) | instid1(VALU_DEP_1)
	v_lshlrev_b64_e32 v[1:2], 2, v[1:2]
	s_wait_kmcnt 0x0
	v_add_co_u32 v1, vcc_lo, s0, v1
	s_delay_alu instid0(VALU_DEP_1)
	v_add_co_ci_u32_e64 v2, null, s1, v2, vcc_lo
	s_add_co_i32 s0, s5, s10
	s_lshl_b32 s1, s9, 6
	global_load_b32 v5, v[1:2], off
	s_wait_alu 0xfffe
	s_add_co_i32 s0, s0, s1
	s_wait_alu 0xfffe
	s_sub_co_i32 s0, s0, 64
	s_wait_alu 0xfffe
	s_ashr_i32 s1, s0, 31
	s_wait_alu 0xfffe
	s_lshl_b64 s[0:1], s[0:1], 3
	s_cmp_lt_i32 s12, s8
	s_wait_alu 0xfffe
	s_add_nc_u64 s[0:1], s[2:3], s[0:1]
	s_load_b32 s11, s[0:1], 0x4
	s_cbranch_scc1 .LBB6_4
; %bb.2:
	s_load_b32 s0, s[0:1], 0x0
	s_add_co_i32 s13, ttmp9, 1
	s_lshl_b32 s12, s4, 8
	s_mul_i32 s1, s6, s13
	s_lshl_b32 s6, s7, 7
	s_lshl_b32 s7, s10, 6
	s_wait_alu 0xfffe
	s_lshl_b32 s14, s1, 12
	s_add_co_i32 s6, s7, s6
	s_lshl_b32 s1, s1, 6
	s_add_co_i32 s14, s6, s14
	s_wait_alu 0xfffe
	s_add_co_i32 s1, s10, s1
	v_or_b32_e32 v0, s14, v0
	s_lshl_b32 s4, s4, 6
	s_ashr_i32 s13, s12, 31
	s_wait_alu 0xfffe
	s_add_co_i32 s1, s1, s4
	s_wait_kmcnt 0x0
	v_dual_mov_b32 v6, s11 :: v_dual_add_nc_u32 v3, 0xffffe000, v0
	s_lshl_b64 s[6:7], s[12:13], 2
	s_wait_alu 0xfffe
	s_add_co_i32 s4, s1, s5
	s_add_nc_u64 s[6:7], s[2:3], s[6:7]
	s_add_co_i32 s1, s9, -1
	s_addk_co_i32 s4, 0xff80
.LBB6_3:                                ; =>This Inner Loop Header: Depth=1
	v_ashrrev_i32_e32 v4, 31, v3
	s_ashr_i32 s5, s4, 31
	v_mov_b32_e32 v10, v6
	s_lshl_b64 s[10:11], s[4:5], 3
	s_wait_loadcnt 0x0
	v_mov_b32_e32 v9, v5
	v_lshlrev_b64_e32 v[7:8], 2, v[3:4]
	s_wait_alu 0xfffe
	s_add_nc_u64 s[10:11], s[2:3], s[10:11]
	v_max_num_f32_e64 v4, s0, s0
	s_load_b64 s[10:11], s[10:11], 0x0
	v_add_nc_u32_e32 v3, 0xfffff000, v3
	v_add_co_u32 v7, vcc_lo, s6, v7
	s_wait_alu 0xfffd
	v_add_co_ci_u32_e64 v8, null, s7, v8, vcc_lo
	v_readfirstlane_b32 s5, v4
	global_load_b32 v0, v[7:8], off
	s_wait_kmcnt 0x0
	v_max_num_f32_e64 v4, s10, s10
	s_delay_alu instid0(VALU_DEP_1) | instskip(SKIP_1) | instid1(SALU_CYCLE_3)
	v_readfirstlane_b32 s9, v4
	s_max_num_f32 s5, s5, s9
	s_sub_f32 s0, s0, s5
	s_sub_f32 s9, s10, s5
	s_wait_alu 0xfffe
	s_delay_alu instid0(SALU_CYCLE_1) | instskip(NEXT) | instid1(SALU_CYCLE_1)
	s_mul_f32 s10, s0, 0x3fb8aa3b
	s_mul_f32 s12, s9, 0x3fb8aa3b
	s_wait_alu 0xfffe
	s_delay_alu instid0(SALU_CYCLE_1)
	s_xor_b32 s13, s10, 0x80000000
	s_rndne_f32 s14, s10
	s_fmamk_f32 s13, s0, 0x3fb8aa3b, s13
	s_cmp_nlt_f32 s0, 0xc2ce8ed0
	s_rndne_f32 s15, s12
	s_wait_alu 0xfffe
	s_sub_f32 s10, s10, s14
	s_fmamk_f32 s13, s0, 0x32a5705f, s13
	s_cvt_i32_f32 s14, s14
	s_cselect_b32 vcc_lo, -1, 0
	s_cmp_ngt_f32 s0, 0x42b17218
	s_wait_alu 0xfffe
	s_add_f32 s10, s10, s13
	s_sub_f32 s13, s12, s15
	s_wait_alu 0xfffe
	s_delay_alu instid0(SALU_CYCLE_1) | instskip(SKIP_1) | instid1(TRANS32_DEP_1)
	v_s_exp_f32 s10, s10
	s_wait_alu 0xf1ff
	v_ldexp_f32 v4, s10, s14
	s_cvt_i32_f32 s10, s15
	s_delay_alu instid0(VALU_DEP_1) | instskip(SKIP_3) | instid1(VALU_DEP_1)
	v_cndmask_b32_e32 v4, 0, v4, vcc_lo
	s_cselect_b32 vcc_lo, -1, 0
	s_cmp_ge_f32 s0, 0xc1a00000
	s_wait_alu 0xfffe
	v_cndmask_b32_e32 v4, 0x7f800000, v4, vcc_lo
	s_cselect_b32 vcc_lo, -1, 0
	s_xor_b32 s0, s12, 0x80000000
	s_cmp_nlt_f32 s9, 0xc2ce8ed0
	s_wait_alu 0xfffe
	s_fmamk_f32 s0, s9, 0x3fb8aa3b, s0
	s_wait_alu 0xfffe
	s_delay_alu instid0(SALU_CYCLE_2) | instskip(SKIP_1) | instid1(SALU_CYCLE_2)
	s_fmamk_f32 s0, s9, 0x32a5705f, s0
	s_wait_alu 0xfffe
	s_add_f32 s0, s13, s0
	s_wait_alu 0xfffe
	s_delay_alu instid0(SALU_CYCLE_2) | instskip(SKIP_1) | instid1(TRANS32_DEP_1)
	v_s_exp_f32 s0, s0
	s_wait_alu 0xf1ff
	v_ldexp_f32 v7, s0, s10
	s_cselect_b32 s0, -1, 0
	s_cmp_ngt_f32 s9, 0x42b17218
	s_wait_alu 0xfffe
	s_delay_alu instid0(VALU_DEP_1) | instskip(SKIP_3) | instid1(VALU_DEP_1)
	v_cndmask_b32_e64 v7, 0, v7, s0
	s_cselect_b32 s0, -1, 0
	s_cmp_ge_f32 s9, 0xc1a00000
	s_wait_alu 0xfffe
	v_cndmask_b32_e64 v7, 0x7f800000, v7, s0
	s_cselect_b32 s0, -1, 0
	s_add_co_i32 s1, s1, -1
	s_sub_co_i32 s4, s4, 64
	s_wait_alu 0xfffe
	s_cmp_le_i32 s1, s8
	v_cndmask_b32_e64 v7, 0, v7, s0
	s_mov_b32 s0, s5
	s_wait_loadcnt 0x0
	s_delay_alu instid0(VALU_DEP_1) | instskip(NEXT) | instid1(VALU_DEP_1)
	v_dual_mul_f32 v5, v0, v7 :: v_dual_cndmask_b32 v4, 0, v4
	v_dual_mul_f32 v8, s11, v7 :: v_dual_fmac_f32 v5, v9, v4
	s_delay_alu instid0(VALU_DEP_1) | instskip(NEXT) | instid1(VALU_DEP_1)
	v_mov_b32_e32 v6, v8
	v_fmac_f32_e32 v6, v10, v4
	s_cbranch_scc0 .LBB6_3
	s_branch .LBB6_5
.LBB6_4:
	s_wait_kmcnt 0x0
	v_mov_b32_e32 v6, s11
.LBB6_5:
	s_wait_loadcnt 0x0
	s_delay_alu instid0(VALU_DEP_1) | instskip(NEXT) | instid1(VALU_DEP_1)
	v_div_scale_f32 v0, null, v6, v6, v5
	v_rcp_f32_e32 v3, v0
	s_delay_alu instid0(TRANS32_DEP_1) | instskip(NEXT) | instid1(VALU_DEP_1)
	v_fma_f32 v4, -v0, v3, 1.0
	v_fmac_f32_e32 v3, v4, v3
	v_div_scale_f32 v4, vcc_lo, v5, v6, v5
	s_delay_alu instid0(VALU_DEP_1) | instskip(NEXT) | instid1(VALU_DEP_1)
	v_mul_f32_e32 v7, v4, v3
	v_fma_f32 v8, -v0, v7, v4
	s_delay_alu instid0(VALU_DEP_1) | instskip(NEXT) | instid1(VALU_DEP_1)
	v_fmac_f32_e32 v7, v8, v3
	v_fma_f32 v0, -v0, v7, v4
	s_wait_alu 0xfffd
	s_delay_alu instid0(VALU_DEP_1) | instskip(NEXT) | instid1(VALU_DEP_1)
	v_div_fmas_f32 v0, v0, v3, v7
	v_div_fixup_f32 v0, v0, v6, v5
	global_store_b32 v[1:2], v0, off
.LBB6_6:
	s_endpgm
	.section	.rodata,"a",@progbits
	.p2align	6, 0x0
	.amdhsa_kernel _ZL33flash_attn_stream_k_fixup_uniformILi64ELi32ELi2EEvPfPK15HIP_vector_typeIfLj2EEiiiiiiS1_IjLj3EES5_S5_
		.amdhsa_group_segment_fixed_size 0
		.amdhsa_private_segment_fixed_size 0
		.amdhsa_kernarg_size 76
		.amdhsa_user_sgpr_count 2
		.amdhsa_user_sgpr_dispatch_ptr 0
		.amdhsa_user_sgpr_queue_ptr 0
		.amdhsa_user_sgpr_kernarg_segment_ptr 1
		.amdhsa_user_sgpr_dispatch_id 0
		.amdhsa_user_sgpr_private_segment_size 0
		.amdhsa_wavefront_size32 1
		.amdhsa_uses_dynamic_stack 0
		.amdhsa_enable_private_segment 0
		.amdhsa_system_sgpr_workgroup_id_x 1
		.amdhsa_system_sgpr_workgroup_id_y 1
		.amdhsa_system_sgpr_workgroup_id_z 1
		.amdhsa_system_sgpr_workgroup_info 0
		.amdhsa_system_vgpr_workitem_id 0
		.amdhsa_next_free_vgpr 11
		.amdhsa_next_free_sgpr 16
		.amdhsa_reserve_vcc 1
		.amdhsa_float_round_mode_32 0
		.amdhsa_float_round_mode_16_64 0
		.amdhsa_float_denorm_mode_32 3
		.amdhsa_float_denorm_mode_16_64 3
		.amdhsa_fp16_overflow 0
		.amdhsa_workgroup_processor_mode 1
		.amdhsa_memory_ordered 1
		.amdhsa_forward_progress 1
		.amdhsa_inst_pref_size 9
		.amdhsa_round_robin_scheduling 0
		.amdhsa_exception_fp_ieee_invalid_op 0
		.amdhsa_exception_fp_denorm_src 0
		.amdhsa_exception_fp_ieee_div_zero 0
		.amdhsa_exception_fp_ieee_overflow 0
		.amdhsa_exception_fp_ieee_underflow 0
		.amdhsa_exception_fp_ieee_inexact 0
		.amdhsa_exception_int_div_zero 0
	.end_amdhsa_kernel
	.section	.text._ZL33flash_attn_stream_k_fixup_uniformILi64ELi32ELi2EEvPfPK15HIP_vector_typeIfLj2EEiiiiiiS1_IjLj3EES5_S5_,"axG",@progbits,_ZL33flash_attn_stream_k_fixup_uniformILi64ELi32ELi2EEvPfPK15HIP_vector_typeIfLj2EEiiiiiiS1_IjLj3EES5_S5_,comdat
.Lfunc_end6:
	.size	_ZL33flash_attn_stream_k_fixup_uniformILi64ELi32ELi2EEvPfPK15HIP_vector_typeIfLj2EEiiiiiiS1_IjLj3EES5_S5_, .Lfunc_end6-_ZL33flash_attn_stream_k_fixup_uniformILi64ELi32ELi2EEvPfPK15HIP_vector_typeIfLj2EEiiiiiiS1_IjLj3EES5_S5_
                                        ; -- End function
	.set _ZL33flash_attn_stream_k_fixup_uniformILi64ELi32ELi2EEvPfPK15HIP_vector_typeIfLj2EEiiiiiiS1_IjLj3EES5_S5_.num_vgpr, 11
	.set _ZL33flash_attn_stream_k_fixup_uniformILi64ELi32ELi2EEvPfPK15HIP_vector_typeIfLj2EEiiiiiiS1_IjLj3EES5_S5_.num_agpr, 0
	.set _ZL33flash_attn_stream_k_fixup_uniformILi64ELi32ELi2EEvPfPK15HIP_vector_typeIfLj2EEiiiiiiS1_IjLj3EES5_S5_.numbered_sgpr, 16
	.set _ZL33flash_attn_stream_k_fixup_uniformILi64ELi32ELi2EEvPfPK15HIP_vector_typeIfLj2EEiiiiiiS1_IjLj3EES5_S5_.num_named_barrier, 0
	.set _ZL33flash_attn_stream_k_fixup_uniformILi64ELi32ELi2EEvPfPK15HIP_vector_typeIfLj2EEiiiiiiS1_IjLj3EES5_S5_.private_seg_size, 0
	.set _ZL33flash_attn_stream_k_fixup_uniformILi64ELi32ELi2EEvPfPK15HIP_vector_typeIfLj2EEiiiiiiS1_IjLj3EES5_S5_.uses_vcc, 1
	.set _ZL33flash_attn_stream_k_fixup_uniformILi64ELi32ELi2EEvPfPK15HIP_vector_typeIfLj2EEiiiiiiS1_IjLj3EES5_S5_.uses_flat_scratch, 0
	.set _ZL33flash_attn_stream_k_fixup_uniformILi64ELi32ELi2EEvPfPK15HIP_vector_typeIfLj2EEiiiiiiS1_IjLj3EES5_S5_.has_dyn_sized_stack, 0
	.set _ZL33flash_attn_stream_k_fixup_uniformILi64ELi32ELi2EEvPfPK15HIP_vector_typeIfLj2EEiiiiiiS1_IjLj3EES5_S5_.has_recursion, 0
	.set _ZL33flash_attn_stream_k_fixup_uniformILi64ELi32ELi2EEvPfPK15HIP_vector_typeIfLj2EEiiiiiiS1_IjLj3EES5_S5_.has_indirect_call, 0
	.section	.AMDGPU.csdata,"",@progbits
; Kernel info:
; codeLenInByte = 1140
; TotalNumSgprs: 18
; NumVgprs: 11
; ScratchSize: 0
; MemoryBound: 0
; FloatMode: 240
; IeeeMode: 1
; LDSByteSize: 0 bytes/workgroup (compile time only)
; SGPRBlocks: 0
; VGPRBlocks: 1
; NumSGPRsForWavesPerEU: 18
; NumVGPRsForWavesPerEU: 11
; Occupancy: 16
; WaveLimiterHint : 0
; COMPUTE_PGM_RSRC2:SCRATCH_EN: 0
; COMPUTE_PGM_RSRC2:USER_SGPR: 2
; COMPUTE_PGM_RSRC2:TRAP_HANDLER: 0
; COMPUTE_PGM_RSRC2:TGID_X_EN: 1
; COMPUTE_PGM_RSRC2:TGID_Y_EN: 1
; COMPUTE_PGM_RSRC2:TGID_Z_EN: 1
; COMPUTE_PGM_RSRC2:TIDIG_COMP_CNT: 0
	.section	.text._ZL33flash_attn_stream_k_fixup_generalILi64ELi32ELi2EEvPfPK15HIP_vector_typeIfLj2EEiiiiS1_IjLj3EES5_S5_S5_,"axG",@progbits,_ZL33flash_attn_stream_k_fixup_generalILi64ELi32ELi2EEvPfPK15HIP_vector_typeIfLj2EEiiiiS1_IjLj3EES5_S5_S5_,comdat
	.globl	_ZL33flash_attn_stream_k_fixup_generalILi64ELi32ELi2EEvPfPK15HIP_vector_typeIfLj2EEiiiiS1_IjLj3EES5_S5_S5_ ; -- Begin function _ZL33flash_attn_stream_k_fixup_generalILi64ELi32ELi2EEvPfPK15HIP_vector_typeIfLj2EEiiiiS1_IjLj3EES5_S5_S5_
	.p2align	8
	.type	_ZL33flash_attn_stream_k_fixup_generalILi64ELi32ELi2EEvPfPK15HIP_vector_typeIfLj2EEiiiiS1_IjLj3EES5_S5_S5_,@function
_ZL33flash_attn_stream_k_fixup_generalILi64ELi32ELi2EEvPfPK15HIP_vector_typeIfLj2EEiiiiS1_IjLj3EES5_S5_S5_: ; @_ZL33flash_attn_stream_k_fixup_generalILi64ELi32ELi2EEvPfPK15HIP_vector_typeIfLj2EEiiiiS1_IjLj3EES5_S5_S5_
; %bb.0:
	s_clause 0x1
	s_load_b128 s[4:7], s[0:1], 0x10
	s_load_b32 s16, s[0:1], 0x50
	s_mov_b32 s2, ttmp9
	s_ashr_i32 s3, ttmp9, 31
	s_mov_b32 s17, 0
	s_delay_alu instid0(SALU_CYCLE_1) | instskip(SKIP_3) | instid1(SALU_CYCLE_1)
	s_mov_b32 s8, s17
	s_wait_kmcnt 0x0
	s_ashr_i32 s19, s7, 31
	s_mov_b32 s18, s7
	s_mul_u64 s[2:3], s[18:19], s[2:3]
	s_delay_alu instid0(SALU_CYCLE_1) | instskip(NEXT) | instid1(SALU_CYCLE_1)
	s_mov_b32 s9, s3
	s_cmp_lg_u64 s[8:9], 0
	s_cbranch_scc0 .LBB7_21
; %bb.1:
	s_add_nc_u64 s[8:9], s[16:17], 0
	s_mov_b32 s15, s17
	s_xor_b64 s[8:9], s[8:9], 0
	s_mov_b32 s23, s17
	s_cvt_f32_u32 s7, s8
	s_cvt_f32_u32 s10, s9
	s_sub_nc_u64 s[12:13], 0, s[8:9]
	s_delay_alu instid0(SALU_CYCLE_2) | instskip(NEXT) | instid1(SALU_CYCLE_3)
	s_fmamk_f32 s7, s10, 0x4f800000, s7
	v_s_rcp_f32 s7, s7
	s_delay_alu instid0(TRANS32_DEP_1) | instskip(SKIP_1) | instid1(SALU_CYCLE_2)
	s_mul_f32 s7, s7, 0x5f7ffffc
	s_wait_alu 0xfffe
	s_mul_f32 s10, s7, 0x2f800000
	s_delay_alu instid0(SALU_CYCLE_3) | instskip(NEXT) | instid1(SALU_CYCLE_3)
	s_trunc_f32 s10, s10
	s_fmamk_f32 s7, s10, 0xcf800000, s7
	s_cvt_u32_f32 s11, s10
	s_wait_alu 0xfffe
	s_delay_alu instid0(SALU_CYCLE_1) | instskip(NEXT) | instid1(SALU_CYCLE_3)
	s_cvt_u32_f32 s10, s7
	s_mul_u64 s[20:21], s[12:13], s[10:11]
	s_delay_alu instid0(SALU_CYCLE_1)
	s_mul_hi_u32 s25, s10, s21
	s_mul_i32 s24, s10, s21
	s_mul_hi_u32 s14, s10, s20
	s_mul_i32 s22, s11, s20
	s_add_nc_u64 s[14:15], s[14:15], s[24:25]
	s_mul_hi_u32 s7, s11, s20
	s_mul_hi_u32 s26, s11, s21
	s_add_co_u32 s14, s14, s22
	s_wait_alu 0xfffe
	s_add_co_ci_u32 s22, s15, s7
	s_mul_i32 s20, s11, s21
	s_add_co_ci_u32 s21, s26, 0
	s_delay_alu instid0(SALU_CYCLE_1)
	s_add_nc_u64 s[14:15], s[22:23], s[20:21]
	s_mov_b32 s21, s17
	s_add_co_u32 s10, s10, s14
	s_cselect_b32 s7, -1, 0
	s_wait_alu 0xfffe
	s_cmp_lg_u32 s7, 0
	s_add_co_ci_u32 s11, s11, s15
	s_mov_b32 s15, s17
	s_mul_u64 s[12:13], s[12:13], s[10:11]
	s_delay_alu instid0(SALU_CYCLE_1)
	s_mul_hi_u32 s23, s10, s13
	s_mul_i32 s22, s10, s13
	s_mul_hi_u32 s14, s10, s12
	s_mul_i32 s20, s11, s12
	s_add_nc_u64 s[14:15], s[14:15], s[22:23]
	s_mul_hi_u32 s7, s11, s12
	s_mul_hi_u32 s24, s11, s13
	s_mul_i32 s12, s11, s13
	s_add_co_u32 s13, s14, s20
	s_wait_alu 0xfffe
	s_add_co_ci_u32 s20, s15, s7
	s_add_co_ci_u32 s13, s24, 0
	s_mov_b32 s15, s17
	s_add_nc_u64 s[12:13], s[20:21], s[12:13]
	s_delay_alu instid0(SALU_CYCLE_1) | instskip(SKIP_1) | instid1(SALU_CYCLE_1)
	s_add_co_u32 s7, s10, s12
	s_cselect_b32 s10, -1, 0
	s_cmp_lg_u32 s10, 0
	s_add_co_ci_u32 s20, s11, s13
	s_ashr_i32 s10, s3, 31
	s_delay_alu instid0(SALU_CYCLE_1) | instskip(NEXT) | instid1(SALU_CYCLE_1)
	s_mov_b32 s11, s10
	s_add_nc_u64 s[12:13], s[2:3], s[10:11]
	s_delay_alu instid0(SALU_CYCLE_1) | instskip(NEXT) | instid1(SALU_CYCLE_1)
	s_xor_b64 s[12:13], s[12:13], s[10:11]
	s_mul_hi_u32 s23, s12, s20
	s_mul_i32 s22, s12, s20
	s_wait_alu 0xfffe
	s_mul_hi_u32 s14, s12, s7
	s_mul_hi_u32 s24, s13, s7
	s_mul_i32 s7, s13, s7
	s_add_nc_u64 s[14:15], s[14:15], s[22:23]
	s_mul_hi_u32 s3, s13, s20
	s_wait_alu 0xfffe
	s_add_co_u32 s7, s14, s7
	s_mul_i32 s22, s13, s20
	s_add_co_ci_u32 s20, s15, s24
	s_add_co_ci_u32 s23, s3, 0
	s_delay_alu instid0(SALU_CYCLE_1) | instskip(NEXT) | instid1(SALU_CYCLE_1)
	s_add_nc_u64 s[14:15], s[20:21], s[22:23]
	s_mul_u64 s[20:21], s[8:9], s[14:15]
	s_delay_alu instid0(SALU_CYCLE_1)
	s_sub_co_u32 s3, s12, s20
	s_cselect_b32 s7, -1, 0
	s_sub_co_i32 s12, s13, s21
	s_wait_alu 0xfffe
	s_cmp_lg_u32 s7, 0
	s_sub_co_ci_u32 s12, s12, s9
	s_sub_co_u32 s20, s3, s8
	s_cselect_b32 s22, -1, 0
	s_delay_alu instid0(SALU_CYCLE_1) | instskip(SKIP_2) | instid1(SALU_CYCLE_1)
	s_cmp_lg_u32 s22, 0
	s_add_nc_u64 s[22:23], s[14:15], 1
	s_sub_co_ci_u32 s12, s12, 0
	s_cmp_ge_u32 s12, s9
	s_cselect_b32 s24, -1, 0
	s_cmp_ge_u32 s20, s8
	s_cselect_b32 s20, -1, 0
	s_cmp_eq_u32 s12, s9
	s_cselect_b32 s12, s20, s24
	s_add_nc_u64 s[24:25], s[14:15], 2
	s_cmp_lg_u32 s12, 0
	s_cselect_b32 s12, s24, s22
	s_cselect_b32 s20, s25, s23
	s_cmp_lg_u32 s7, 0
	s_sub_co_ci_u32 s7, s13, s21
	s_wait_alu 0xfffe
	s_cmp_ge_u32 s7, s9
	s_cselect_b32 s13, -1, 0
	s_cmp_ge_u32 s3, s8
	s_cselect_b32 s3, -1, 0
	s_cmp_eq_u32 s7, s9
	s_cselect_b32 s3, s3, s13
	s_delay_alu instid0(SALU_CYCLE_1) | instskip(SKIP_4) | instid1(SALU_CYCLE_1)
	s_cmp_lg_u32 s3, 0
	s_mov_b32 s3, s17
	s_cselect_b32 s9, s20, s15
	s_cselect_b32 s8, s12, s14
	s_xor_b64 s[10:11], s[10:11], 0
	s_xor_b64 s[8:9], s[8:9], s[10:11]
	s_delay_alu instid0(SALU_CYCLE_1)
	s_sub_nc_u64 s[20:21], s[8:9], s[10:11]
	s_and_not1_b32 vcc_lo, exec_lo, s3
	s_cbranch_vccnz .LBB7_3
.LBB7_2:
	v_cvt_f32_u32_e32 v1, s16
	s_sub_co_i32 s7, 0, s16
	s_delay_alu instid0(VALU_DEP_1) | instskip(NEXT) | instid1(TRANS32_DEP_1)
	v_rcp_iflag_f32_e32 v1, v1
	v_mul_f32_e32 v1, 0x4f7ffffe, v1
	s_delay_alu instid0(VALU_DEP_1) | instskip(NEXT) | instid1(VALU_DEP_1)
	v_cvt_u32_f32_e32 v1, v1
	v_readfirstlane_b32 s3, v1
	s_wait_alu 0xfffe
	s_mul_i32 s7, s7, s3
	s_wait_alu 0xfffe
	s_mul_hi_u32 s7, s3, s7
	s_wait_alu 0xfffe
	s_add_co_i32 s3, s3, s7
	s_delay_alu instid0(SALU_CYCLE_1) | instskip(NEXT) | instid1(SALU_CYCLE_1)
	s_mul_hi_u32 s3, s2, s3
	s_mul_i32 s7, s3, s16
	s_wait_alu 0xfffe
	s_sub_co_i32 s2, s2, s7
	s_add_co_i32 s7, s3, 1
	s_sub_co_i32 s8, s2, s16
	s_cmp_ge_u32 s2, s16
	s_wait_alu 0xfffe
	s_cselect_b32 s3, s7, s3
	s_cselect_b32 s2, s8, s2
	s_add_co_i32 s7, s3, 1
	s_cmp_ge_u32 s2, s16
	s_wait_alu 0xfffe
	s_cselect_b32 s20, s7, s3
.LBB7_3:
	s_add_co_i32 s2, ttmp9, 1
	s_mov_b32 s8, 0
	s_ashr_i32 s3, s2, 31
	s_delay_alu instid0(SALU_CYCLE_1) | instskip(NEXT) | instid1(SALU_CYCLE_1)
	s_mul_u64 s[2:3], s[18:19], s[2:3]
	s_mov_b32 s9, s3
	s_delay_alu instid0(SALU_CYCLE_1)
	s_cmp_lg_u64 s[8:9], 0
	s_cbranch_scc0 .LBB7_22
; %bb.4:
	s_add_nc_u64 s[10:11], s[16:17], 0
	s_mov_b32 s23, s8
	s_xor_b64 s[10:11], s[10:11], 0
	s_mov_b32 s27, s8
	s_cvt_f32_u32 s7, s10
	s_cvt_f32_u32 s9, s11
	s_sub_nc_u64 s[14:15], 0, s[10:11]
	s_wait_alu 0xfffe
	s_delay_alu instid0(SALU_CYCLE_1) | instskip(SKIP_1) | instid1(SALU_CYCLE_2)
	s_fmamk_f32 s7, s9, 0x4f800000, s7
	s_wait_alu 0xfffe
	v_s_rcp_f32 s7, s7
	s_delay_alu instid0(TRANS32_DEP_1) | instskip(SKIP_1) | instid1(SALU_CYCLE_2)
	s_mul_f32 s7, s7, 0x5f7ffffc
	s_wait_alu 0xfffe
	s_mul_f32 s9, s7, 0x2f800000
	s_delay_alu instid0(SALU_CYCLE_3) | instskip(NEXT) | instid1(SALU_CYCLE_3)
	s_trunc_f32 s9, s9
	s_fmamk_f32 s7, s9, 0xcf800000, s7
	s_cvt_u32_f32 s13, s9
	s_wait_alu 0xfffe
	s_delay_alu instid0(SALU_CYCLE_1) | instskip(NEXT) | instid1(SALU_CYCLE_3)
	s_cvt_u32_f32 s12, s7
	s_mul_u64 s[24:25], s[14:15], s[12:13]
	s_delay_alu instid0(SALU_CYCLE_1)
	s_mul_hi_u32 s29, s12, s25
	s_mul_i32 s28, s12, s25
	s_mul_hi_u32 s22, s12, s24
	s_mul_i32 s9, s13, s24
	s_add_nc_u64 s[22:23], s[22:23], s[28:29]
	s_mul_hi_u32 s7, s13, s24
	s_mul_hi_u32 s21, s13, s25
	s_add_co_u32 s9, s22, s9
	s_wait_alu 0xfffe
	s_add_co_ci_u32 s26, s23, s7
	s_mul_i32 s24, s13, s25
	s_add_co_ci_u32 s25, s21, 0
	s_delay_alu instid0(SALU_CYCLE_1)
	s_add_nc_u64 s[22:23], s[26:27], s[24:25]
	s_mov_b32 s25, s8
	s_add_co_u32 s12, s12, s22
	s_cselect_b32 s7, -1, 0
	s_wait_alu 0xfffe
	s_cmp_lg_u32 s7, 0
	s_add_co_ci_u32 s13, s13, s23
	s_mov_b32 s23, s8
	s_mul_u64 s[14:15], s[14:15], s[12:13]
	s_delay_alu instid0(SALU_CYCLE_1)
	s_mul_hi_u32 s27, s12, s15
	s_mul_i32 s26, s12, s15
	s_mul_hi_u32 s22, s12, s14
	s_mul_i32 s9, s13, s14
	s_add_nc_u64 s[22:23], s[22:23], s[26:27]
	s_mul_hi_u32 s7, s13, s14
	s_mul_hi_u32 s21, s13, s15
	s_add_co_u32 s9, s22, s9
	s_wait_alu 0xfffe
	s_add_co_ci_u32 s24, s23, s7
	s_mul_i32 s14, s13, s15
	s_add_co_ci_u32 s15, s21, 0
	s_mov_b32 s23, s8
	s_add_nc_u64 s[14:15], s[24:25], s[14:15]
	s_delay_alu instid0(SALU_CYCLE_1) | instskip(SKIP_1) | instid1(SALU_CYCLE_1)
	s_add_co_u32 s7, s12, s14
	s_cselect_b32 s9, -1, 0
	s_cmp_lg_u32 s9, 0
	s_add_co_ci_u32 s9, s13, s15
	s_ashr_i32 s12, s3, 31
	s_delay_alu instid0(SALU_CYCLE_1) | instskip(NEXT) | instid1(SALU_CYCLE_1)
	s_mov_b32 s13, s12
	s_add_nc_u64 s[14:15], s[2:3], s[12:13]
	s_delay_alu instid0(SALU_CYCLE_1) | instskip(NEXT) | instid1(SALU_CYCLE_1)
	s_xor_b64 s[14:15], s[14:15], s[12:13]
	s_mul_hi_u32 s27, s14, s9
	s_mul_i32 s26, s14, s9
	s_wait_alu 0xfffe
	s_mul_hi_u32 s22, s14, s7
	s_mul_hi_u32 s21, s15, s7
	s_mul_i32 s7, s15, s7
	s_add_nc_u64 s[22:23], s[22:23], s[26:27]
	s_mul_hi_u32 s3, s15, s9
	s_wait_alu 0xfffe
	s_add_co_u32 s7, s22, s7
	s_add_co_ci_u32 s24, s23, s21
	s_mul_i32 s26, s15, s9
	s_add_co_ci_u32 s27, s3, 0
	s_delay_alu instid0(SALU_CYCLE_1) | instskip(NEXT) | instid1(SALU_CYCLE_1)
	s_add_nc_u64 s[22:23], s[24:25], s[26:27]
	s_mul_u64 s[24:25], s[10:11], s[22:23]
	s_add_nc_u64 s[26:27], s[22:23], 1
	s_sub_co_u32 s3, s14, s24
	s_cselect_b32 s7, -1, 0
	s_sub_co_i32 s9, s15, s25
	s_wait_alu 0xfffe
	s_cmp_lg_u32 s7, 0
	s_add_nc_u64 s[28:29], s[22:23], 2
	s_sub_co_ci_u32 s9, s9, s11
	s_sub_co_u32 s14, s3, s10
	s_cselect_b32 s21, -1, 0
	s_delay_alu instid0(SALU_CYCLE_1) | instskip(SKIP_1) | instid1(SALU_CYCLE_1)
	s_cmp_lg_u32 s21, 0
	s_sub_co_ci_u32 s9, s9, 0
	s_cmp_ge_u32 s9, s11
	s_cselect_b32 s21, -1, 0
	s_cmp_ge_u32 s14, s10
	s_cselect_b32 s14, -1, 0
	s_cmp_eq_u32 s9, s11
	s_cselect_b32 s9, s14, s21
	s_delay_alu instid0(SALU_CYCLE_1)
	s_cmp_lg_u32 s9, 0
	s_cselect_b32 s9, s28, s26
	s_cselect_b32 s14, s29, s27
	s_cmp_lg_u32 s7, 0
	s_sub_co_ci_u32 s7, s15, s25
	s_wait_alu 0xfffe
	s_cmp_ge_u32 s7, s11
	s_cselect_b32 s15, -1, 0
	s_cmp_ge_u32 s3, s10
	s_cselect_b32 s3, -1, 0
	s_cmp_eq_u32 s7, s11
	s_cselect_b32 s3, s3, s15
	s_delay_alu instid0(SALU_CYCLE_1) | instskip(SKIP_3) | instid1(SALU_CYCLE_1)
	s_cmp_lg_u32 s3, 0
	s_cselect_b32 s11, s14, s23
	s_cselect_b32 s10, s9, s22
	s_xor_b64 s[12:13], s[12:13], 0
	s_xor_b64 s[10:11], s[10:11], s[12:13]
	s_delay_alu instid0(SALU_CYCLE_1)
	s_sub_nc_u64 s[10:11], s[10:11], s[12:13]
	s_load_b96 s[12:14], s[0:1], 0x44
	s_and_not1_b32 vcc_lo, exec_lo, s8
	s_cbranch_vccnz .LBB7_6
.LBB7_5:
	v_cvt_f32_u32_e32 v1, s16
	s_sub_co_i32 s7, 0, s16
	s_delay_alu instid0(VALU_DEP_1) | instskip(NEXT) | instid1(TRANS32_DEP_1)
	v_rcp_iflag_f32_e32 v1, v1
	v_mul_f32_e32 v1, 0x4f7ffffe, v1
	s_delay_alu instid0(VALU_DEP_1) | instskip(NEXT) | instid1(VALU_DEP_1)
	v_cvt_u32_f32_e32 v1, v1
	v_readfirstlane_b32 s3, v1
	s_wait_alu 0xfffe
	s_mul_i32 s7, s7, s3
	s_wait_alu 0xfffe
	s_mul_hi_u32 s7, s3, s7
	s_wait_alu 0xfffe
	s_add_co_i32 s3, s3, s7
	s_delay_alu instid0(SALU_CYCLE_1) | instskip(NEXT) | instid1(SALU_CYCLE_1)
	s_mul_hi_u32 s3, s2, s3
	s_mul_i32 s7, s3, s16
	s_wait_alu 0xfffe
	s_sub_co_i32 s2, s2, s7
	s_add_co_i32 s7, s3, 1
	s_sub_co_i32 s8, s2, s16
	s_cmp_ge_u32 s2, s16
	s_wait_alu 0xfffe
	s_cselect_b32 s3, s7, s3
	s_cselect_b32 s2, s8, s2
	s_add_co_i32 s7, s3, 1
	s_cmp_ge_u32 s2, s16
	s_wait_alu 0xfffe
	s_cselect_b32 s10, s7, s3
.LBB7_6:
	s_mov_b32 s21, 0
	s_wait_kmcnt 0x0
	s_mov_b32 s22, s12
	s_mov_b32 s23, s21
	s_cmp_eq_u32 s20, s10
	s_mul_u64 s[2:3], s[20:21], s[22:23]
	s_cselect_b32 s7, -1, 0
	s_add_co_i32 s2, s3, s20
	s_mov_b32 s11, s21
	s_lshr_b32 s12, s2, s13
	s_mul_u64 s[2:3], s[10:11], s[22:23]
	s_mul_i32 s2, s12, s14
	s_delay_alu instid0(SALU_CYCLE_1) | instskip(SKIP_2) | instid1(SALU_CYCLE_1)
	s_cmp_eq_u32 s2, s20
	s_cselect_b32 s2, -1, 0
	s_add_co_i32 s3, s3, s10
	s_lshr_b32 s3, s3, s13
	s_delay_alu instid0(SALU_CYCLE_1)
	s_cmp_eq_u32 s12, s3
	s_mul_i32 s3, s3, s14
	s_cselect_b32 s8, -1, 0
	s_cmp_lg_u32 s3, s10
	s_cselect_b32 s3, -1, 0
	s_wait_alu 0xfffe
	s_or_b32 s2, s7, s2
	s_and_b32 s3, s8, s3
	s_delay_alu instid0(SALU_CYCLE_1) | instskip(NEXT) | instid1(SALU_CYCLE_1)
	s_or_b32 s2, s2, s3
	s_and_b32 vcc_lo, exec_lo, s2
	s_cbranch_vccnz .LBB7_24
; %bb.7:
	s_load_b256 s[24:31], s[0:1], 0x20
	s_mov_b32 s3, s21
	s_wait_kmcnt 0x0
	s_mov_b32 s2, s24
	s_delay_alu instid0(SALU_CYCLE_1) | instskip(NEXT) | instid1(SALU_CYCLE_1)
	s_mul_u64 s[2:3], s[20:21], s[2:3]
	s_add_co_i32 s2, s3, s20
	s_delay_alu instid0(SALU_CYCLE_1) | instskip(SKIP_2) | instid1(SALU_CYCLE_1)
	s_lshr_b32 s7, s2, s25
	s_load_b32 s2, s[0:1], 0x40
	s_mul_i32 s3, s7, s26
	s_sub_co_i32 s3, s20, s3
	s_delay_alu instid0(SALU_CYCLE_1) | instskip(NEXT) | instid1(SALU_CYCLE_1)
	s_mul_hi_u32 s8, s3, s27
	s_add_co_i32 s8, s3, s8
	s_delay_alu instid0(SALU_CYCLE_1) | instskip(NEXT) | instid1(SALU_CYCLE_1)
	s_lshr_b32 s8, s8, s28
	s_mul_i32 s9, s8, s29
	s_delay_alu instid0(SALU_CYCLE_1) | instskip(NEXT) | instid1(SALU_CYCLE_1)
	s_sub_co_i32 s9, s3, s9
	s_mul_hi_u32 s3, s9, s30
	s_delay_alu instid0(SALU_CYCLE_1) | instskip(NEXT) | instid1(SALU_CYCLE_1)
	s_add_co_i32 s3, s9, s3
	s_lshr_b32 s24, s3, s31
	s_mov_b32 s3, s21
	s_wait_kmcnt 0x0
	s_mul_i32 s2, s24, s2
	s_lshl_b32 s21, s24, 1
	s_sub_co_i32 s2, s9, s2
	s_delay_alu instid0(SALU_CYCLE_1) | instskip(SKIP_2) | instid1(SALU_CYCLE_1)
	s_mul_u64 s[10:11], s[2:3], s[22:23]
	s_lshr_b32 s3, ttmp7, 16
	s_add_co_i32 s2, s2, s11
	s_lshr_b32 s15, s2, s13
	s_and_b32 s2, ttmp7, 0xffff
	s_lshl_b32 s9, s15, 5
	s_delay_alu instid0(SALU_CYCLE_1) | instskip(NEXT) | instid1(SALU_CYCLE_1)
	s_add_co_i32 s9, s9, s2
	s_cmp_lt_i32 s9, s4
	s_cselect_b32 s9, -1, 0
	s_add_co_i32 s10, s21, s3
	s_delay_alu instid0(SALU_CYCLE_1) | instskip(SKIP_1) | instid1(SALU_CYCLE_1)
	s_cmp_lt_i32 s10, s6
	s_cselect_b32 s10, -1, 0
	s_and_b32 s9, s9, s10
	s_delay_alu instid0(SALU_CYCLE_1)
	s_and_not1_b32 vcc_lo, exec_lo, s9
	s_cbranch_vccnz .LBB7_24
; %bb.8:
	s_mul_i32 s4, s7, s4
	s_mul_i32 s6, s8, s6
	s_add_co_i32 s4, s4, s2
	s_load_b128 s[8:11], s[0:1], 0x0
	s_mul_i32 s4, s4, s5
	s_mul_i32 s1, s5, s15
	s_add_co_i32 s4, s4, s3
	s_lshl_b32 s1, s1, 11
	s_add_co_i32 s0, s4, s6
	s_lshl_b32 s15, s2, 1
	s_add_co_i32 s0, s0, s21
	s_add_co_i32 s15, s15, s3
	s_lshl_b32 s0, s0, 6
	v_cvt_f32_u32_e32 v4, s16
	s_add_co_i32 s1, s1, s0
	s_add_co_i32 s34, ttmp9, -1
	v_or_b32_e32 v1, s1, v0
	s_add_nc_u64 s[0:1], s[16:17], 0
	v_rcp_iflag_f32_e32 v4, v4
	s_wait_alu 0xfffe
	s_xor_b64 s[6:7], s[0:1], 0
	s_lshl_b32 s0, ttmp9, 6
	v_ashrrev_i32_e32 v2, 31, v1
	s_wait_alu 0xfffe
	s_cvt_f32_u32 s1, s6
	s_cvt_f32_u32 s2, s7
	s_add_co_i32 s0, s15, s0
	v_lshl_or_b32 v0, s15, 6, v0
	v_lshlrev_b64_e32 v[1:2], 2, v[1:2]
	s_wait_alu 0xfffe
	s_fmamk_f32 s2, s2, 0x4f800000, s1
	s_ashr_i32 s1, s0, 31
	s_sub_nc_u64 s[30:31], 0, s[6:7]
	s_wait_alu 0xfffe
	s_lshl_b64 s[0:1], s[0:1], 3
	v_s_rcp_f32 s2, s2
	s_wait_kmcnt 0x0
	v_add_co_u32 v1, vcc_lo, s8, v1
	s_delay_alu instid0(VALU_DEP_1)
	v_add_co_ci_u32_e64 v2, null, s9, v2, vcc_lo
	s_wait_alu 0xfffe
	s_add_nc_u64 s[0:1], s[10:11], s[0:1]
	s_mov_b32 s8, 0
	s_load_b64 s[26:27], s[0:1], 0x0
	global_load_b32 v3, v[1:2], off
	s_mul_f32 s2, s2, 0x5f7ffffc
	v_mul_f32_e32 v4, 0x4f7ffffe, v4
	s_lshl_b32 s0, s16, 8
	s_wait_alu 0xfffe
	s_mul_f32 s1, s2, 0x2f800000
	s_wait_alu 0xfffe
	s_delay_alu instid0(SALU_CYCLE_2)
	s_trunc_f32 s3, s1
	s_mov_b32 s1, s8
	s_wait_alu 0xfffe
	s_lshl_b64 s[0:1], s[0:1], 2
	s_fmamk_f32 s2, s3, 0xcf800000, s2
	s_cvt_u32_f32 s29, s3
	s_wait_alu 0xfffe
	s_add_nc_u64 s[24:25], s[10:11], s[0:1]
	s_cvt_u32_f32 s28, s2
	s_wait_kmcnt 0x0
	v_mov_b32_e32 v5, s27
	v_cvt_u32_f32_e32 v4, v4
.LBB7_9:                                ; =>This Inner Loop Header: Depth=1
	s_wait_alu 0xfffe
	s_ashr_i32 s35, s34, 31
	s_mov_b32 s2, -1
	s_wait_alu 0xfffe
	s_mul_u64 s[0:1], s[34:35], s[18:19]
                                        ; implicit-def: $sgpr38_sgpr39
	s_wait_alu 0xfffe
	s_mov_b32 s9, s1
	s_wait_alu 0xfffe
	s_cmp_lg_u64 s[8:9], 0
	s_cbranch_scc0 .LBB7_11
; %bb.10:                               ;   in Loop: Header=BB7_9 Depth=1
	s_mul_u64 s[2:3], s[30:31], s[28:29]
	s_mov_b32 s37, s8
	s_wait_alu 0xfffe
	s_mul_hi_u32 s5, s28, s3
	s_mul_i32 s4, s28, s3
	s_mul_hi_u32 s36, s28, s2
	s_mul_hi_u32 s9, s29, s2
	s_wait_alu 0xfffe
	s_add_nc_u64 s[4:5], s[36:37], s[4:5]
	s_mul_i32 s2, s29, s2
	s_mul_hi_u32 s17, s29, s3
	s_wait_alu 0xfffe
	s_add_co_u32 s2, s4, s2
	s_add_co_ci_u32 s2, s5, s9
	s_add_co_ci_u32 s5, s17, 0
	s_mul_i32 s4, s29, s3
	s_mov_b32 s3, s8
	s_mov_b32 s39, s8
	s_wait_alu 0xfffe
	s_add_nc_u64 s[2:3], s[2:3], s[4:5]
	s_wait_alu 0xfffe
	s_add_co_u32 s2, s28, s2
	s_cselect_b32 s4, -1, 0
	s_wait_alu 0xfffe
	s_cmp_lg_u32 s4, 0
	s_add_co_ci_u32 s3, s29, s3
	s_wait_alu 0xfffe
	s_mul_u64 s[4:5], s[30:31], s[2:3]
	s_wait_alu 0xfffe
	s_mul_hi_u32 s37, s2, s5
	s_mul_i32 s36, s2, s5
	s_mul_hi_u32 s38, s2, s4
	s_mul_hi_u32 s9, s3, s4
	s_mul_i32 s4, s3, s4
	s_wait_alu 0xfffe
	s_add_nc_u64 s[36:37], s[38:39], s[36:37]
	s_mul_hi_u32 s17, s3, s5
	s_wait_alu 0xfffe
	s_add_co_u32 s4, s36, s4
	s_add_co_ci_u32 s4, s37, s9
	s_add_co_ci_u32 s37, s17, 0
	s_mul_i32 s36, s3, s5
	s_mov_b32 s5, s8
	s_wait_alu 0xfffe
	s_add_nc_u64 s[4:5], s[4:5], s[36:37]
	s_mov_b32 s37, s8
	s_wait_alu 0xfffe
	s_add_co_u32 s9, s2, s4
	s_cselect_b32 s2, -1, 0
	s_wait_alu 0xfffe
	s_cmp_lg_u32 s2, 0
	s_add_co_ci_u32 s17, s3, s5
	s_ashr_i32 s2, s1, 31
	s_wait_alu 0xfffe
	s_mov_b32 s3, s2
	s_wait_alu 0xfffe
	s_add_nc_u64 s[4:5], s[0:1], s[2:3]
	s_wait_alu 0xfffe
	s_xor_b64 s[4:5], s[4:5], s[2:3]
	s_wait_alu 0xfffe
	s_mul_hi_u32 s39, s4, s17
	s_mul_i32 s38, s4, s17
	s_mul_hi_u32 s36, s4, s9
	s_mul_i32 s21, s5, s9
	s_wait_alu 0xfffe
	s_add_nc_u64 s[36:37], s[36:37], s[38:39]
	s_mul_hi_u32 s9, s5, s9
	s_mul_hi_u32 s1, s5, s17
	s_wait_alu 0xfffe
	s_add_co_u32 s21, s36, s21
	s_add_co_ci_u32 s36, s37, s9
	s_add_co_ci_u32 s39, s1, 0
	s_mul_i32 s38, s5, s17
	s_mov_b32 s37, s8
	s_wait_alu 0xfffe
	s_add_nc_u64 s[36:37], s[36:37], s[38:39]
	s_wait_alu 0xfffe
	s_mul_u64 s[38:39], s[6:7], s[36:37]
	s_add_nc_u64 s[40:41], s[36:37], 1
	s_sub_co_u32 s1, s4, s38
	s_cselect_b32 s4, -1, 0
	s_sub_co_i32 s9, s5, s39
	s_wait_alu 0xfffe
	s_cmp_lg_u32 s4, 0
	s_add_nc_u64 s[42:43], s[36:37], 2
	s_sub_co_ci_u32 s9, s9, s7
	s_sub_co_u32 s17, s1, s6
	s_cselect_b32 s21, -1, 0
	s_delay_alu instid0(SALU_CYCLE_1)
	s_cmp_lg_u32 s21, 0
	s_wait_alu 0xfffe
	s_sub_co_ci_u32 s9, s9, 0
	s_wait_alu 0xfffe
	s_cmp_ge_u32 s9, s7
	s_cselect_b32 s21, -1, 0
	s_cmp_ge_u32 s17, s6
	s_cselect_b32 s17, -1, 0
	s_cmp_eq_u32 s9, s7
	s_wait_alu 0xfffe
	s_cselect_b32 s9, s17, s21
	s_wait_alu 0xfffe
	s_cmp_lg_u32 s9, 0
	s_cselect_b32 s9, s42, s40
	s_cselect_b32 s17, s43, s41
	s_cmp_lg_u32 s4, 0
	s_sub_co_ci_u32 s4, s5, s39
	s_wait_alu 0xfffe
	s_cmp_ge_u32 s4, s7
	s_cselect_b32 s5, -1, 0
	s_cmp_ge_u32 s1, s6
	s_cselect_b32 s1, -1, 0
	s_cmp_eq_u32 s4, s7
	s_wait_alu 0xfffe
	s_cselect_b32 s1, s1, s5
	s_wait_alu 0xfffe
	s_cmp_lg_u32 s1, 0
	s_cselect_b32 s5, s17, s37
	s_cselect_b32 s4, s9, s36
	s_xor_b64 s[2:3], s[2:3], 0
	s_wait_alu 0xfffe
	s_xor_b64 s[4:5], s[4:5], s[2:3]
	s_wait_alu 0xfffe
	s_sub_nc_u64 s[38:39], s[4:5], s[2:3]
	s_mov_b32 s2, 0
.LBB7_11:                               ;   in Loop: Header=BB7_9 Depth=1
	s_wait_alu 0xfffe
	s_and_not1_b32 vcc_lo, exec_lo, s2
	s_wait_alu 0xfffe
	s_cbranch_vccnz .LBB7_13
; %bb.12:                               ;   in Loop: Header=BB7_9 Depth=1
	v_readfirstlane_b32 s1, v4
	s_sub_co_i32 s2, 0, s16
	s_wait_alu 0xfffe
	s_mul_i32 s2, s2, s1
	s_wait_alu 0xfffe
	s_mul_hi_u32 s2, s1, s2
	s_wait_alu 0xfffe
	s_add_co_i32 s1, s1, s2
	s_wait_alu 0xfffe
	s_mul_hi_u32 s1, s0, s1
	s_wait_alu 0xfffe
	s_mul_i32 s2, s1, s16
	s_wait_alu 0xfffe
	s_sub_co_i32 s0, s0, s2
	s_add_co_i32 s2, s1, 1
	s_wait_alu 0xfffe
	s_sub_co_i32 s3, s0, s16
	s_cmp_ge_u32 s0, s16
	s_cselect_b32 s1, s2, s1
	s_wait_alu 0xfffe
	s_cselect_b32 s0, s3, s0
	s_add_co_i32 s2, s1, 1
	s_wait_alu 0xfffe
	s_cmp_ge_u32 s0, s16
	s_cselect_b32 s38, s2, s1
.LBB7_13:                               ;   in Loop: Header=BB7_9 Depth=1
	v_readfirstlane_b32 s9, v0
	s_cmp_lg_u32 s20, s38
	s_mov_b32 s0, -1
                                        ; implicit-def: $sgpr21
                                        ; implicit-def: $vgpr6
                                        ; implicit-def: $vgpr7
                                        ; implicit-def: $sgpr17
                                        ; implicit-def: $sgpr27
	s_cbranch_scc1 .LBB7_16
; %bb.14:                               ;   in Loop: Header=BB7_9 Depth=1
	s_wait_alu 0xfffe
	s_and_not1_b32 vcc_lo, exec_lo, s0
	s_wait_alu 0xfffe
	s_cbranch_vccz .LBB7_19
.LBB7_15:                               ;   in Loop: Header=BB7_9 Depth=1
	s_and_not1_b32 vcc_lo, exec_lo, s21
	s_wait_alu 0xfffe
	s_cbranch_vccnz .LBB7_20
	s_branch .LBB7_23
.LBB7_16:                               ;   in Loop: Header=BB7_9 Depth=1
	s_add_co_i32 s0, s34, s16
	s_mov_b32 s1, s8
	s_wait_alu 0xfffe
	s_lshl_b32 s0, s0, 6
	v_max_num_f32_e64 v6, s26, s26
	s_wait_alu 0xfffe
	s_add_co_i32 s0, s0, s15
	s_mov_b32 s39, s8
	s_wait_alu 0xfffe
	s_lshl_b64 s[0:1], s[0:1], 3
	s_mul_u64 s[40:41], s[38:39], s[22:23]
	s_wait_alu 0xfffe
	s_add_nc_u64 s[0:1], s[10:11], s[0:1]
	s_mov_b32 s27, s20
	s_load_b64 s[36:37], s[0:1], 0x0
	v_readfirstlane_b32 s0, v6
	s_wait_kmcnt 0x0
	v_max_num_f32_e64 v7, s36, s36
	s_delay_alu instid0(VALU_DEP_1) | instskip(SKIP_2) | instid1(SALU_CYCLE_2)
	v_readfirstlane_b32 s1, v7
	s_max_num_f32 s9, s0, s1
	s_wait_alu 0xfffe
	s_sub_f32 s33, s26, s9
	s_sub_f32 s35, s36, s9
	s_wait_alu 0xfffe
	s_delay_alu instid0(SALU_CYCLE_1)
	s_cmp_nlt_f32 s33, 0xc2ce8ed0
	s_cselect_b32 s0, -1, 0
	s_cmp_ngt_f32 s33, 0x42b17218
	s_cselect_b32 s1, -1, 0
	s_cmp_ge_f32 s33, 0xc1a00000
	s_cselect_b32 s2, -1, 0
	s_cmp_nlt_f32 s35, 0xc2ce8ed0
	s_cselect_b32 s3, -1, 0
	s_cmp_ngt_f32 s35, 0x42b17218
	s_cselect_b32 s4, -1, 0
	s_cmp_ge_f32 s35, 0xc1a00000
	s_cselect_b32 s5, -1, 0
	s_add_co_i32 s17, s41, s38
	s_wait_alu 0xfffe
	s_lshr_b32 s17, s17, s13
	s_wait_alu 0xfffe
	s_mul_i32 s21, s17, s14
	s_delay_alu instid0(SALU_CYCLE_1)
	s_cmp_eq_u32 s21, s38
	s_cselect_b32 s21, -1, 0
	s_cmp_lt_u32 s17, s12
	s_cselect_b32 s17, -1, 0
	s_wait_alu 0xfffe
	s_or_b32 s17, s17, s21
	s_mov_b32 s21, -1
	s_wait_alu 0xfffe
	s_and_b32 vcc_lo, exec_lo, s17
	s_mov_b32 s17, s34
	s_wait_alu 0xfffe
	s_cbranch_vccnz .LBB7_18
; %bb.17:                               ;   in Loop: Header=BB7_9 Depth=1
	s_add_co_i32 s17, s34, -1
	s_mov_b32 s21, 0
	s_mov_b32 s27, s38
.LBB7_18:                               ;   in Loop: Header=BB7_9 Depth=1
	v_lshl_add_u32 v6, s34, 12, v0
	s_mul_f32 s36, s35, 0x3fb8aa3b
	s_mul_f32 s38, s33, 0x3fb8aa3b
	s_wait_alu 0xfffe
	s_delay_alu instid0(SALU_CYCLE_1)
	s_xor_b32 s39, s36, 0x80000000
	v_ashrrev_i32_e32 v7, 31, v6
	s_rndne_f32 s40, s36
	s_fmamk_f32 s39, s35, 0x3fb8aa3b, s39
	s_xor_b32 s41, s38, 0x80000000
	s_rndne_f32 s42, s38
	v_lshlrev_b64_e32 v[6:7], 2, v[6:7]
	s_sub_f32 s36, s36, s40
	s_fmamk_f32 s35, s35, 0x32a5705f, s39
	s_fmamk_f32 s39, s33, 0x3fb8aa3b, s41
	s_sub_f32 s38, s38, s42
	s_delay_alu instid0(VALU_DEP_1)
	v_add_co_u32 v6, vcc_lo, s24, v6
	s_wait_alu 0xfffd
	v_add_co_ci_u32_e64 v7, null, s25, v7, vcc_lo
	s_wait_alu 0xfffe
	s_add_f32 s35, s36, s35
	s_fmamk_f32 s33, s33, 0x32a5705f, s39
	s_cvt_i32_f32 s36, s40
	global_load_b32 v6, v[6:7], off
	s_wait_alu 0xfffe
	v_s_exp_f32 s35, s35
	s_add_f32 s33, s38, s33
	s_wait_alu 0xfffe
	s_delay_alu instid0(SALU_CYCLE_2) | instskip(NEXT) | instid1(TRANS32_DEP_2)
	v_s_exp_f32 s33, s33
	v_ldexp_f32 v7, s35, s36
	s_cvt_i32_f32 s35, s42
	s_wait_alu 0xf1fe
	s_delay_alu instid0(TRANS32_DEP_1) | instid1(SALU_CYCLE_2)
	v_ldexp_f32 v8, s33, s35
	s_delay_alu instid0(VALU_DEP_2) | instskip(NEXT) | instid1(VALU_DEP_2)
	v_cndmask_b32_e64 v7, 0, v7, s3
	v_cndmask_b32_e64 v8, 0, v8, s0
	s_delay_alu instid0(VALU_DEP_2) | instskip(NEXT) | instid1(VALU_DEP_2)
	v_cndmask_b32_e64 v7, 0x7f800000, v7, s4
	v_cndmask_b32_e64 v8, 0x7f800000, v8, s1
	;; [unrolled: 3-line block ×3, first 2 shown]
	s_wait_loadcnt 0x0
	s_delay_alu instid0(VALU_DEP_2) | instskip(SKIP_1) | instid1(VALU_DEP_1)
	v_mul_f32_e32 v6, v6, v7
	v_mul_f32_e32 v7, s37, v7
	v_fmac_f32_e32 v7, v5, v8
	s_delay_alu instid0(VALU_DEP_3)
	v_fmac_f32_e32 v6, v3, v8
	s_cbranch_execnz .LBB7_15
.LBB7_19:                               ;   in Loop: Header=BB7_9 Depth=1
	s_wait_loadcnt 0x0
	v_dual_mov_b32 v7, v5 :: v_dual_mov_b32 v6, v3
	s_add_co_i32 s17, s34, -1
	s_mov_b32 s27, s20
	s_mov_b32 s9, s26
	s_cbranch_execz .LBB7_23
.LBB7_20:                               ;   in Loop: Header=BB7_9 Depth=1
	v_mov_b32_e32 v5, v7
	s_wait_loadcnt 0x0
	v_mov_b32_e32 v3, v6
	s_wait_alu 0xfffe
	s_mov_b32 s20, s27
	s_mov_b32 s34, s17
	;; [unrolled: 1-line block ×3, first 2 shown]
	s_branch .LBB7_9
.LBB7_21:
                                        ; implicit-def: $sgpr20_sgpr21
	s_branch .LBB7_2
.LBB7_22:
                                        ; implicit-def: $sgpr10_sgpr11
	s_load_b96 s[12:14], s[0:1], 0x44
	s_branch .LBB7_5
.LBB7_23:
	v_div_scale_f32 v0, null, v7, v7, v6
	s_wait_loadcnt 0x0
	s_delay_alu instid0(VALU_DEP_1) | instskip(NEXT) | instid1(TRANS32_DEP_1)
	v_rcp_f32_e32 v3, v0
	v_fma_f32 v4, -v0, v3, 1.0
	s_delay_alu instid0(VALU_DEP_1) | instskip(SKIP_1) | instid1(VALU_DEP_1)
	v_fmac_f32_e32 v3, v4, v3
	v_div_scale_f32 v4, vcc_lo, v6, v7, v6
	v_mul_f32_e32 v5, v4, v3
	s_delay_alu instid0(VALU_DEP_1) | instskip(NEXT) | instid1(VALU_DEP_1)
	v_fma_f32 v8, -v0, v5, v4
	v_fmac_f32_e32 v5, v8, v3
	s_delay_alu instid0(VALU_DEP_1) | instskip(SKIP_1) | instid1(VALU_DEP_1)
	v_fma_f32 v0, -v0, v5, v4
	s_wait_alu 0xfffd
	v_div_fmas_f32 v0, v0, v3, v5
	s_delay_alu instid0(VALU_DEP_1)
	v_div_fixup_f32 v0, v0, v7, v6
	global_store_b32 v[1:2], v0, off
.LBB7_24:
	s_endpgm
	.section	.rodata,"a",@progbits
	.p2align	6, 0x0
	.amdhsa_kernel _ZL33flash_attn_stream_k_fixup_generalILi64ELi32ELi2EEvPfPK15HIP_vector_typeIfLj2EEiiiiS1_IjLj3EES5_S5_S5_
		.amdhsa_group_segment_fixed_size 0
		.amdhsa_private_segment_fixed_size 0
		.amdhsa_kernarg_size 336
		.amdhsa_user_sgpr_count 2
		.amdhsa_user_sgpr_dispatch_ptr 0
		.amdhsa_user_sgpr_queue_ptr 0
		.amdhsa_user_sgpr_kernarg_segment_ptr 1
		.amdhsa_user_sgpr_dispatch_id 0
		.amdhsa_user_sgpr_private_segment_size 0
		.amdhsa_wavefront_size32 1
		.amdhsa_uses_dynamic_stack 0
		.amdhsa_enable_private_segment 0
		.amdhsa_system_sgpr_workgroup_id_x 1
		.amdhsa_system_sgpr_workgroup_id_y 1
		.amdhsa_system_sgpr_workgroup_id_z 1
		.amdhsa_system_sgpr_workgroup_info 0
		.amdhsa_system_vgpr_workitem_id 0
		.amdhsa_next_free_vgpr 9
		.amdhsa_next_free_sgpr 44
		.amdhsa_reserve_vcc 1
		.amdhsa_float_round_mode_32 0
		.amdhsa_float_round_mode_16_64 0
		.amdhsa_float_denorm_mode_32 3
		.amdhsa_float_denorm_mode_16_64 3
		.amdhsa_fp16_overflow 0
		.amdhsa_workgroup_processor_mode 1
		.amdhsa_memory_ordered 1
		.amdhsa_forward_progress 1
		.amdhsa_inst_pref_size 28
		.amdhsa_round_robin_scheduling 0
		.amdhsa_exception_fp_ieee_invalid_op 0
		.amdhsa_exception_fp_denorm_src 0
		.amdhsa_exception_fp_ieee_div_zero 0
		.amdhsa_exception_fp_ieee_overflow 0
		.amdhsa_exception_fp_ieee_underflow 0
		.amdhsa_exception_fp_ieee_inexact 0
		.amdhsa_exception_int_div_zero 0
	.end_amdhsa_kernel
	.section	.text._ZL33flash_attn_stream_k_fixup_generalILi64ELi32ELi2EEvPfPK15HIP_vector_typeIfLj2EEiiiiS1_IjLj3EES5_S5_S5_,"axG",@progbits,_ZL33flash_attn_stream_k_fixup_generalILi64ELi32ELi2EEvPfPK15HIP_vector_typeIfLj2EEiiiiS1_IjLj3EES5_S5_S5_,comdat
.Lfunc_end7:
	.size	_ZL33flash_attn_stream_k_fixup_generalILi64ELi32ELi2EEvPfPK15HIP_vector_typeIfLj2EEiiiiS1_IjLj3EES5_S5_S5_, .Lfunc_end7-_ZL33flash_attn_stream_k_fixup_generalILi64ELi32ELi2EEvPfPK15HIP_vector_typeIfLj2EEiiiiS1_IjLj3EES5_S5_S5_
                                        ; -- End function
	.set _ZL33flash_attn_stream_k_fixup_generalILi64ELi32ELi2EEvPfPK15HIP_vector_typeIfLj2EEiiiiS1_IjLj3EES5_S5_S5_.num_vgpr, 9
	.set _ZL33flash_attn_stream_k_fixup_generalILi64ELi32ELi2EEvPfPK15HIP_vector_typeIfLj2EEiiiiS1_IjLj3EES5_S5_S5_.num_agpr, 0
	.set _ZL33flash_attn_stream_k_fixup_generalILi64ELi32ELi2EEvPfPK15HIP_vector_typeIfLj2EEiiiiS1_IjLj3EES5_S5_S5_.numbered_sgpr, 44
	.set _ZL33flash_attn_stream_k_fixup_generalILi64ELi32ELi2EEvPfPK15HIP_vector_typeIfLj2EEiiiiS1_IjLj3EES5_S5_S5_.num_named_barrier, 0
	.set _ZL33flash_attn_stream_k_fixup_generalILi64ELi32ELi2EEvPfPK15HIP_vector_typeIfLj2EEiiiiS1_IjLj3EES5_S5_S5_.private_seg_size, 0
	.set _ZL33flash_attn_stream_k_fixup_generalILi64ELi32ELi2EEvPfPK15HIP_vector_typeIfLj2EEiiiiS1_IjLj3EES5_S5_S5_.uses_vcc, 1
	.set _ZL33flash_attn_stream_k_fixup_generalILi64ELi32ELi2EEvPfPK15HIP_vector_typeIfLj2EEiiiiS1_IjLj3EES5_S5_S5_.uses_flat_scratch, 0
	.set _ZL33flash_attn_stream_k_fixup_generalILi64ELi32ELi2EEvPfPK15HIP_vector_typeIfLj2EEiiiiS1_IjLj3EES5_S5_S5_.has_dyn_sized_stack, 0
	.set _ZL33flash_attn_stream_k_fixup_generalILi64ELi32ELi2EEvPfPK15HIP_vector_typeIfLj2EEiiiiS1_IjLj3EES5_S5_S5_.has_recursion, 0
	.set _ZL33flash_attn_stream_k_fixup_generalILi64ELi32ELi2EEvPfPK15HIP_vector_typeIfLj2EEiiiiS1_IjLj3EES5_S5_S5_.has_indirect_call, 0
	.section	.AMDGPU.csdata,"",@progbits
; Kernel info:
; codeLenInByte = 3548
; TotalNumSgprs: 46
; NumVgprs: 9
; ScratchSize: 0
; MemoryBound: 0
; FloatMode: 240
; IeeeMode: 1
; LDSByteSize: 0 bytes/workgroup (compile time only)
; SGPRBlocks: 0
; VGPRBlocks: 1
; NumSGPRsForWavesPerEU: 46
; NumVGPRsForWavesPerEU: 9
; Occupancy: 16
; WaveLimiterHint : 0
; COMPUTE_PGM_RSRC2:SCRATCH_EN: 0
; COMPUTE_PGM_RSRC2:USER_SGPR: 2
; COMPUTE_PGM_RSRC2:TRAP_HANDLER: 0
; COMPUTE_PGM_RSRC2:TGID_X_EN: 1
; COMPUTE_PGM_RSRC2:TGID_Y_EN: 1
; COMPUTE_PGM_RSRC2:TGID_Z_EN: 1
; COMPUTE_PGM_RSRC2:TIDIG_COMP_CNT: 0
	.section	.text._ZL26flash_attn_combine_resultsILi64EEvPKfPK15HIP_vector_typeIfLj2EEPfi,"axG",@progbits,_ZL26flash_attn_combine_resultsILi64EEvPKfPK15HIP_vector_typeIfLj2EEPfi,comdat
	.globl	_ZL26flash_attn_combine_resultsILi64EEvPKfPK15HIP_vector_typeIfLj2EEPfi ; -- Begin function _ZL26flash_attn_combine_resultsILi64EEvPKfPK15HIP_vector_typeIfLj2EEPfi
	.p2align	8
	.type	_ZL26flash_attn_combine_resultsILi64EEvPKfPK15HIP_vector_typeIfLj2EEPfi,@function
_ZL26flash_attn_combine_resultsILi64EEvPKfPK15HIP_vector_typeIfLj2EEPfi: ; @_ZL26flash_attn_combine_resultsILi64EEvPKfPK15HIP_vector_typeIfLj2EEPfi
; %bb.0:
	s_clause 0x2
	s_load_b64 s[2:3], s[0:1], 0x20
	s_load_b96 s[8:10], s[0:1], 0x10
	s_load_b128 s[4:7], s[0:1], 0x0
	s_lshr_b32 s0, ttmp7, 16
	v_lshlrev_b32_e32 v5, 2, v0
	s_mov_b32 s12, exec_lo
	s_wait_kmcnt 0x0
	s_mul_i32 s0, s2, s0
	s_and_b32 s2, ttmp7, 0xffff
	s_add_co_i32 s0, s0, ttmp9
	s_lshl_b32 s1, s10, 1
	s_mul_i32 s11, s0, s3
	s_delay_alu instid0(SALU_CYCLE_1) | instskip(NEXT) | instid1(SALU_CYCLE_1)
	s_add_co_i32 s11, s11, s2
	s_mul_i32 s2, s11, s10
	v_cmpx_gt_i32_e64 s1, v0
	s_cbranch_execz .LBB8_3
; %bb.1:
	s_ashr_i32 s3, s2, 31
	v_dual_mov_b32 v4, v0 :: v_dual_add_nc_u32 v3, 0, v5
	s_lshl_b64 s[14:15], s[2:3], 3
	s_mov_b32 s3, 0
	s_add_nc_u64 s[6:7], s[6:7], s[14:15]
	s_delay_alu instid0(SALU_CYCLE_1)
	v_add_co_u32 v1, s0, s6, v5
	s_wait_alu 0xf1ff
	v_add_co_ci_u32_e64 v2, null, s7, 0, s0
.LBB8_2:                                ; =>This Inner Loop Header: Depth=1
	global_load_b32 v6, v[1:2], off
	v_add_nc_u32_e32 v4, 64, v4
	v_add_co_u32 v1, vcc_lo, 0x100, v1
	s_wait_alu 0xfffd
	v_add_co_ci_u32_e64 v2, null, 0, v2, vcc_lo
	s_delay_alu instid0(VALU_DEP_3)
	v_cmp_le_i32_e64 s0, s1, v4
	s_or_b32 s3, s0, s3
	s_wait_loadcnt 0x0
	ds_store_b32 v3, v6
	v_add_nc_u32_e32 v3, 0x100, v3
	s_and_not1_b32 exec_lo, exec_lo, s3
	s_cbranch_execnz .LBB8_2
.LBB8_3:
	s_or_b32 exec_lo, exec_lo, s12
	v_mov_b32_e32 v1, 0
	s_wait_dscnt 0x0
	s_barrier_signal -1
	s_barrier_wait -1
	global_inv scope:SCOPE_SE
	ds_load_b32 v6, v1
	s_cmp_lt_i32 s10, 2
	s_cbranch_scc1 .LBB8_11
; %bb.4:
	s_add_co_i32 s1, s10, -2
	s_add_co_i32 s0, s10, -1
	s_wait_alu 0xfffe
	s_cmp_lt_u32 s1, 7
	s_cbranch_scc1 .LBB8_8
; %bb.5:
	s_mov_b32 s3, 0
	s_add_co_i32 s1, 0, 8
	s_and_b32 s6, s0, -8
.LBB8_6:                                ; =>This Inner Loop Header: Depth=1
	s_wait_alu 0xfffe
	v_mov_b32_e32 v9, s1
	s_mov_b32 s7, s3
	s_add_co_i32 s3, s3, 8
	s_add_co_i32 s1, s1, 64
	s_cmp_eq_u32 s6, s3
	ds_load_2addr_b32 v[1:2], v9 offset1:2
	ds_load_2addr_b32 v[3:4], v9 offset0:4 offset1:6
	ds_load_2addr_b32 v[7:8], v9 offset0:8 offset1:10
	;; [unrolled: 1-line block ×3, first 2 shown]
	s_wait_dscnt 0x3
	v_max3_num_f32 v1, v6, v1, v2
	s_wait_dscnt 0x2
	s_delay_alu instid0(VALU_DEP_1) | instskip(SKIP_1) | instid1(VALU_DEP_1)
	v_max3_num_f32 v1, v1, v3, v4
	s_wait_dscnt 0x1
	v_max3_num_f32 v1, v1, v7, v8
	s_wait_dscnt 0x0
	s_delay_alu instid0(VALU_DEP_1)
	v_max3_num_f32 v6, v1, v9, v10
	s_cbranch_scc0 .LBB8_6
; %bb.7:
	s_wait_alu 0xfffe
	s_add_co_i32 s1, s7, 9
	s_and_b32 s0, s0, 7
	s_wait_alu 0xfffe
	s_cmp_eq_u32 s0, 0
	s_cbranch_scc0 .LBB8_9
	s_branch .LBB8_11
.LBB8_8:
	s_mov_b32 s1, 1
	s_and_b32 s0, s0, 7
	s_wait_alu 0xfffe
	s_cmp_eq_u32 s0, 0
	s_cbranch_scc1 .LBB8_11
.LBB8_9:
	s_lshl_b32 s1, s1, 3
	s_wait_alu 0xfffe
	s_add_co_i32 s1, s1, 0
.LBB8_10:                               ; =>This Inner Loop Header: Depth=1
	s_wait_dscnt 0x0
	s_wait_alu 0xfffe
	s_delay_alu instid0(VALU_DEP_1)
	v_dual_mov_b32 v1, s1 :: v_dual_max_num_f32 v2, v6, v6
	s_add_co_i32 s0, s0, -1
	s_add_co_i32 s1, s1, 8
	s_wait_alu 0xfffe
	s_cmp_lg_u32 s0, 0
	ds_load_b32 v1, v1
	s_wait_dscnt 0x0
	v_max_num_f32_e32 v1, v1, v1
	s_delay_alu instid0(VALU_DEP_1)
	v_max_num_f32_e32 v6, v2, v1
	s_cbranch_scc1 .LBB8_10
.LBB8_11:
	s_cmp_lt_i32 s10, 1
	s_cbranch_scc1 .LBB8_16
; %bb.12:
	s_lshl_b32 s0, s2, 6
	s_wait_alu 0xfffe
	s_ashr_i32 s1, s0, 31
	s_wait_alu 0xfffe
	s_lshl_b64 s[0:1], s[0:1], 2
	s_cmp_lt_u32 s10, 8
	s_wait_alu 0xfffe
	s_add_nc_u64 s[6:7], s[4:5], s[0:1]
	s_cbranch_scc1 .LBB8_17
; %bb.13:
	v_or_b32_e32 v1, 0x1c0, v0
	v_dual_mov_b32 v4, 0 :: v_dual_mov_b32 v7, 0
	v_mov_b32_e32 v8, 0
	s_and_b32 s12, s10, 0x7ffffff8
	s_mov_b32 s13, 0
	s_mov_b32 s14, 0
.LBB8_14:                               ; =>This Inner Loop Header: Depth=1
	v_dual_mov_b32 v2, v4 :: v_dual_add_nc_u32 v3, 0xfffffe40, v1
	v_mov_b32_e32 v21, s14
	s_add_co_i32 s13, s13, 8
	s_add_co_i32 s14, s14, 64
	s_delay_alu instid0(VALU_DEP_2) | instskip(SKIP_3) | instid1(VALU_DEP_2)
	v_lshlrev_b64_e32 v[9:10], 2, v[3:4]
	v_add_nc_u32_e32 v3, 0xfffffe80, v1
	v_lshlrev_b64_e32 v[11:12], 2, v[1:2]
	s_cmp_eq_u32 s12, s13
	v_lshlrev_b64_e32 v[13:14], 2, v[3:4]
	s_wait_alu 0xfffe
	v_add_co_u32 v9, vcc_lo, s6, v9
	s_wait_alu 0xfffd
	v_add_co_ci_u32_e64 v10, null, s7, v10, vcc_lo
	v_add_nc_u32_e32 v3, 0xfffffec0, v1
	v_add_co_u32 v13, vcc_lo, s6, v13
	global_load_b32 v25, v[9:10], off
	s_wait_alu 0xfffd
	v_add_co_ci_u32_e64 v14, null, s7, v14, vcc_lo
	v_lshlrev_b64_e32 v[15:16], 2, v[3:4]
	v_add_nc_u32_e32 v3, 0xffffff00, v1
	global_load_b32 v26, v[13:14], off
	v_lshlrev_b64_e32 v[9:10], 2, v[3:4]
	v_add_nc_u32_e32 v3, 0xffffff40, v1
	v_add_co_u32 v13, vcc_lo, s6, v15
	s_wait_alu 0xfffd
	v_add_co_ci_u32_e64 v14, null, s7, v16, vcc_lo
	s_delay_alu instid0(VALU_DEP_4)
	v_add_co_u32 v9, vcc_lo, s6, v9
	v_lshlrev_b64_e32 v[15:16], 2, v[3:4]
	v_add_nc_u32_e32 v3, 0xffffff80, v1
	s_wait_alu 0xfffd
	v_add_co_ci_u32_e64 v10, null, s7, v10, vcc_lo
	s_clause 0x1
	global_load_b32 v27, v[13:14], off
	global_load_b32 v28, v[9:10], off
	v_lshlrev_b64_e32 v[13:14], 2, v[3:4]
	v_subrev_nc_u32_e32 v3, 64, v1
	v_add_co_u32 v9, vcc_lo, s6, v15
	s_wait_alu 0xfffd
	v_add_co_ci_u32_e64 v10, null, s7, v16, vcc_lo
	s_delay_alu instid0(VALU_DEP_4)
	v_add_co_u32 v13, vcc_lo, s6, v13
	v_lshlrev_b64_e32 v[2:3], 2, v[3:4]
	s_wait_alu 0xfffd
	v_add_co_ci_u32_e64 v14, null, s7, v14, vcc_lo
	s_clause 0x1
	global_load_b32 v29, v[9:10], off
	global_load_b32 v30, v[13:14], off
	v_add_co_u32 v2, vcc_lo, s6, v2
	s_wait_alu 0xfffd
	v_add_co_ci_u32_e64 v3, null, s7, v3, vcc_lo
	v_add_co_u32 v9, vcc_lo, s6, v11
	s_wait_alu 0xfffd
	v_add_co_ci_u32_e64 v10, null, s7, v12, vcc_lo
	s_clause 0x1
	global_load_b32 v2, v[2:3], off
	global_load_b32 v3, v[9:10], off
	ds_load_2addr_b64 v[9:12], v21 offset1:1
	ds_load_2addr_b64 v[13:16], v21 offset0:2 offset1:3
	ds_load_2addr_b64 v[17:20], v21 offset0:4 offset1:5
	ds_load_2addr_b64 v[21:24], v21 offset0:6 offset1:7
	v_add_nc_u32_e32 v1, 0x200, v1
	s_wait_dscnt 0x1
	v_sub_f32_e32 v19, v19, v6
	v_sub_f32_e32 v11, v11, v6
	s_wait_dscnt 0x0
	v_sub_f32_e32 v23, v23, v6
	s_delay_alu instid0(VALU_DEP_3) | instskip(NEXT) | instid1(VALU_DEP_3)
	v_dual_sub_f32 v13, v13, v6 :: v_dual_mul_f32 v36, 0x3fb8aa3b, v19
	v_mul_f32_e32 v32, 0x3fb8aa3b, v11
	s_delay_alu instid0(VALU_DEP_2) | instskip(SKIP_1) | instid1(VALU_DEP_4)
	v_dual_mul_f32 v38, 0x3fb8aa3b, v23 :: v_dual_mul_f32 v33, 0x3fb8aa3b, v13
	v_cmp_ngt_f32_e32 vcc_lo, 0xc2ce8ed0, v13
	v_xor_b32_e32 v49, 0x80000000, v36
	s_delay_alu instid0(VALU_DEP_4) | instskip(SKIP_4) | instid1(VALU_DEP_4)
	v_xor_b32_e32 v41, 0x80000000, v32
	v_rndne_f32_e32 v42, v32
	v_xor_b32_e32 v43, 0x80000000, v33
	v_rndne_f32_e32 v44, v33
	v_xor_b32_e32 v53, 0x80000000, v38
	v_dual_fmac_f32 v41, 0x3fb8aa3b, v11 :: v_dual_sub_f32 v32, v32, v42
	s_delay_alu instid0(VALU_DEP_4) | instskip(NEXT) | instid1(VALU_DEP_4)
	v_fmac_f32_e32 v43, 0x3fb8aa3b, v13
	v_sub_f32_e32 v33, v33, v44
	v_cvt_i32_f32_e32 v42, v42
	s_delay_alu instid0(VALU_DEP_4)
	v_fmac_f32_e32 v41, 0x32a5705f, v11
	v_sub_f32_e32 v15, v15, v6
	v_fmac_f32_e32 v43, 0x32a5705f, v13
	v_cvt_i32_f32_e32 v44, v44
	v_rndne_f32_e32 v54, v38
	v_dual_add_f32 v32, v32, v41 :: v_dual_sub_f32 v9, v9, v6
	v_mul_f32_e32 v34, 0x3fb8aa3b, v15
	v_add_f32_e32 v33, v33, v43
	v_cmp_ngt_f32_e64 s0, 0xc2ce8ed0, v15
	s_delay_alu instid0(VALU_DEP_4)
	v_exp_f32_e32 v32, v32
	v_mul_f32_e32 v31, 0x3fb8aa3b, v9
	v_xor_b32_e32 v45, 0x80000000, v34
	v_rndne_f32_e32 v46, v34
	v_exp_f32_e32 v33, v33
	v_cmp_ngt_f32_e64 s5, 0xc2ce8ed0, v9
	v_xor_b32_e32 v39, 0x80000000, v31
	v_rndne_f32_e32 v40, v31
	v_dual_fmac_f32 v45, 0x3fb8aa3b, v15 :: v_dual_sub_f32 v34, v34, v46
	s_delay_alu instid0(TRANS32_DEP_2) | instskip(NEXT) | instid1(VALU_DEP_4)
	v_ldexp_f32 v32, v32, v42
	v_fmac_f32_e32 v39, 0x3fb8aa3b, v9
	s_delay_alu instid0(VALU_DEP_4)
	v_sub_f32_e32 v31, v31, v40
	v_cvt_i32_f32_e32 v40, v40
	v_fmac_f32_e32 v45, 0x32a5705f, v15
	v_sub_f32_e32 v17, v17, v6
	v_fmac_f32_e32 v39, 0x32a5705f, v9
	v_ldexp_f32 v33, v33, v44
	v_cvt_i32_f32_e32 v46, v46
	v_add_f32_e32 v34, v34, v45
	v_cmp_ngt_f32_e64 s1, 0xc2ce8ed0, v17
	v_dual_add_f32 v31, v31, v39 :: v_dual_sub_f32 v38, v38, v54
	v_rndne_f32_e32 v50, v36
	s_delay_alu instid0(VALU_DEP_4) | instskip(SKIP_1) | instid1(VALU_DEP_3)
	v_exp_f32_e32 v34, v34
	v_fmac_f32_e32 v49, 0x3fb8aa3b, v19
	v_exp_f32_e32 v31, v31
	v_cvt_i32_f32_e32 v54, v54
	v_sub_f32_e32 v36, v36, v50
	v_cvt_i32_f32_e32 v50, v50
	v_fmac_f32_e32 v49, 0x32a5705f, v19
	s_delay_alu instid0(TRANS32_DEP_2) | instskip(NEXT) | instid1(VALU_DEP_2)
	v_ldexp_f32 v34, v34, v46
	v_add_f32_e32 v36, v36, v49
	s_delay_alu instid0(TRANS32_DEP_1) | instskip(SKIP_1) | instid1(VALU_DEP_3)
	v_ldexp_f32 v31, v31, v40
	v_cmp_ngt_f32_e64 s2, 0xc2ce8ed0, v19
	v_exp_f32_e32 v36, v36
	s_wait_alu 0xf1ff
	s_delay_alu instid0(VALU_DEP_2) | instskip(SKIP_2) | instid1(VALU_DEP_1)
	v_cndmask_b32_e64 v31, 0, v31, s5
	v_cmp_ngt_f32_e64 s5, 0xc2ce8ed0, v11
	s_wait_alu 0xf1ff
	v_cndmask_b32_e64 v32, 0, v32, s5
	v_cmp_nlt_f32_e64 s5, 0x42b17218, v9
	s_delay_alu instid0(TRANS32_DEP_1) | instskip(SKIP_1) | instid1(VALU_DEP_2)
	v_ldexp_f32 v36, v36, v50
	s_wait_alu 0xf1ff
	v_cndmask_b32_e64 v9, 0x7f800000, v31, s5
	s_wait_alu 0xfffd
	v_cndmask_b32_e32 v31, 0, v33, vcc_lo
	v_cmp_nlt_f32_e32 vcc_lo, 0x42b17218, v11
	s_wait_alu 0xfffd
	v_dual_fmac_f32 v8, v9, v10 :: v_dual_cndmask_b32 v11, 0x7f800000, v32
	v_cmp_nlt_f32_e32 vcc_lo, 0x42b17218, v13
	s_delay_alu instid0(VALU_DEP_2)
	v_fmac_f32_e32 v8, v11, v12
	s_wait_alu 0xfffd
	v_cndmask_b32_e32 v10, 0x7f800000, v31, vcc_lo
	v_cmp_nlt_f32_e32 vcc_lo, 0x42b17218, v15
	v_fmac_f32_e32 v53, 0x3fb8aa3b, v23
	v_cmp_ngt_f32_e64 s4, 0xc2ce8ed0, v23
	s_delay_alu instid0(VALU_DEP_2) | instskip(NEXT) | instid1(VALU_DEP_1)
	v_dual_fmac_f32 v8, v10, v14 :: v_dual_fmac_f32 v53, 0x32a5705f, v23
	v_dual_sub_f32 v21, v21, v6 :: v_dual_add_f32 v38, v38, v53
	s_delay_alu instid0(VALU_DEP_1) | instskip(NEXT) | instid1(VALU_DEP_2)
	v_cmp_ngt_f32_e64 s3, 0xc2ce8ed0, v21
	v_exp_f32_e32 v38, v38
	s_delay_alu instid0(TRANS32_DEP_1) | instskip(SKIP_4) | instid1(VALU_DEP_1)
	v_ldexp_f32 v38, v38, v54
	s_wait_loadcnt 0x7
	v_fmac_f32_e32 v7, v25, v9
	v_cndmask_b32_e64 v9, 0, v34, s0
	s_wait_alu 0xfffd
	v_cndmask_b32_e32 v9, 0x7f800000, v9, vcc_lo
	v_mul_f32_e32 v35, 0x3fb8aa3b, v17
	s_wait_loadcnt 0x6
	v_fmac_f32_e32 v7, v26, v11
	v_cmp_nlt_f32_e32 vcc_lo, 0x42b17218, v17
	v_fmac_f32_e32 v8, v9, v16
	v_xor_b32_e32 v47, 0x80000000, v35
	v_rndne_f32_e32 v48, v35
	s_delay_alu instid0(VALU_DEP_2) | instskip(NEXT) | instid1(VALU_DEP_2)
	v_fmac_f32_e32 v47, 0x3fb8aa3b, v17
	v_sub_f32_e32 v35, v35, v48
	v_cvt_i32_f32_e32 v48, v48
	s_wait_loadcnt 0x5
	v_fmac_f32_e32 v7, v27, v10
	v_fmac_f32_e32 v47, 0x32a5705f, v17
	v_cndmask_b32_e64 v10, 0, v36, s2
	s_wait_loadcnt 0x4
	s_delay_alu instid0(VALU_DEP_3) | instskip(NEXT) | instid1(VALU_DEP_3)
	v_fmac_f32_e32 v7, v28, v9
	v_add_f32_e32 v35, v35, v47
	s_delay_alu instid0(VALU_DEP_1) | instskip(NEXT) | instid1(TRANS32_DEP_1)
	v_exp_f32_e32 v35, v35
	v_ldexp_f32 v35, v35, v48
	s_delay_alu instid0(VALU_DEP_1) | instskip(SKIP_1) | instid1(VALU_DEP_1)
	v_cndmask_b32_e64 v11, 0, v35, s1
	s_wait_alu 0xfffd
	v_cndmask_b32_e32 v11, 0x7f800000, v11, vcc_lo
	v_mul_f32_e32 v37, 0x3fb8aa3b, v21
	v_cmp_nlt_f32_e32 vcc_lo, 0x42b17218, v19
	s_delay_alu instid0(VALU_DEP_3) | instskip(NEXT) | instid1(VALU_DEP_3)
	v_fmac_f32_e32 v8, v11, v18
	v_xor_b32_e32 v51, 0x80000000, v37
	v_rndne_f32_e32 v52, v37
	s_wait_loadcnt 0x3
	s_wait_alu 0xfffd
	v_dual_cndmask_b32 v10, 0x7f800000, v10 :: v_dual_fmac_f32 v7, v29, v11
	v_cmp_nlt_f32_e32 vcc_lo, 0x42b17218, v21
	v_fmac_f32_e32 v51, 0x3fb8aa3b, v21
	v_sub_f32_e32 v37, v37, v52
	v_cvt_i32_f32_e32 v52, v52
	s_wait_alu 0xf1ff
	v_cndmask_b32_e64 v11, 0, v38, s4
	v_dual_fmac_f32 v8, v10, v20 :: v_dual_fmac_f32 v51, 0x32a5705f, v21
	s_wait_loadcnt 0x2
	v_fmac_f32_e32 v7, v30, v10
	s_delay_alu instid0(VALU_DEP_2) | instskip(NEXT) | instid1(VALU_DEP_1)
	v_add_f32_e32 v37, v37, v51
	v_exp_f32_e32 v37, v37
	s_delay_alu instid0(TRANS32_DEP_1) | instskip(NEXT) | instid1(VALU_DEP_1)
	v_ldexp_f32 v37, v37, v52
	v_cndmask_b32_e64 v9, 0, v37, s3
	s_wait_alu 0xfffd
	s_delay_alu instid0(VALU_DEP_1) | instskip(SKIP_1) | instid1(VALU_DEP_2)
	v_cndmask_b32_e32 v9, 0x7f800000, v9, vcc_lo
	v_cmp_nlt_f32_e32 vcc_lo, 0x42b17218, v23
	v_fmac_f32_e32 v8, v9, v22
	s_wait_loadcnt 0x1
	s_wait_alu 0xfffd
	v_dual_cndmask_b32 v10, 0x7f800000, v11 :: v_dual_fmac_f32 v7, v2, v9
	s_wait_loadcnt 0x0
	s_delay_alu instid0(VALU_DEP_1)
	v_dual_fmac_f32 v8, v10, v24 :: v_dual_fmac_f32 v7, v3, v10
	s_cbranch_scc0 .LBB8_14
; %bb.15:
	s_and_b32 s0, s10, 7
	s_wait_alu 0xfffe
	s_cmp_eq_u32 s0, 0
	s_cbranch_scc0 .LBB8_18
	s_branch .LBB8_20
.LBB8_16:
	v_mov_b32_e32 v0, 0x7fc00000
	s_branch .LBB8_21
.LBB8_17:
	v_dual_mov_b32 v7, 0 :: v_dual_mov_b32 v8, 0
	s_mov_b32 s12, 0
	s_and_b32 s0, s10, 7
	s_wait_alu 0xfffe
	s_cmp_eq_u32 s0, 0
	s_cbranch_scc1 .LBB8_20
.LBB8_18:
	v_lshl_or_b32 v0, s12, 6, v0
	v_mov_b32_e32 v1, 0
	s_lshl_b32 s1, s12, 3
	s_wait_alu 0xfffe
	s_add_co_i32 s1, s1, 0
.LBB8_19:                               ; =>This Inner Loop Header: Depth=1
	s_delay_alu instid0(VALU_DEP_1) | instskip(SKIP_2) | instid1(VALU_DEP_2)
	v_lshlrev_b64_e32 v[2:3], 2, v[0:1]
	s_add_co_i32 s0, s0, -1
	v_add_nc_u32_e32 v0, 64, v0
	v_add_co_u32 v2, vcc_lo, s6, v2
	s_wait_alu 0xfffd
	s_delay_alu instid0(VALU_DEP_3)
	v_add_co_ci_u32_e64 v3, null, s7, v3, vcc_lo
	global_load_b32 v4, v[2:3], off
	s_wait_alu 0xfffe
	v_mov_b32_e32 v2, s1
	s_add_co_i32 s1, s1, 8
	s_cmp_lg_u32 s0, 0
	ds_load_b64 v[2:3], v2
	s_wait_dscnt 0x0
	v_sub_f32_e32 v2, v2, v6
	s_delay_alu instid0(VALU_DEP_1) | instskip(SKIP_1) | instid1(VALU_DEP_2)
	v_mul_f32_e32 v9, 0x3fb8aa3b, v2
	v_cmp_ngt_f32_e32 vcc_lo, 0xc2ce8ed0, v2
	v_xor_b32_e32 v10, 0x80000000, v9
	v_rndne_f32_e32 v11, v9
	s_delay_alu instid0(VALU_DEP_1) | instskip(NEXT) | instid1(VALU_DEP_1)
	v_dual_fmac_f32 v10, 0x3fb8aa3b, v2 :: v_dual_sub_f32 v9, v9, v11
	v_fmac_f32_e32 v10, 0x32a5705f, v2
	s_delay_alu instid0(VALU_DEP_1) | instskip(SKIP_1) | instid1(VALU_DEP_2)
	v_add_f32_e32 v9, v9, v10
	v_cvt_i32_f32_e32 v10, v11
	v_exp_f32_e32 v9, v9
	s_delay_alu instid0(TRANS32_DEP_1) | instskip(SKIP_1) | instid1(VALU_DEP_1)
	v_ldexp_f32 v9, v9, v10
	s_wait_alu 0xfffd
	v_cndmask_b32_e32 v9, 0, v9, vcc_lo
	v_cmp_nlt_f32_e32 vcc_lo, 0x42b17218, v2
	s_wait_alu 0xfffd
	s_delay_alu instid0(VALU_DEP_2) | instskip(SKIP_1) | instid1(VALU_DEP_1)
	v_cndmask_b32_e32 v2, 0x7f800000, v9, vcc_lo
	s_wait_loadcnt 0x0
	v_dual_fmac_f32 v8, v2, v3 :: v_dual_fmac_f32 v7, v4, v2
	s_cbranch_scc1 .LBB8_19
.LBB8_20:
	s_delay_alu instid0(VALU_DEP_1) | instskip(NEXT) | instid1(VALU_DEP_1)
	v_div_scale_f32 v0, null, v8, v8, v7
	v_rcp_f32_e32 v1, v0
	s_delay_alu instid0(TRANS32_DEP_1) | instskip(NEXT) | instid1(VALU_DEP_1)
	v_fma_f32 v2, -v0, v1, 1.0
	v_fmac_f32_e32 v1, v2, v1
	v_div_scale_f32 v2, vcc_lo, v7, v8, v7
	s_delay_alu instid0(VALU_DEP_1) | instskip(NEXT) | instid1(VALU_DEP_1)
	v_mul_f32_e32 v3, v2, v1
	v_fma_f32 v4, -v0, v3, v2
	s_delay_alu instid0(VALU_DEP_1) | instskip(NEXT) | instid1(VALU_DEP_1)
	v_fmac_f32_e32 v3, v4, v1
	v_fma_f32 v0, -v0, v3, v2
	s_wait_alu 0xfffd
	s_delay_alu instid0(VALU_DEP_1) | instskip(NEXT) | instid1(VALU_DEP_1)
	v_div_fmas_f32 v0, v0, v1, v3
	v_div_fixup_f32 v0, v0, v8, v7
.LBB8_21:
	s_lshl_b32 s0, s11, 6
	s_wait_alu 0xfffe
	s_ashr_i32 s1, s0, 31
	s_wait_alu 0xfffe
	s_lshl_b64 s[0:1], s[0:1], 2
	s_wait_alu 0xfffe
	s_add_nc_u64 s[0:1], s[8:9], s[0:1]
	global_store_b32 v5, v0, s[0:1]
	s_endpgm
	.section	.rodata,"a",@progbits
	.p2align	6, 0x0
	.amdhsa_kernel _ZL26flash_attn_combine_resultsILi64EEvPKfPK15HIP_vector_typeIfLj2EEPfi
		.amdhsa_group_segment_fixed_size 0
		.amdhsa_private_segment_fixed_size 0
		.amdhsa_kernarg_size 288
		.amdhsa_user_sgpr_count 2
		.amdhsa_user_sgpr_dispatch_ptr 0
		.amdhsa_user_sgpr_queue_ptr 0
		.amdhsa_user_sgpr_kernarg_segment_ptr 1
		.amdhsa_user_sgpr_dispatch_id 0
		.amdhsa_user_sgpr_private_segment_size 0
		.amdhsa_wavefront_size32 1
		.amdhsa_uses_dynamic_stack 0
		.amdhsa_enable_private_segment 0
		.amdhsa_system_sgpr_workgroup_id_x 1
		.amdhsa_system_sgpr_workgroup_id_y 1
		.amdhsa_system_sgpr_workgroup_id_z 1
		.amdhsa_system_sgpr_workgroup_info 0
		.amdhsa_system_vgpr_workitem_id 0
		.amdhsa_next_free_vgpr 55
		.amdhsa_next_free_sgpr 16
		.amdhsa_reserve_vcc 1
		.amdhsa_float_round_mode_32 0
		.amdhsa_float_round_mode_16_64 0
		.amdhsa_float_denorm_mode_32 3
		.amdhsa_float_denorm_mode_16_64 3
		.amdhsa_fp16_overflow 0
		.amdhsa_workgroup_processor_mode 1
		.amdhsa_memory_ordered 1
		.amdhsa_forward_progress 1
		.amdhsa_inst_pref_size 20
		.amdhsa_round_robin_scheduling 0
		.amdhsa_exception_fp_ieee_invalid_op 0
		.amdhsa_exception_fp_denorm_src 0
		.amdhsa_exception_fp_ieee_div_zero 0
		.amdhsa_exception_fp_ieee_overflow 0
		.amdhsa_exception_fp_ieee_underflow 0
		.amdhsa_exception_fp_ieee_inexact 0
		.amdhsa_exception_int_div_zero 0
	.end_amdhsa_kernel
	.section	.text._ZL26flash_attn_combine_resultsILi64EEvPKfPK15HIP_vector_typeIfLj2EEPfi,"axG",@progbits,_ZL26flash_attn_combine_resultsILi64EEvPKfPK15HIP_vector_typeIfLj2EEPfi,comdat
.Lfunc_end8:
	.size	_ZL26flash_attn_combine_resultsILi64EEvPKfPK15HIP_vector_typeIfLj2EEPfi, .Lfunc_end8-_ZL26flash_attn_combine_resultsILi64EEvPKfPK15HIP_vector_typeIfLj2EEPfi
                                        ; -- End function
	.set _ZL26flash_attn_combine_resultsILi64EEvPKfPK15HIP_vector_typeIfLj2EEPfi.num_vgpr, 55
	.set _ZL26flash_attn_combine_resultsILi64EEvPKfPK15HIP_vector_typeIfLj2EEPfi.num_agpr, 0
	.set _ZL26flash_attn_combine_resultsILi64EEvPKfPK15HIP_vector_typeIfLj2EEPfi.numbered_sgpr, 16
	.set _ZL26flash_attn_combine_resultsILi64EEvPKfPK15HIP_vector_typeIfLj2EEPfi.num_named_barrier, 0
	.set _ZL26flash_attn_combine_resultsILi64EEvPKfPK15HIP_vector_typeIfLj2EEPfi.private_seg_size, 0
	.set _ZL26flash_attn_combine_resultsILi64EEvPKfPK15HIP_vector_typeIfLj2EEPfi.uses_vcc, 1
	.set _ZL26flash_attn_combine_resultsILi64EEvPKfPK15HIP_vector_typeIfLj2EEPfi.uses_flat_scratch, 0
	.set _ZL26flash_attn_combine_resultsILi64EEvPKfPK15HIP_vector_typeIfLj2EEPfi.has_dyn_sized_stack, 0
	.set _ZL26flash_attn_combine_resultsILi64EEvPKfPK15HIP_vector_typeIfLj2EEPfi.has_recursion, 0
	.set _ZL26flash_attn_combine_resultsILi64EEvPKfPK15HIP_vector_typeIfLj2EEPfi.has_indirect_call, 0
	.section	.AMDGPU.csdata,"",@progbits
; Kernel info:
; codeLenInByte = 2548
; TotalNumSgprs: 18
; NumVgprs: 55
; ScratchSize: 0
; MemoryBound: 0
; FloatMode: 240
; IeeeMode: 1
; LDSByteSize: 0 bytes/workgroup (compile time only)
; SGPRBlocks: 0
; VGPRBlocks: 6
; NumSGPRsForWavesPerEU: 18
; NumVGPRsForWavesPerEU: 55
; Occupancy: 16
; WaveLimiterHint : 0
; COMPUTE_PGM_RSRC2:SCRATCH_EN: 0
; COMPUTE_PGM_RSRC2:USER_SGPR: 2
; COMPUTE_PGM_RSRC2:TRAP_HANDLER: 0
; COMPUTE_PGM_RSRC2:TGID_X_EN: 1
; COMPUTE_PGM_RSRC2:TGID_Y_EN: 1
; COMPUTE_PGM_RSRC2:TGID_Z_EN: 1
; COMPUTE_PGM_RSRC2:TIDIG_COMP_CNT: 0
	.section	.text._ZL18flash_attn_ext_f16ILi80ELi80ELi32ELi2ELb0ELb0EEvPKcS1_S1_S1_S1_PKiPfP15HIP_vector_typeIfLj2EEffffjfiS5_IjLj3EEiiiiiiiiiiiliiliiiiil,"axG",@progbits,_ZL18flash_attn_ext_f16ILi80ELi80ELi32ELi2ELb0ELb0EEvPKcS1_S1_S1_S1_PKiPfP15HIP_vector_typeIfLj2EEffffjfiS5_IjLj3EEiiiiiiiiiiiliiliiiiil,comdat
	.globl	_ZL18flash_attn_ext_f16ILi80ELi80ELi32ELi2ELb0ELb0EEvPKcS1_S1_S1_S1_PKiPfP15HIP_vector_typeIfLj2EEffffjfiS5_IjLj3EEiiiiiiiiiiiliiliiiiil ; -- Begin function _ZL18flash_attn_ext_f16ILi80ELi80ELi32ELi2ELb0ELb0EEvPKcS1_S1_S1_S1_PKiPfP15HIP_vector_typeIfLj2EEffffjfiS5_IjLj3EEiiiiiiiiiiiliiliiiiil
	.p2align	8
	.type	_ZL18flash_attn_ext_f16ILi80ELi80ELi32ELi2ELb0ELb0EEvPKcS1_S1_S1_S1_PKiPfP15HIP_vector_typeIfLj2EEffffjfiS5_IjLj3EEiiiiiiiiiiiliiliiiiil,@function
_ZL18flash_attn_ext_f16ILi80ELi80ELi32ELi2ELb0ELb0EEvPKcS1_S1_S1_S1_PKiPfP15HIP_vector_typeIfLj2EEffffjfiS5_IjLj3EEiiiiiiiiiiiliiliiiiil: ; @_ZL18flash_attn_ext_f16ILi80ELi80ELi32ELi2ELb0ELb0EEvPKcS1_S1_S1_S1_PKiPfP15HIP_vector_typeIfLj2EEffffjfiS5_IjLj3EEiiiiiiiiiiiliiliiiiil
; %bb.0:
	s_mov_b64 s[10:11], s[0:1]
	s_clause 0x1
	s_load_b64 s[0:1], s[0:1], 0x80
	s_load_b128 s[24:27], s[10:11], 0x64
	s_mov_b32 s22, ttmp9
	s_mov_b32 s23, 0
                                        ; implicit-def: $vgpr255 : SGPR spill to VGPR lane
	s_mov_b64 s[60:61], s[10:11]
	s_wait_kmcnt 0x0
	s_abs_i32 s2, s1
	s_abs_i32 s5, s25
	s_cvt_f32_u32 s3, s2
	s_sub_co_i32 s4, 0, s2
	s_delay_alu instid0(SALU_CYCLE_2) | instskip(NEXT) | instid1(TRANS32_DEP_1)
	v_rcp_iflag_f32_e32 v1, s3
	v_readfirstlane_b32 s3, v1
	s_mul_f32 s3, s3, 0x4f7ffffe
	s_wait_alu 0xfffe
	s_delay_alu instid0(SALU_CYCLE_2) | instskip(SKIP_1) | instid1(SALU_CYCLE_2)
	s_cvt_u32_f32 s3, s3
	s_wait_alu 0xfffe
	s_mul_i32 s4, s4, s3
	s_delay_alu instid0(SALU_CYCLE_1) | instskip(NEXT) | instid1(SALU_CYCLE_1)
	s_mul_hi_u32 s4, s3, s4
	s_add_co_i32 s3, s3, s4
	s_xor_b32 s4, s25, s1
	s_wait_alu 0xfffe
	s_mul_hi_u32 s3, s5, s3
	s_ashr_i32 s4, s4, 31
	s_wait_alu 0xfffe
	s_mul_i32 s6, s3, s2
	s_delay_alu instid0(SALU_CYCLE_1)
	s_sub_co_i32 s5, s5, s6
	s_add_co_i32 s6, s3, 1
	s_sub_co_i32 s7, s5, s2
	s_cmp_ge_u32 s5, s2
	s_cselect_b32 s3, s6, s3
	s_cselect_b32 s5, s7, s5
	s_wait_alu 0xfffe
	s_add_co_i32 s6, s3, 1
	s_cmp_ge_u32 s5, s2
	s_cselect_b32 s2, s6, s3
	s_add_co_i32 s0, s0, 63
	s_wait_alu 0xfffe
	s_xor_b32 s2, s2, s4
	s_add_co_i32 s3, s24, 31
	s_ashr_i32 s5, s0, 31
	s_wait_alu 0xfffe
	s_sub_co_i32 s33, s2, s4
	s_lshr_b32 s6, s3, 5
	s_lshr_b32 s2, s5, 26
	s_add_co_i32 s3, s33, 1
	s_wait_alu 0xfffe
	s_add_co_i32 s0, s0, s2
	s_lshr_b32 s2, s3, 31
	s_ashr_i32 s98, s0, 6
	s_wait_alu 0xfffe
	s_add_co_i32 s3, s3, s2
	s_mul_i32 s95, s6, s98
	s_wait_alu 0xfffe
	s_ashr_i32 s0, s3, 1
	v_writelane_b32 v255, s6, 0
	s_mul_i32 s96, s95, s0
	s_mov_b32 s0, s23
	s_mul_i32 s97, s96, s1
	s_delay_alu instid0(SALU_CYCLE_1)
	s_mul_i32 s2, s97, s26
	s_wait_alu 0xfffe
	s_ashr_i32 s3, s2, 31
	s_wait_alu 0xfffe
	s_mul_u64 s[8:9], s[2:3], s[22:23]
	s_load_b32 s22, s[10:11], 0xd0
	s_mov_b32 s1, s9
	s_delay_alu instid0(SALU_CYCLE_1)
	s_cmp_lg_u64 s[0:1], 0
	s_wait_kmcnt 0x0
	s_add_nc_u64 s[4:5], s[22:23], 0
	s_cbranch_scc0 .LBB9_478
; %bb.1:
	s_xor_b64 s[10:11], s[4:5], 0
	s_mov_b32 s13, s23
	s_cvt_f32_u32 s0, s10
	s_cvt_f32_u32 s1, s11
	s_sub_nc_u64 s[6:7], 0, s[10:11]
	s_mov_b32 s17, s23
	s_delay_alu instid0(SALU_CYCLE_1) | instskip(NEXT) | instid1(SALU_CYCLE_3)
	s_fmamk_f32 s0, s1, 0x4f800000, s0
	v_s_rcp_f32 s0, s0
	s_delay_alu instid0(TRANS32_DEP_1) | instskip(SKIP_1) | instid1(SALU_CYCLE_2)
	s_mul_f32 s0, s0, 0x5f7ffffc
	s_wait_alu 0xfffe
	s_mul_f32 s1, s0, 0x2f800000
	s_wait_alu 0xfffe
	s_delay_alu instid0(SALU_CYCLE_2) | instskip(SKIP_1) | instid1(SALU_CYCLE_2)
	s_trunc_f32 s1, s1
	s_wait_alu 0xfffe
	s_fmamk_f32 s0, s1, 0xcf800000, s0
	s_cvt_u32_f32 s1, s1
	s_wait_alu 0xfffe
	s_delay_alu instid0(SALU_CYCLE_1) | instskip(SKIP_1) | instid1(SALU_CYCLE_2)
	s_cvt_u32_f32 s0, s0
	s_wait_alu 0xfffe
	s_mul_u64 s[14:15], s[6:7], s[0:1]
	s_delay_alu instid0(SALU_CYCLE_1)
	s_mul_hi_u32 s19, s0, s15
	s_mul_i32 s18, s0, s15
	s_mul_hi_u32 s12, s0, s14
	s_mul_i32 s20, s1, s14
	s_add_nc_u64 s[12:13], s[12:13], s[18:19]
	s_mul_hi_u32 s16, s1, s14
	s_mul_hi_u32 s21, s1, s15
	s_add_co_u32 s12, s12, s20
	s_add_co_ci_u32 s16, s13, s16
	s_mul_i32 s14, s1, s15
	s_add_co_ci_u32 s15, s21, 0
	s_delay_alu instid0(SALU_CYCLE_1) | instskip(SKIP_3) | instid1(SALU_CYCLE_1)
	s_add_nc_u64 s[12:13], s[16:17], s[14:15]
	s_mov_b32 s15, s23
	s_add_co_u32 s0, s0, s12
	s_cselect_b32 s12, -1, 0
	s_cmp_lg_u32 s12, 0
	s_add_co_ci_u32 s1, s1, s13
	s_mov_b32 s13, s23
	s_wait_alu 0xfffe
	s_mul_u64 s[6:7], s[6:7], s[0:1]
	s_wait_alu 0xfffe
	s_mul_hi_u32 s17, s0, s7
	s_mul_i32 s16, s0, s7
	s_mul_hi_u32 s12, s0, s6
	s_mul_i32 s18, s1, s6
	s_add_nc_u64 s[12:13], s[12:13], s[16:17]
	s_mul_hi_u32 s14, s1, s6
	s_mul_hi_u32 s19, s1, s7
	s_mul_i32 s6, s1, s7
	s_add_co_u32 s7, s12, s18
	s_add_co_ci_u32 s14, s13, s14
	s_add_co_ci_u32 s7, s19, 0
	s_mov_b32 s13, s23
	s_wait_alu 0xfffe
	s_add_nc_u64 s[6:7], s[14:15], s[6:7]
	s_wait_alu 0xfffe
	s_add_co_u32 s14, s0, s6
	s_cselect_b32 s0, -1, 0
	s_wait_alu 0xfffe
	s_cmp_lg_u32 s0, 0
	s_add_co_ci_u32 s18, s1, s7
	s_ashr_i32 s0, s9, 31
	s_wait_alu 0xfffe
	s_mov_b32 s1, s0
	s_wait_alu 0xfffe
	s_add_nc_u64 s[6:7], s[8:9], s[0:1]
	s_wait_alu 0xfffe
	s_xor_b64 s[6:7], s[6:7], s[0:1]
	s_wait_alu 0xfffe
	s_mul_hi_u32 s17, s6, s18
	s_mul_i32 s16, s6, s18
	s_mul_hi_u32 s12, s6, s14
	s_mul_hi_u32 s19, s7, s14
	s_mul_i32 s14, s7, s14
	s_add_nc_u64 s[12:13], s[12:13], s[16:17]
	s_mul_hi_u32 s9, s7, s18
	s_add_co_u32 s12, s12, s14
	s_add_co_ci_u32 s14, s13, s19
	s_mul_i32 s16, s7, s18
	s_add_co_ci_u32 s17, s9, 0
	s_delay_alu instid0(SALU_CYCLE_1) | instskip(NEXT) | instid1(SALU_CYCLE_1)
	s_add_nc_u64 s[12:13], s[14:15], s[16:17]
	s_mul_u64 s[14:15], s[10:11], s[12:13]
	s_delay_alu instid0(SALU_CYCLE_1)
	s_sub_co_u32 s6, s6, s14
	s_cselect_b32 s9, -1, 0
	s_sub_co_i32 s14, s7, s15
	s_cmp_lg_u32 s9, 0
	s_sub_co_ci_u32 s14, s14, s11
	s_wait_alu 0xfffe
	s_sub_co_u32 s16, s6, s10
	s_cselect_b32 s17, -1, 0
	s_delay_alu instid0(SALU_CYCLE_1) | instskip(SKIP_1) | instid1(SALU_CYCLE_1)
	s_cmp_lg_u32 s17, 0
	s_sub_co_ci_u32 s14, s14, 0
	s_cmp_ge_u32 s14, s11
	s_cselect_b32 s18, -1, 0
	s_cmp_ge_u32 s16, s10
	s_add_nc_u64 s[16:17], s[12:13], 1
	s_cselect_b32 s19, -1, 0
	s_cmp_eq_u32 s14, s11
	s_cselect_b32 s14, s19, s18
	s_add_nc_u64 s[18:19], s[12:13], 2
	s_cmp_lg_u32 s14, 0
	s_cselect_b32 s14, s18, s16
	s_cselect_b32 s16, s19, s17
	s_cmp_lg_u32 s9, 0
	s_sub_co_ci_u32 s7, s7, s15
	s_wait_alu 0xfffe
	s_cmp_ge_u32 s7, s11
	s_cselect_b32 s9, -1, 0
	s_cmp_ge_u32 s6, s10
	s_cselect_b32 s6, -1, 0
	s_cmp_eq_u32 s7, s11
	s_wait_alu 0xfffe
	s_cselect_b32 s6, s6, s9
	s_wait_alu 0xfffe
	s_cmp_lg_u32 s6, 0
	s_cselect_b32 s7, s16, s13
	s_cselect_b32 s6, s14, s12
	s_xor_b64 s[0:1], s[0:1], 0
	s_wait_alu 0xfffe
	s_xor_b64 s[6:7], s[6:7], s[0:1]
	s_wait_alu 0xfffe
	s_sub_nc_u64 s[48:49], s[6:7], s[0:1]
	s_load_b64 s[46:47], s[60:61], 0x74
	v_cvt_f32_u32_e32 v1, s22
	s_and_not1_b32 vcc_lo, exec_lo, s23
	s_cbranch_vccnz .LBB9_3
.LBB9_2:
	s_delay_alu instid0(VALU_DEP_1) | instskip(SKIP_1) | instid1(TRANS32_DEP_1)
	v_rcp_iflag_f32_e32 v2, v1
	s_sub_co_i32 s1, 0, s22
	v_mul_f32_e32 v2, 0x4f7ffffe, v2
	s_delay_alu instid0(VALU_DEP_1) | instskip(NEXT) | instid1(VALU_DEP_1)
	v_cvt_u32_f32_e32 v2, v2
	v_readfirstlane_b32 s0, v2
	s_wait_alu 0xfffe
	s_mul_i32 s1, s1, s0
	s_wait_alu 0xfffe
	s_mul_hi_u32 s1, s0, s1
	s_wait_alu 0xfffe
	s_add_co_i32 s0, s0, s1
	s_wait_alu 0xfffe
	s_mul_hi_u32 s0, s8, s0
	s_wait_alu 0xfffe
	s_mul_i32 s1, s0, s22
	s_add_co_i32 s6, s0, 1
	s_wait_alu 0xfffe
	s_sub_co_i32 s1, s8, s1
	s_wait_alu 0xfffe
	s_sub_co_i32 s7, s1, s22
	s_cmp_ge_u32 s1, s22
	s_cselect_b32 s0, s6, s0
	s_wait_alu 0xfffe
	s_cselect_b32 s1, s7, s1
	s_add_co_i32 s6, s0, 1
	s_wait_alu 0xfffe
	s_cmp_ge_u32 s1, s22
	s_cselect_b32 s48, s6, s0
.LBB9_3:
	s_add_co_i32 s8, ttmp9, 1
	s_mov_b32 s9, 0
	s_delay_alu instid0(SALU_CYCLE_1)
	s_mul_u64 s[2:3], s[2:3], s[8:9]
	s_mov_b32 s0, s9
	s_wait_alu 0xfffe
	s_mov_b32 s1, s3
	s_wait_alu 0xfffe
	s_cmp_lg_u64 s[0:1], 0
	s_cbranch_scc0 .LBB9_479
; %bb.4:
	s_xor_b64 s[4:5], s[4:5], 0
	s_delay_alu instid0(SALU_CYCLE_1) | instskip(SKIP_3) | instid1(SALU_CYCLE_1)
	s_cvt_f32_u32 s0, s4
	s_cvt_f32_u32 s1, s5
	s_sub_nc_u64 s[6:7], 0, s[4:5]
	s_wait_alu 0xfffe
	s_fmamk_f32 s0, s1, 0x4f800000, s0
	s_wait_alu 0xfffe
	s_delay_alu instid0(SALU_CYCLE_2) | instskip(NEXT) | instid1(TRANS32_DEP_1)
	v_s_rcp_f32 s0, s0
	s_mul_f32 s0, s0, 0x5f7ffffc
	s_wait_alu 0xfffe
	s_delay_alu instid0(SALU_CYCLE_2) | instskip(SKIP_1) | instid1(SALU_CYCLE_2)
	s_mul_f32 s1, s0, 0x2f800000
	s_wait_alu 0xfffe
	s_trunc_f32 s1, s1
	s_wait_alu 0xfffe
	s_delay_alu instid0(SALU_CYCLE_2) | instskip(SKIP_2) | instid1(SALU_CYCLE_1)
	s_fmamk_f32 s0, s1, 0xcf800000, s0
	s_cvt_u32_f32 s1, s1
	s_wait_alu 0xfffe
	s_cvt_u32_f32 s0, s0
	s_wait_alu 0xfffe
	s_delay_alu instid0(SALU_CYCLE_2) | instskip(NEXT) | instid1(SALU_CYCLE_1)
	s_mul_u64 s[10:11], s[6:7], s[0:1]
	s_mul_hi_u32 s13, s0, s11
	s_mul_i32 s12, s0, s11
	s_mul_hi_u32 s8, s0, s10
	s_mul_i32 s15, s1, s10
	s_add_nc_u64 s[12:13], s[8:9], s[12:13]
	s_mul_hi_u32 s14, s1, s10
	s_mul_hi_u32 s16, s1, s11
	s_add_co_u32 s8, s12, s15
	s_add_co_ci_u32 s8, s13, s14
	s_mul_i32 s10, s1, s11
	s_add_co_ci_u32 s11, s16, 0
	s_delay_alu instid0(SALU_CYCLE_1) | instskip(NEXT) | instid1(SALU_CYCLE_1)
	s_add_nc_u64 s[10:11], s[8:9], s[10:11]
	s_add_co_u32 s0, s0, s10
	s_cselect_b32 s8, -1, 0
	s_delay_alu instid0(SALU_CYCLE_1)
	s_cmp_lg_u32 s8, 0
	s_add_co_ci_u32 s1, s1, s11
	s_wait_alu 0xfffe
	s_mul_u64 s[6:7], s[6:7], s[0:1]
	s_wait_alu 0xfffe
	s_mul_hi_u32 s11, s0, s7
	s_mul_i32 s10, s0, s7
	s_mul_hi_u32 s8, s0, s6
	s_mul_i32 s13, s1, s6
	s_add_nc_u64 s[10:11], s[8:9], s[10:11]
	s_mul_hi_u32 s12, s1, s6
	s_mul_hi_u32 s14, s1, s7
	s_mul_i32 s6, s1, s7
	s_add_co_u32 s7, s10, s13
	s_add_co_ci_u32 s8, s11, s12
	s_add_co_ci_u32 s7, s14, 0
	s_wait_alu 0xfffe
	s_add_nc_u64 s[6:7], s[8:9], s[6:7]
	s_wait_alu 0xfffe
	s_add_co_u32 s12, s0, s6
	s_cselect_b32 s0, -1, 0
	s_wait_alu 0xfffe
	s_cmp_lg_u32 s0, 0
	s_add_co_ci_u32 s13, s1, s7
	s_ashr_i32 s0, s3, 31
	s_wait_alu 0xfffe
	s_mov_b32 s1, s0
	s_wait_alu 0xfffe
	s_add_nc_u64 s[6:7], s[2:3], s[0:1]
	s_wait_alu 0xfffe
	s_xor_b64 s[6:7], s[6:7], s[0:1]
	s_wait_alu 0xfffe
	s_mul_hi_u32 s11, s6, s13
	s_mul_i32 s10, s6, s13
	s_mul_hi_u32 s8, s6, s12
	s_mul_i32 s15, s7, s12
	s_add_nc_u64 s[10:11], s[8:9], s[10:11]
	s_mul_hi_u32 s14, s7, s12
	s_mul_hi_u32 s3, s7, s13
	s_add_co_u32 s8, s10, s15
	s_add_co_ci_u32 s8, s11, s14
	s_mul_i32 s12, s7, s13
	s_wait_alu 0xfffe
	s_add_co_ci_u32 s13, s3, 0
	s_delay_alu instid0(SALU_CYCLE_1) | instskip(NEXT) | instid1(SALU_CYCLE_1)
	s_add_nc_u64 s[10:11], s[8:9], s[12:13]
	s_mul_u64 s[12:13], s[4:5], s[10:11]
	s_delay_alu instid0(SALU_CYCLE_1)
	s_sub_co_u32 s3, s6, s12
	s_cselect_b32 s6, -1, 0
	s_sub_co_i32 s8, s7, s13
	s_wait_alu 0xfffe
	s_cmp_lg_u32 s6, 0
	s_sub_co_ci_u32 s8, s8, s5
	s_sub_co_u32 s12, s3, s4
	s_cselect_b32 s14, -1, 0
	s_delay_alu instid0(SALU_CYCLE_1) | instskip(SKIP_2) | instid1(SALU_CYCLE_1)
	s_cmp_lg_u32 s14, 0
	s_add_nc_u64 s[14:15], s[10:11], 1
	s_sub_co_ci_u32 s8, s8, 0
	s_cmp_ge_u32 s8, s5
	s_cselect_b32 s16, -1, 0
	s_cmp_ge_u32 s12, s4
	s_cselect_b32 s12, -1, 0
	s_cmp_eq_u32 s8, s5
	s_cselect_b32 s8, s12, s16
	s_add_nc_u64 s[16:17], s[10:11], 2
	s_cmp_lg_u32 s8, 0
	s_cselect_b32 s8, s16, s14
	s_cselect_b32 s12, s17, s15
	s_cmp_lg_u32 s6, 0
	s_sub_co_ci_u32 s6, s7, s13
	s_wait_alu 0xfffe
	s_cmp_ge_u32 s6, s5
	s_cselect_b32 s7, -1, 0
	s_cmp_ge_u32 s3, s4
	s_cselect_b32 s3, -1, 0
	s_cmp_eq_u32 s6, s5
	s_wait_alu 0xfffe
	s_cselect_b32 s3, s3, s7
	s_wait_alu 0xfffe
	s_cmp_lg_u32 s3, 0
	s_cselect_b32 s5, s12, s11
	s_cselect_b32 s4, s8, s10
	s_xor_b64 s[0:1], s[0:1], 0
	s_wait_alu 0xfffe
	s_xor_b64 s[4:5], s[4:5], s[0:1]
	s_delay_alu instid0(SALU_CYCLE_1)
	s_sub_nc_u64 s[54:55], s[4:5], s[0:1]
	s_load_b64 s[36:37], s[60:61], 0x5c
	s_and_not1_b32 vcc_lo, exec_lo, s9
	s_cbranch_vccnz .LBB9_6
.LBB9_5:
	v_rcp_iflag_f32_e32 v1, v1
	s_sub_co_i32 s1, 0, s22
	s_delay_alu instid0(TRANS32_DEP_1) | instskip(NEXT) | instid1(VALU_DEP_1)
	v_mul_f32_e32 v1, 0x4f7ffffe, v1
	v_cvt_u32_f32_e32 v1, v1
	s_delay_alu instid0(VALU_DEP_1)
	v_readfirstlane_b32 s0, v1
	s_wait_alu 0xfffe
	s_mul_i32 s1, s1, s0
	s_wait_alu 0xfffe
	s_mul_hi_u32 s1, s0, s1
	s_wait_alu 0xfffe
	s_add_co_i32 s0, s0, s1
	s_wait_alu 0xfffe
	s_mul_hi_u32 s0, s2, s0
	s_wait_alu 0xfffe
	s_mul_i32 s1, s0, s22
	s_wait_alu 0xfffe
	s_sub_co_i32 s1, s2, s1
	s_add_co_i32 s2, s0, 1
	s_wait_alu 0xfffe
	s_sub_co_i32 s3, s1, s22
	s_cmp_ge_u32 s1, s22
	s_cselect_b32 s0, s2, s0
	s_wait_alu 0xfffe
	s_cselect_b32 s1, s3, s1
	s_add_co_i32 s2, s0, 1
	s_wait_alu 0xfffe
	s_cmp_ge_u32 s1, s22
	s_cselect_b32 s54, s2, s0
.LBB9_6:
	s_clause 0x3
	s_load_b32 s1, s[60:61], 0x40
	s_load_b64 s[34:35], s[60:61], 0x8c
	s_load_b128 s[28:31], s[60:61], 0x98
	s_load_b64 s[2:3], s[60:61], 0xa8
	v_writelane_b32 v255, s22, 1
	s_abs_i32 s55, s98
	s_ashr_i32 s7, s27, 3
	s_cvt_f32_u32 s0, s55
	s_sub_co_i32 s4, 0, s55
	v_writelane_b32 v255, s23, 2
	s_wait_kmcnt 0x0
	s_ashr_i32 s44, s46, 3
	s_wait_alu 0xfffe
	v_rcp_iflag_f32_e32 v1, s0
	s_ashr_i32 s0, s48, 31
	s_load_b512 s[8:23], s[60:61], 0x0
	v_bfe_u32 v248, v0, 10, 10
	v_bfe_u32 v229, v0, 10, 1
	v_and_b32_e32 v246, 0x3ff, v0
	v_lshrrev_b32_e32 v253, 10, v0
	s_mov_b32 s57, 0
	v_mad_u32_u24 v175, 0xb00, v248, 0
	s_cvt_f16_f32 s1, s1
	s_mov_b32 s5, s35
	s_ashr_i32 s26, s34, 2
	v_writelane_b32 v255, s2, 3
	s_ashr_i32 s34, s30, 2
	v_add_nc_u32_e32 v224, 4, v248
	v_add_nc_u32_e32 v222, 8, v248
	;; [unrolled: 1-line block ×3, first 2 shown]
	v_writelane_b32 v255, s3, 4
	s_clause 0x1
	s_load_b64 s[42:43], s[60:61], 0xb8
	s_load_b64 s[2:3], s[60:61], 0xc8
	v_add_nc_u32_e32 v247, 16, v248
	v_add_nc_u32_e32 v207, 20, v248
	;; [unrolled: 1-line block ×12, first 2 shown]
	s_mov_b32 s53, s57
	s_wait_kmcnt 0x0
	s_ashr_i32 s38, s43, 1
	v_writelane_b32 v255, s2, 5
	v_writelane_b32 v255, s3, 6
	v_readfirstlane_b32 s2, v1
	s_ashr_i32 s3, s98, 31
	s_wait_alu 0xfffe
	v_writelane_b32 v255, s3, 7
	s_mul_f32 s2, s2, 0x4f7ffffe
	s_abs_i32 s3, s48
	s_wait_alu 0xfffe
	s_delay_alu instid0(SALU_CYCLE_1) | instskip(SKIP_1) | instid1(SALU_CYCLE_2)
	s_cvt_u32_f32 s2, s2
	s_wait_alu 0xfffe
	s_mul_i32 s4, s4, s2
	s_delay_alu instid0(SALU_CYCLE_1) | instskip(NEXT) | instid1(SALU_CYCLE_1)
	s_mul_hi_u32 s4, s2, s4
	s_add_co_i32 s52, s2, s4
	v_writelane_b32 v255, s4, 8
	s_mul_hi_u32 s2, s3, s52
	s_wait_alu 0xfffe
	s_mul_i32 s2, s2, s55
	s_wait_alu 0xfffe
	s_sub_co_i32 s2, s3, s2
	v_writelane_b32 v255, s5, 9
	s_wait_alu 0xfffe
	s_sub_co_i32 s3, s2, s55
	s_cmp_ge_u32 s2, s55
	s_wait_alu 0xfffe
	s_cselect_b32 s2, s3, s2
	v_writelane_b32 v255, s44, 10
	s_wait_alu 0xfffe
	s_sub_co_i32 s3, s2, s55
	s_cmp_ge_u32 s2, s55
	s_wait_alu 0xfffe
	s_cselect_b32 s2, s3, s2
	s_sub_co_i32 s3, s54, s48
	s_wait_alu 0xfffe
	s_xor_b32 s2, s2, s0
	v_writelane_b32 v255, s42, 11
	s_wait_alu 0xfffe
	s_sub_co_i32 s94, s2, s0
	s_delay_alu instid0(SALU_CYCLE_1)
	s_add_co_i32 s3, s3, s94
	s_wait_alu 0xfffe
	s_min_i32 s49, s98, s3
	s_cmp_gt_i32 s54, s48
	v_writelane_b32 v255, s43, 12
	s_cselect_b32 s0, -1, 0
	s_cmp_le_i32 s54, s48
	s_cselect_b32 s2, -1, 0
	s_cmp_gt_i32 s98, s3
	v_writelane_b32 v255, s1, 13
	s_cselect_b32 s3, -1, 0
	s_wait_alu 0xfffe
	s_or_b32 s2, s3, s2
	s_wait_alu 0xfffe
	s_and_b32 vcc_lo, exec_lo, s2
	s_cbranch_vccnz .LBB9_393
; %bb.7:
	v_dual_mov_b32 v230, 0 :: v_dual_lshlrev_b32 v21, 2, v248
	v_bfe_u32 v24, v0, 3, 7
	v_lshlrev_b32_e32 v22, 4, v248
	v_bfe_u32 v23, v0, 1, 9
	v_and_b32_e32 v254, 7, v0
	v_lshlrev_b32_e32 v176, 2, v246
	v_add_nc_u32_e32 v27, v21, v24
	v_add_nc_u16 v21, v21, v24
	v_and_b32_e32 v25, 15, v0
	v_add_nc_u32_e32 v26, v23, v22
	v_lshlrev_b32_e32 v28, 2, v254
	v_and_b32_e32 v30, 4, v176
	v_mad_u32_u24 v43, 0xb0, v27, 0
	v_lshrrev_b16 v21, 1, v21
	v_mul_lo_u32 v1, s26, v26
	v_mul_lo_u32 v15, s34, v26
	v_and_b32_e32 v37, 0x1fe, v23
	v_and_b32_e32 v23, 56, v23
	v_mad_u32_u24 v26, 0xb0, v26, 0
	v_lshlrev_b32_e32 v39, 2, v30
	v_add_nc_u32_e32 v41, 0xb00, v43
	v_add_nc_u32_e32 v42, 0x1600, v43
	v_lshl_add_u32 v164, v25, 1, 0
	v_and_b32_e32 v165, 0xffff, v21
	v_add_nc_u32_e32 v21, v43, v28
	v_add3_u32 v183, v26, v39, 0x80
	v_add_nc_u32_e32 v26, 0x2100, v43
	v_mad_u32_u24 v193, 0xb0, v23, v164
	v_add_nc_u32_e32 v23, v42, v28
	s_clause 0x1
	scratch_store_b32 off, v21, off offset:68
	scratch_store_b32 off, v43, off offset:260
	v_add_nc_u32_e32 v21, v41, v28
	s_cmp_eq_u64 s[16:17], 0
	v_and_b32_e32 v29, 0x70, v0
	v_add_nc_u32_e32 v24, v26, v28
	s_cselect_b32 s0, -1, 0
	scratch_store_b32 off, v21, off offset:104 ; 4-byte Folded Spill
	v_or_b32_e32 v21, v22, v246
	s_cmp_lg_u64 s[18:19], 0
	v_and_b32_e32 v31, 28, v176
	v_or_b32_e32 v38, 6, v37
	v_or_b32_e32 v37, 7, v37
	s_wait_alu 0xfffe
	v_writelane_b32 v255, s0, 14
	s_cselect_b32 s0, -1, 0
	s_wait_alu 0xfffe
	s_lshl_b32 s56, ttmp9, 6
	v_add_nc_u32_e32 v163, 0, v29
	scratch_store_b32 off, v23, off offset:112 ; 4-byte Folded Spill
	v_lshlrev_b32_e32 v23, 3, v21
	s_lshl_b64 s[4:5], s[56:57], 3
	v_and_or_b32 v10, v0, 14, v22
	v_lshlrev_b32_e32 v40, 2, v31
	v_mul_u32_u24_e32 v162, 0xb0, v37
	v_mad_u32_u24 v195, 0xb0, v37, v164
	v_and_b32_e32 v37, 1, v0
	v_bfe_u32 v0, v0, 10, 4
	s_wait_alu 0xfffe
	s_add_nc_u64 s[40:41], s[22:23], s[4:5]
	v_mul_u32_u24_e32 v2, 0xb0, v25
	v_mad_u32_u24 v190, 0xb0, v25, v163
	v_or_b32_e32 v22, v22, v25
	v_add_co_u32 v25, s30, s40, v23
	v_lshrrev_b32_e32 v35, 1, v10
	v_or_b32_e32 v36, 12, v246
	v_add_nc_u32_e32 v189, v26, v40
	v_add_co_ci_u32_e64 v26, null, s41, 0, s30
	scratch_store_b32 off, v24, off offset:120 ; 4-byte Folded Spill
	v_and_or_b32 v24, 0xf0, v247, v0
	v_add_nc_u32_e32 v32, 16, v27
	v_mad_u32_u24 v35, 0x90, v35, 0
	v_and_b32_e32 v36, 0x7c, v36
	v_mul_u32_u24_e32 v182, 0xb0, v22
	v_mul_u32_u24_e32 v22, 0xb0, v24
	v_and_or_b32 v23, 0xf0, v242, v0
	v_and_or_b32 v0, 0xf0, v244, v0
	v_mad_u32_u24 v24, 0xb0, v24, 0
	scratch_store_b64 off, v[25:26], off offset:168 ; 8-byte Folded Spill
	v_and_b32_e32 v25, 15, v27
	v_mul_lo_u32 v3, s26, v27
	v_add3_u32 v178, v175, v2, v29
	v_mul_u32_u24_e32 v160, 0xb0, v27
	v_mul_lo_u32 v9, s34, v27
	v_add_nc_u32_e32 v33, 32, v27
	v_add_nc_u32_e32 v34, 48, v27
	;; [unrolled: 1-line block ×4, first 2 shown]
	v_mul_u32_u24_e32 v27, 0xb0, v23
	v_and_or_b32 v29, 0x7f0, v32, v25
	v_mul_u32_u24_e32 v36, 0xb0, v0
	v_mad_u32_u24 v23, 0xb0, v23, 0
	v_mad_u32_u24 v0, 0xb0, v0, 0
	v_lshrrev_b32_e32 v167, 1, v33
	v_and_or_b32 v33, 0x7f0, v33, v25
	s_clause 0x2
	scratch_store_b32 off, v24, off offset:404
	scratch_store_b32 off, v23, off offset:424
	;; [unrolled: 1-line block ×3, first 2 shown]
	v_mad_u32_u24 v0, 0xb0, v29, 0
	v_and_or_b32 v25, 0x7f0, v34, v25
	v_mad_u32_u24 v23, 0xb0, v33, 0
	v_ashrrev_i32_e32 v16, 31, v15
	v_ashrrev_i32_e32 v2, 31, v1
	scratch_store_b32 off, v0, off offset:356 ; 4-byte Folded Spill
	v_add_nc_u32_e32 v0, v0, v28
	v_mad_u32_u24 v24, 0xb0, v25, 0
	scratch_store_b32 off, v23, off offset:372 ; 4-byte Folded Spill
	v_lshlrev_b64_e32 v[114:115], 2, v[15:16]
	v_lshlrev_b64_e32 v[116:117], 2, v[1:2]
	scratch_store_b32 off, v0, off offset:360 ; 4-byte Folded Spill
	v_add_nc_u32_e32 v0, v23, v28
	s_clause 0x1
	scratch_store_b32 off, v0, off offset:376
	scratch_store_b32 off, v24, off offset:388
	v_add_nc_u32_e32 v0, v24, v28
	v_add_nc_u32_e32 v219, 0, v176
	s_abs_i32 s101, s97
	s_abs_i32 s103, s95
	s_cvt_f32_u32 s30, s101
	scratch_store_b32 off, v0, off offset:392 ; 4-byte Folded Spill
	v_lshlrev_b32_e32 v0, 4, v37
	s_cvt_f32_u32 s40, s103
	s_wait_alu 0xfffe
	v_rcp_iflag_f32_e32 v26, s30
	s_abs_i32 s102, s96
	v_add_nc_u32_e32 v177, 0, v28
	v_add_co_u32 v15, vcc_lo, v0, v114
	s_delay_alu instid0(VALU_DEP_1) | instskip(SKIP_1) | instid1(VALU_DEP_3)
	v_add_co_ci_u32_e64 v16, null, 0, v115, vcc_lo
	v_lshrrev_b32_e32 v180, 1, v34
	v_add_co_u32 v15, vcc_lo, s12, v15
	s_wait_alu 0xfffd
	s_delay_alu instid0(VALU_DEP_3) | instskip(SKIP_1) | instid1(VALU_DEP_2)
	v_add_co_ci_u32_e64 v16, null, s13, v16, vcc_lo
	v_rcp_iflag_f32_e32 v35, s40
	v_add_co_u32 v1, vcc_lo, 0x80, v15
	v_mul_u32_u24_e32 v34, 0xb0, v29
	s_cvt_f32_u32 s30, s102
	v_lshrrev_b32_e32 v166, 1, v32
	scratch_store_b32 off, v1, off offset:264 ; 4-byte Folded Spill
	s_wait_alu 0xfffd
	v_add_co_ci_u32_e64 v1, null, 0, v16, vcc_lo
	v_add_co_u32 v0, vcc_lo, v0, v116
	s_wait_alu 0xfffe
	v_rcp_iflag_f32_e32 v32, s30
	scratch_store_b32 off, v1, off offset:268 ; 4-byte Folded Spill
	s_wait_alu 0xfffd
	v_add_co_ci_u32_e64 v1, null, 0, v117, vcc_lo
	v_add_co_u32 v0, vcc_lo, s10, v0
	v_readfirstlane_b32 s30, v26
	s_wait_alu 0xfffd
	s_delay_alu instid0(VALU_DEP_3) | instskip(NEXT) | instid1(VALU_DEP_3)
	v_add_co_ci_u32_e64 v1, null, s11, v1, vcc_lo
	v_add_co_u32 v0, vcc_lo, 0x80, v0
	v_mul_u32_u24_e32 v26, 0xb0, v33
	s_abs_i32 s104, s42
	v_readfirstlane_b32 s42, v35
	scratch_store_b32 off, v0, off offset:272 ; 4-byte Folded Spill
	s_wait_alu 0xfffd
	v_add_co_ci_u32_e64 v0, null, 0, v1, vcc_lo
	v_mul_u32_u24_e32 v35, 0xb0, v25
	v_mul_u32_u24_e32 v21, 0xb0, v21
	v_writelane_b32 v255, s0, 15
	scratch_store_b32 off, v0, off offset:276 ; 4-byte Folded Spill
	v_add_nc_u32_e32 v0, v219, v22
	s_movk_i32 s0, 0xb0
	v_lshrrev_b32_e32 v2, 1, v244
	s_movk_i32 s3, 0xdc0
	v_mad_u32_u24 v1, 0xb0, v248, 0
	scratch_store_b32 off, v0, off offset:400 ; 4-byte Folded Spill
	v_add_nc_u32_e32 v0, v219, v27
	scratch_store_b32 off, v2, off offset:44 ; 4-byte Folded Spill
	v_lshrrev_b32_e32 v2, 1, v240
	v_bfe_u32 v22, v246, 3, 1
	s_and_b32 s100, 0xffff, s1
	scratch_store_b32 off, v0, off offset:420 ; 4-byte Folded Spill
	v_add_nc_u32_e32 v0, v219, v36
	scratch_store_b32 off, v2, off offset:48 ; 4-byte Folded Spill
	v_lshrrev_b32_e32 v2, 1, v239
	s_lshl_b32 s1, s26, 4
	v_ashrrev_i32_e32 v10, 31, v9
	scratch_store_b32 off, v0, off offset:440 ; 4-byte Folded Spill
	v_add_nc_u32_e32 v0, v177, v34
	scratch_store_b32 off, v2, off offset:52 ; 4-byte Folded Spill
	v_lshrrev_b32_e32 v2, 1, v238
	s_wait_alu 0xfffe
	v_add_nc_u32_e32 v5, s1, v3
	v_lshlrev_b64_e32 v[118:119], 2, v[9:10]
	scratch_store_b32 off, v0, off offset:352 ; 4-byte Folded Spill
	v_add_nc_u32_e32 v0, v177, v26
	scratch_store_b32 off, v2, off offset:56 ; 4-byte Folded Spill
	v_add_nc_u32_e32 v2, 0x2c0, v1
	v_add_nc_u32_e32 v7, s1, v5
	v_ashrrev_i32_e32 v4, 31, v3
	scratch_store_b32 off, v0, off offset:368 ; 4-byte Folded Spill
	v_add_nc_u32_e32 v0, v177, v35
	scratch_store_b32 off, v2, off offset:364 ; 4-byte Folded Spill
	v_add_nc_u32_e32 v2, 0x580, v1
	v_add_nc_u32_e32 v11, s1, v7
	s_lshl_b32 s1, s34, 4
	scratch_store_b32 off, v0, off offset:384 ; 4-byte Folded Spill
	v_add_nc_u32_e32 v0, 0, v21
	s_wait_alu 0xfffe
	v_add_nc_u32_e32 v13, s1, v9
	v_lshlrev_b64_e32 v[126:127], 2, v[3:4]
	v_ashrrev_i32_e32 v6, 31, v5
	s_mul_f32 s30, s30, 0x4f7ffffe
	scratch_store_b32 off, v0, off offset:280 ; 4-byte Folded Spill
	v_mad_u32_u24 v0, v248, s0, 0xb00
	v_ashrrev_i32_e32 v14, 31, v13
	v_add_nc_u32_e32 v17, s1, v13
	v_lshlrev_b64_e32 v[128:129], 2, v[5:6]
	s_wait_alu 0xfffe
	s_cvt_u32_f32 s30, s30
	scratch_store_b32 off, v0, off          ; 4-byte Folded Spill
	v_lshrrev_b32_e32 v0, 1, v207
	v_lshlrev_b64_e32 v[120:121], 2, v[13:14]
	v_ashrrev_i32_e32 v18, 31, v17
	v_add_nc_u32_e32 v19, s1, v17
	s_sub_co_i32 s43, 0, s101
	scratch_store_b32 off, v0, off offset:4 ; 4-byte Folded Spill
	v_mad_u32_u24 v0, 0xb0, v248, s3
	v_lshlrev_b64_e32 v[122:123], 2, v[17:18]
	v_ashrrev_i32_e32 v20, 31, v19
	s_ashr_i32 s45, s97, 31
	v_ashrrev_i32_e32 v8, 31, v7
	scratch_store_b32 off, v0, off offset:8 ; 4-byte Folded Spill
	v_lshrrev_b32_e32 v0, 1, v206
	v_lshlrev_b64_e32 v[124:125], 2, v[19:20]
	s_wait_alu 0xfffe
	s_mul_i32 s43, s43, s30
	v_writelane_b32 v255, s45, 16
	v_readfirstlane_b32 s41, v32
	scratch_store_b32 off, v0, off offset:12 ; 4-byte Folded Spill
	v_lshrrev_b32_e32 v0, 1, v205
	scratch_store_b32 off, v37, off offset:72 ; 4-byte Folded Spill
	s_wait_alu 0xfffe
	s_mul_hi_u32 s43, s30, s43
	s_mov_b32 s51, s57
	s_wait_alu 0xfffe
	s_add_co_i32 s50, s30, s43
	scratch_store_b32 off, v0, off offset:16 ; 4-byte Folded Spill
	v_lshrrev_b32_e32 v0, 1, v242
	v_lshlrev_b64_e32 v[130:131], 2, v[7:8]
	v_writelane_b32 v255, s50, 17
	s_mul_f32 s41, s41, 0x4f7ffffe
	s_cvt_f32_u32 s40, s104
	scratch_store_b32 off, v0, off offset:28 ; 4-byte Folded Spill
	v_lshrrev_b32_e32 v0, 1, v252
	v_ashrrev_i32_e32 v12, 31, v11
	s_wait_alu 0xfffe
	s_cvt_u32_f32 s41, s41
	v_writelane_b32 v255, s51, 18
	v_rcp_iflag_f32_e32 v32, s40
	scratch_store_b32 off, v0, off offset:32 ; 4-byte Folded Spill
	v_lshrrev_b32_e32 v0, 1, v250
	s_sub_co_i32 s30, 0, s102
	s_ashr_i32 s43, s96, 31
	s_wait_alu 0xfffe
	s_mul_i32 s30, s30, s41
	v_lshlrev_b64_e32 v[132:133], 2, v[11:12]
	scratch_store_b32 off, v0, off offset:36 ; 4-byte Folded Spill
	v_lshrrev_b32_e32 v0, 1, v249
	v_writelane_b32 v255, s43, 19
	s_wait_alu 0xfffe
	s_mul_hi_u32 s30, s41, s30
	s_mov_b32 s51, s57
	s_wait_alu 0xfffe
	s_add_co_i32 s50, s41, s30
	scratch_store_b32 off, v0, off offset:40 ; 4-byte Folded Spill
	v_mul_lo_u32 v0, v22, s44
	s_wait_alu 0xfffe
	v_writelane_b32 v255, s50, 20
	v_readfirstlane_b32 s40, v32
	s_mul_f32 s42, s42, 0x4f7ffffe
	s_ashr_i32 s41, s95, 31
	v_mul_u32_u24_e32 v161, 0xb0, v38
	v_writelane_b32 v255, s51, 21
	s_mul_f32 s30, s40, 0x4f7ffffe
	v_add3_u32 v23, v0, v254, 32
	v_add_nc_u32_e32 v0, 0x840, v1
	scratch_store_b32 off, v2, off offset:380 ; 4-byte Folded Spill
	s_wait_alu 0xfffe
	s_cvt_u32_f32 s40, s42
	v_writelane_b32 v255, s41, 22
	s_sub_co_i32 s41, 0, s103
	scratch_store_b32 off, v0, off offset:396 ; 4-byte Folded Spill
	v_add_nc_u32_e32 v0, 0xdc0, v1
	s_cvt_u32_f32 s30, s30
	s_wait_alu 0xfffe
	s_mul_i32 s41, s41, s40
	s_sub_co_i32 s42, 0, s104
	v_mad_co_u64_u32 v[136:137], null, v229, s44, v[246:247]
	scratch_store_b32 off, v0, off offset:408 ; 4-byte Folded Spill
	v_add_nc_u32_e32 v0, 0x1080, v1
	s_movk_i32 s5, 0x2c0
	s_movk_i32 s6, 0x580
	;; [unrolled: 1-line block ×4, first 2 shown]
	scratch_store_b32 off, v0, off offset:412 ; 4-byte Folded Spill
	v_add_nc_u32_e32 v0, 0x1340, v1
	s_wait_alu 0xfffe
	s_mul_hi_u32 s41, s40, s41
	s_mul_i32 s42, s42, s30
	v_add_nc_u32_e32 v184, v43, v40
	v_add_nc_u32_e32 v185, v41, v40
	scratch_store_b32 off, v0, off offset:416 ; 4-byte Folded Spill
	v_add_nc_u32_e32 v0, 0x18c0, v1
	v_add_nc_u32_e32 v186, v42, v40
	v_mad_u32_u24 v194, 0xb0, v38, v164
	v_cmp_gt_u32_e64 s2, 16, v246
	v_lshlrev_b32_e32 v220, 2, v30
	scratch_store_b32 off, v0, off offset:428 ; 4-byte Folded Spill
	v_add_nc_u32_e32 v0, 0x1b80, v1
	v_lshlrev_b32_e32 v221, 2, v31
	v_lshlrev_b32_e32 v196, 1, v246
	v_mul_u32_u24_e32 v231, 0x90, v248
	v_add_nc_u32_e32 v232, 32, v191
	scratch_store_b32 off, v0, off offset:432 ; 4-byte Folded Spill
	v_add_nc_u32_e32 v0, 0x1e40, v1
	v_add_nc_u32_e32 v233, 40, v191
	;; [unrolled: 1-line block ×5, first 2 shown]
	scratch_store_b32 off, v0, off offset:436 ; 4-byte Folded Spill
	v_add_nc_u32_e32 v0, 0x23c0, v1
	v_add_nc_u32_e32 v237, 0x68, v191
	v_bfe_u32 v197, v253, 1, 9
	v_mul_u32_u24_e32 v198, 0xb0, v248
	v_lshrrev_b32_e32 v199, 1, v224
	scratch_store_b32 off, v0, off offset:448 ; 4-byte Folded Spill
	v_add_nc_u32_e32 v0, 0x2680, v1
	s_clause 0x1
	scratch_store_b32 off, v0, off offset:452
	scratch_store_b32 off, v1, off offset:284
	v_add_nc_u32_e32 v0, 0x2940, v1
	v_mad_u32_u24 v200, 0xb0, v248, s5
	v_lshrrev_b32_e32 v201, 1, v222
	v_mad_u32_u24 v202, 0xb0, v248, s6
	v_lshrrev_b32_e32 v203, 1, v208
	scratch_store_b32 off, v0, off offset:456 ; 4-byte Folded Spill
	v_add_co_u32 v0, vcc_lo, s12, v118
	v_mad_u32_u24 v204, 0xb0, v248, s4
	v_lshrrev_b32_e32 v223, 1, v247
	v_mad_u32_u24 v251, 0xb0, v248, s1
	scratch_store_b32 off, v0, off offset:288 ; 4-byte Folded Spill
	s_wait_alu 0xfffd
	v_add_co_ci_u32_e64 v0, null, s13, v119, vcc_lo
	v_lshlrev_b32_e32 v227, 4, v254
	v_mbcnt_lo_u32_b32 v225, -1, 0
	s_ashr_i32 s39, s38, 31
	scratch_store_b32 off, v0, off offset:292 ; 4-byte Folded Spill
	v_add_co_u32 v0, vcc_lo, s12, v120
	s_ashr_i32 s27, s26, 31
	s_ashr_i32 s35, s34, 31
	s_wait_alu 0xfffe
	s_add_co_i32 s62, s40, s41
	scratch_store_b32 off, v0, off offset:296 ; 4-byte Folded Spill
	s_wait_alu 0xfffd
	v_add_co_ci_u32_e64 v0, null, s13, v121, vcc_lo
	s_mul_hi_u32 s40, s30, s42
	s_mul_i32 s100, s100, 0x10001
	s_mov_b32 s63, s57
	scratch_store_b32 off, v0, off offset:300 ; 4-byte Folded Spill
	v_add_co_u32 v0, vcc_lo, s12, v122
	s_wait_alu 0xfffe
	s_add_co_i32 s64, s30, s40
	s_mov_b32 s65, s57
	s_lshl_b64 s[66:67], s[38:39], 1
	scratch_store_b32 off, v0, off offset:304 ; 4-byte Folded Spill
	s_wait_alu 0xfffd
	v_add_co_ci_u32_e64 v0, null, s13, v123, vcc_lo
	s_lshl_b64 s[68:69], s[34:35], 8
	s_lshl_b64 s[70:71], s[26:27], 8
	scratch_store_b32 off, v0, off offset:308 ; 4-byte Folded Spill
	v_add_co_u32 v0, vcc_lo, s12, v124
	scratch_store_b32 off, v0, off offset:312 ; 4-byte Folded Spill
	s_wait_alu 0xfffd
	v_add_co_ci_u32_e64 v0, null, s13, v125, vcc_lo
	scratch_store_b32 off, v0, off offset:316 ; 4-byte Folded Spill
	v_add_co_u32 v0, vcc_lo, s10, v126
	scratch_store_b32 off, v0, off offset:320 ; 4-byte Folded Spill
	s_wait_alu 0xfffd
	v_add_co_ci_u32_e64 v0, null, s11, v127, vcc_lo
	;; [unrolled: 5-line block ×5, first 2 shown]
	scratch_store_b32 off, v0, off offset:348 ; 4-byte Folded Spill
	v_mov_b32_e32 v0, v22
	s_clause 0x14
	scratch_store_b32 off, v160, off offset:76
	scratch_store_b32 off, v161, off offset:80
	;; [unrolled: 1-line block ×20, first 2 shown]
	scratch_store_b64 off, v[0:1], off offset:20
	v_mov_b32_e32 v0, v23
	s_clause 0x13
	scratch_store_b64 off, v[0:1], off offset:60
	scratch_store_b64 off, v[246:247], off offset:176
	scratch_store_b32 off, v248, off offset:184
	scratch_store_b32 off, v247, off offset:188
	;; [unrolled: 1-line block ×9, first 2 shown]
	scratch_store_b64 off, v[229:230], off offset:220
	scratch_store_b32 off, v238, off offset:228
	scratch_store_b32 off, v239, off offset:232
	;; [unrolled: 1-line block ×8, first 2 shown]
	s_branch .LBB9_9
.LBB9_8:                                ;   in Loop: Header=BB9_9 Depth=1
	s_wait_alu 0xfffe
	s_or_b32 exec_lo, exec_lo, s0
	s_add_co_i32 s3, s48, s98
	s_mov_b32 s94, 0
	s_wait_alu 0xfffe
	s_abs_i32 s56, s3
	s_delay_alu instid0(SALU_CYCLE_1)
	s_mul_u64 s[0:1], s[56:57], s[52:53]
	s_wait_alu 0xfffe
	s_mul_i32 s0, s1, s55
	s_ashr_i32 s1, s3, 31
	s_wait_alu 0xfffe
	s_sub_co_i32 s0, s56, s0
	s_wait_alu 0xfffe
	s_sub_co_i32 s4, s0, s55
	s_cmp_ge_u32 s0, s55
	s_wait_alu 0xfffe
	s_cselect_b32 s0, s4, s0
	s_wait_alu 0xfffe
	s_sub_co_i32 s4, s0, s55
	s_cmp_ge_u32 s0, s55
	s_wait_alu 0xfffe
	s_cselect_b32 s0, s4, s0
	s_wait_alu 0xfffe
	s_xor_b32 s0, s0, s1
	s_wait_alu 0xfffe
	s_sub_co_i32 s0, s1, s0
	s_wait_alu 0xfffe
	s_add_co_i32 s48, s3, s0
	s_delay_alu instid0(SALU_CYCLE_1)
	s_sub_co_i32 s1, s54, s48
	s_wait_alu 0xfffe
	s_min_i32 s49, s98, s1
	s_cmp_gt_i32 s54, s48
	s_cselect_b32 s0, -1, 0
	s_cmp_le_i32 s98, s1
	s_cselect_b32 s1, -1, 0
	s_wait_alu 0xfffe
	s_and_b32 s1, s1, s0
	s_wait_alu 0xfffe
	s_and_b32 vcc_lo, exec_lo, s1
	s_wait_alu 0xfffe
	s_cbranch_vccz .LBB9_393
.LBB9_9:                                ; =>This Loop Header: Depth=1
                                        ;     Child Loop BB9_96 Depth 2
                                        ;     Child Loop BB9_286 Depth 2
	v_readlane_b32 s0, v255, 17
	v_readlane_b32 s1, v255, 18
	s_abs_i32 s56, s48
	v_readlane_b32 s4, v255, 16
	v_readlane_b32 s6, v255, 19
	s_mul_u64 s[0:1], s[56:57], s[0:1]
	s_ashr_i32 s0, s48, 31
	s_wait_alu 0xfffe
	s_mul_i32 s3, s1, s101
	s_xor_b32 s0, s0, s4
	s_wait_alu 0xfffe
	s_sub_co_i32 s3, s56, s3
	s_add_co_i32 s4, s1, 1
	s_wait_alu 0xfffe
	s_sub_co_i32 s5, s3, s101
	s_cmp_ge_u32 s3, s101
	s_cselect_b32 s1, s4, s1
	s_wait_alu 0xfffe
	s_cselect_b32 s3, s5, s3
	s_add_co_i32 s4, s1, 1
	s_wait_alu 0xfffe
	s_cmp_ge_u32 s3, s101
	s_cselect_b32 s1, s4, s1
	s_wait_alu 0xfffe
	s_xor_b32 s1, s1, s0
	s_wait_alu 0xfffe
	s_sub_co_i32 s4, s1, s0
	s_wait_alu 0xfffe
	s_mul_i32 s0, s4, s97
	s_wait_alu 0xfffe
	s_sub_co_i32 s3, s48, s0
	v_readlane_b32 s0, v255, 20
	v_readlane_b32 s1, v255, 21
	s_wait_alu 0xfffe
	s_abs_i32 s56, s3
	s_delay_alu instid0(SALU_CYCLE_1)
	s_mul_u64 s[0:1], s[56:57], s[0:1]
	s_ashr_i32 s0, s3, 31
	s_wait_alu 0xfffe
	s_mul_i32 s5, s1, s102
	s_xor_b32 s0, s0, s6
	s_wait_alu 0xfffe
	s_sub_co_i32 s5, s56, s5
	s_add_co_i32 s6, s1, 1
	s_wait_alu 0xfffe
	s_sub_co_i32 s30, s5, s102
	s_cmp_ge_u32 s5, s102
	s_cselect_b32 s1, s6, s1
	s_wait_alu 0xfffe
	s_cselect_b32 s5, s30, s5
	s_add_co_i32 s6, s1, 1
	s_wait_alu 0xfffe
	s_cmp_ge_u32 s5, s102
	s_cselect_b32 s1, s6, s1
	v_readlane_b32 s6, v255, 22
	s_wait_alu 0xfffe
	s_xor_b32 s1, s1, s0
	s_wait_alu 0xfffe
	s_sub_co_i32 s0, s1, s0
	s_wait_alu 0xfffe
	s_mul_i32 s1, s0, s96
	s_wait_alu 0xfffe
	s_sub_co_i32 s3, s3, s1
	s_wait_alu 0xfffe
	s_abs_i32 s56, s3
	s_ashr_i32 s1, s3, 31
	s_mul_u64 s[40:41], s[56:57], s[62:63]
	s_wait_alu 0xfffe
	s_xor_b32 s1, s1, s6
	s_mul_i32 s5, s41, s103
	s_add_co_i32 s6, s41, 1
	s_wait_alu 0xfffe
	s_sub_co_i32 s5, s56, s5
	s_wait_alu 0xfffe
	s_sub_co_i32 s30, s5, s103
	s_cmp_ge_u32 s5, s103
	s_cselect_b32 s6, s6, s41
	s_wait_alu 0xfffe
	s_cselect_b32 s5, s30, s5
	s_add_co_i32 s30, s6, 1
	s_wait_alu 0xfffe
	s_cmp_ge_u32 s5, s103
	s_cselect_b32 s5, s30, s6
	v_readlane_b32 s6, v255, 7
	s_wait_alu 0xfffe
	s_xor_b32 s5, s5, s1
	s_wait_alu 0xfffe
	s_sub_co_i32 s1, s5, s1
	s_wait_alu 0xfffe
	s_mul_i32 s5, s1, s95
	s_wait_alu 0xfffe
	s_sub_co_i32 s3, s3, s5
	s_wait_alu 0xfffe
	s_abs_i32 s56, s3
	s_ashr_i32 s3, s3, 31
	s_mul_u64 s[40:41], s[56:57], s[52:53]
	s_wait_alu 0xfffe
	s_xor_b32 s3, s3, s6
	s_mul_i32 s5, s41, s55
	s_add_co_i32 s6, s41, 1
	s_wait_alu 0xfffe
	s_sub_co_i32 s5, s56, s5
	s_wait_alu 0xfffe
	s_sub_co_i32 s30, s5, s55
	s_cmp_ge_u32 s5, s55
	s_cselect_b32 s6, s6, s41
	s_wait_alu 0xfffe
	s_cselect_b32 s5, s30, s5
	s_add_co_i32 s30, s6, 1
	s_wait_alu 0xfffe
	s_cmp_ge_u32 s5, s55
	s_cselect_b32 s5, s30, s6
	v_readlane_b32 s6, v255, 15
	s_wait_alu 0xfffe
	s_xor_b32 s5, s5, s3
	s_and_not1_b32 vcc_lo, exec_lo, s6
	s_wait_alu 0xfffe
	s_sub_co_i32 s6, s5, s3
	s_cbranch_vccnz .LBB9_11
; %bb.10:                               ;   in Loop: Header=BB9_9 Depth=1
	v_readlane_b32 s3, v255, 0
	s_mul_i32 s3, s4, s3
	s_wait_alu 0xfffe
	s_add_co_i32 s40, s6, s3
	s_wait_alu 0xfffe
	s_ashr_i32 s41, s40, 31
	s_wait_alu 0xfffe
	s_lshl_b64 s[40:41], s[40:41], 2
	s_wait_alu 0xfffe
	s_add_nc_u64 s[40:41], s[18:19], s[40:41]
	global_load_b32 v0, v230, s[40:41]
	s_wait_loadcnt 0x0
	v_readfirstlane_b32 s3, v0
	s_ashr_i32 s5, s3, 31
	s_wait_alu 0xfffe
	s_lshr_b32 s5, s5, 26
	s_wait_alu 0xfffe
	s_add_co_i32 s3, s3, s5
	s_wait_alu 0xfffe
	s_ashr_i32 s3, s3, 6
	s_wait_alu 0xfffe
	s_min_i32 s49, s49, s3
.LBB9_11:                               ;   in Loop: Header=BB9_9 Depth=1
	s_abs_i32 s56, s4
	s_lshl_b32 s67, s1, 1
	s_mul_u64 s[44:45], s[56:57], s[64:65]
	s_mul_i32 s3, s0, s33
	s_wait_alu 0xfffe
	s_mul_i32 s1, s45, s104
	s_load_b64 s[44:45], s[60:61], 0x8c
	s_add_co_i32 s40, s67, s3
	s_mul_i32 s42, s4, s47
	s_wait_alu 0xfffe
	s_mul_i32 s50, s40, s46
	s_sub_co_i32 s1, s56, s1
	s_ashr_i32 s43, s42, 31
	s_wait_alu 0xfffe
	s_ashr_i32 s51, s50, 31
	s_ashr_i32 s5, s4, 31
	s_sub_co_i32 s3, s1, s104
	s_add_nc_u64 s[42:43], s[8:9], s[42:43]
	s_wait_alu 0xfffe
	s_mul_u64 s[84:85], s[28:29], s[4:5]
	s_add_nc_u64 s[90:91], s[42:43], s[50:51]
	s_add_nc_u64 s[42:43], s[10:11], s[84:85]
	s_mul_i32 s88, s0, s31
	v_or_b32_e32 v153, s67, v229
	s_wait_kmcnt 0x0
	s_mul_i32 s82, s0, s45
	s_load_b64 s[44:45], s[60:61], 0xc8
	s_ashr_i32 s83, s82, 31
	s_cmp_ge_u32 s1, s104
	s_wait_alu 0xfffe
	s_add_nc_u64 s[78:79], s[42:43], s[82:83]
	s_cselect_b32 s1, s3, s1
	s_wait_alu 0xfffe
	s_sub_co_i32 s3, s1, s104
	s_cmp_ge_u32 s1, s104
	s_wait_alu 0xfffe
	s_cselect_b32 s1, s3, s1
	s_mul_i32 s3, s24, s25
	s_wait_alu 0xfffe
	s_xor_b32 s1, s1, s5
	s_mul_i32 s3, s3, s4
	s_wait_alu 0xfffe
	s_sub_co_i32 s42, s1, s5
	s_add_co_i32 s1, s40, s3
	s_wait_alu 0xfffe
	s_ashr_i32 s43, s42, 31
	s_ashr_i32 s41, s40, 31
	v_readlane_b32 s3, v255, 14
	s_mul_i32 s56, s1, 40
	s_wait_alu 0xfffe
	s_lshl_b64 s[0:1], s[40:41], 2
	s_wait_kmcnt 0x0
	s_mul_u64 s[42:43], s[44:45], s[42:43]
	s_load_b64 s[44:45], s[60:61], 0xa8
	s_add_nc_u64 s[80:81], s[14:15], s[42:43]
	s_lshl_b64 s[42:43], s[56:57], 3
	s_ashr_i32 s89, s88, 31
	s_add_nc_u64 s[0:1], s[16:17], s[0:1]
	s_and_b32 s3, s3, exec_lo
	s_wait_alu 0xfffe
	s_add_nc_u64 s[72:73], s[20:21], s[42:43]
	s_cselect_b32 s75, 0, s1
	s_cselect_b32 s74, 0, s0
	s_cmp_lg_u32 s94, 0
	s_wait_kmcnt 0x0
	s_mul_u64 s[86:87], s[44:45], s[4:5]
	s_delay_alu instid0(SALU_CYCLE_1)
	s_add_nc_u64 s[4:5], s[12:13], s[86:87]
	s_wait_alu 0xfffe
	s_add_nc_u64 s[76:77], s[4:5], s[88:89]
	s_cbranch_scc0 .LBB9_98
; %bb.12:                               ;   in Loop: Header=BB9_9 Depth=1
	s_lshl_b32 s0, s6, 5
	v_cmp_le_i32_e64 s4, s33, v153
	s_wait_alu 0xfffe
	v_add_nc_u32_e32 v218, s0, v197
	v_cmp_gt_i32_e32 vcc_lo, s33, v153
	s_delay_alu instid0(VALU_DEP_2)
	v_cmp_le_i32_e64 s3, s24, v218
	s_or_b32 s1, s3, s4
	s_wait_alu 0xfffe
	s_and_saveexec_b32 s3, s1
	s_wait_alu 0xfffe
	s_xor_b32 s1, exec_lo, s3
; %bb.13:                               ;   in Loop: Header=BB9_9 Depth=1
	v_add_nc_u32_e32 v0, v219, v198
	ds_store_b32 v0, v230
; %bb.14:                               ;   in Loop: Header=BB9_9 Depth=1
	s_wait_alu 0xfffe
	s_and_not1_saveexec_b32 s1, s1
	s_cbranch_execz .LBB9_16
; %bb.15:                               ;   in Loop: Header=BB9_9 Depth=1
	v_mad_co_u64_u32 v[0:1], null, v218, s7, v[136:137]
	s_delay_alu instid0(VALU_DEP_1) | instskip(NEXT) | instid1(VALU_DEP_1)
	v_ashrrev_i32_e32 v1, 31, v0
	v_lshlrev_b64_e32 v[0:1], 3, v[0:1]
	s_delay_alu instid0(VALU_DEP_1) | instskip(SKIP_1) | instid1(VALU_DEP_2)
	v_add_co_u32 v0, s3, s90, v0
	s_wait_alu 0xf1ff
	v_add_co_ci_u32_e64 v1, null, s91, v1, s3
	global_load_b64 v[0:1], v[0:1], off
	s_wait_loadcnt 0x0
	v_cvt_f16_f32_e32 v0, v0
	v_cvt_f16_f32_e32 v1, v1
	s_delay_alu instid0(VALU_DEP_1) | instskip(SKIP_1) | instid1(VALU_DEP_2)
	v_pack_b32_f16 v0, v0, v1
	v_add_nc_u32_e32 v1, v219, v198
	v_pk_mul_f16 v0, v0, s100
	ds_store_b32 v1, v0
.LBB9_16:                               ;   in Loop: Header=BB9_9 Depth=1
	s_wait_alu 0xfffe
	s_or_b32 exec_lo, exec_lo, s1
	v_add_nc_u32_e32 v217, s0, v199
	s_xor_b32 s1, vcc_lo, -1
	s_delay_alu instid0(VALU_DEP_1)
	v_cmp_le_i32_e64 s3, s24, v217
	s_wait_alu 0xfffe
	s_or_b32 s3, s3, s1
	s_wait_alu 0xfffe
	s_and_saveexec_b32 s4, s3
	s_wait_alu 0xfffe
	s_xor_b32 s3, exec_lo, s4
; %bb.17:                               ;   in Loop: Header=BB9_9 Depth=1
	v_add_nc_u32_e32 v0, v219, v200
	ds_store_b32 v0, v230
; %bb.18:                               ;   in Loop: Header=BB9_9 Depth=1
	s_wait_alu 0xfffe
	s_and_not1_saveexec_b32 s3, s3
	s_cbranch_execz .LBB9_20
; %bb.19:                               ;   in Loop: Header=BB9_9 Depth=1
	v_mad_co_u64_u32 v[0:1], null, v217, s7, v[136:137]
	s_delay_alu instid0(VALU_DEP_1) | instskip(NEXT) | instid1(VALU_DEP_1)
	v_ashrrev_i32_e32 v1, 31, v0
	v_lshlrev_b64_e32 v[0:1], 3, v[0:1]
	s_delay_alu instid0(VALU_DEP_1) | instskip(SKIP_1) | instid1(VALU_DEP_2)
	v_add_co_u32 v0, vcc_lo, s90, v0
	s_wait_alu 0xfffd
	v_add_co_ci_u32_e64 v1, null, s91, v1, vcc_lo
	global_load_b64 v[0:1], v[0:1], off
	s_wait_loadcnt 0x0
	v_cvt_f16_f32_e32 v0, v0
	v_cvt_f16_f32_e32 v1, v1
	s_delay_alu instid0(VALU_DEP_1) | instskip(SKIP_1) | instid1(VALU_DEP_2)
	v_pack_b32_f16 v0, v0, v1
	v_add_nc_u32_e32 v1, v219, v200
	v_pk_mul_f16 v0, v0, s100
	ds_store_b32 v1, v0
.LBB9_20:                               ;   in Loop: Header=BB9_9 Depth=1
	s_wait_alu 0xfffe
	s_or_b32 exec_lo, exec_lo, s3
	v_add_nc_u32_e32 v216, s0, v201
	s_delay_alu instid0(VALU_DEP_1)
	v_cmp_le_i32_e32 vcc_lo, s24, v216
	s_or_b32 s3, vcc_lo, s1
	s_wait_alu 0xfffe
	s_and_saveexec_b32 s4, s3
	s_wait_alu 0xfffe
	s_xor_b32 s3, exec_lo, s4
; %bb.21:                               ;   in Loop: Header=BB9_9 Depth=1
	v_add_nc_u32_e32 v0, v219, v202
	ds_store_b32 v0, v230
; %bb.22:                               ;   in Loop: Header=BB9_9 Depth=1
	s_wait_alu 0xfffe
	s_and_not1_saveexec_b32 s3, s3
	s_cbranch_execz .LBB9_24
; %bb.23:                               ;   in Loop: Header=BB9_9 Depth=1
	v_mad_co_u64_u32 v[0:1], null, v216, s7, v[136:137]
	s_delay_alu instid0(VALU_DEP_1) | instskip(NEXT) | instid1(VALU_DEP_1)
	v_ashrrev_i32_e32 v1, 31, v0
	v_lshlrev_b64_e32 v[0:1], 3, v[0:1]
	s_delay_alu instid0(VALU_DEP_1) | instskip(SKIP_1) | instid1(VALU_DEP_2)
	v_add_co_u32 v0, vcc_lo, s90, v0
	s_wait_alu 0xfffd
	v_add_co_ci_u32_e64 v1, null, s91, v1, vcc_lo
	global_load_b64 v[0:1], v[0:1], off
	s_wait_loadcnt 0x0
	v_cvt_f16_f32_e32 v0, v0
	v_cvt_f16_f32_e32 v1, v1
	s_delay_alu instid0(VALU_DEP_1) | instskip(SKIP_1) | instid1(VALU_DEP_2)
	v_pack_b32_f16 v0, v0, v1
	v_add_nc_u32_e32 v1, v219, v202
	v_pk_mul_f16 v0, v0, s100
	ds_store_b32 v1, v0
.LBB9_24:                               ;   in Loop: Header=BB9_9 Depth=1
	s_wait_alu 0xfffe
	s_or_b32 exec_lo, exec_lo, s3
	v_add_nc_u32_e32 v214, s0, v203
	s_delay_alu instid0(VALU_DEP_1)
	v_cmp_le_i32_e32 vcc_lo, s24, v214
	s_or_b32 s3, vcc_lo, s1
	;; [unrolled: 36-line block ×3, first 2 shown]
	s_wait_alu 0xfffe
	s_and_saveexec_b32 s4, s3
	s_wait_alu 0xfffe
	s_xor_b32 s3, exec_lo, s4
	s_cbranch_execz .LBB9_30
; %bb.29:                               ;   in Loop: Header=BB9_9 Depth=1
	scratch_load_b32 v0, off, off           ; 4-byte Folded Reload
	s_wait_loadcnt 0x0
	v_add_nc_u32_e32 v0, v219, v0
	ds_store_b32 v0, v230
.LBB9_30:                               ;   in Loop: Header=BB9_9 Depth=1
	s_wait_alu 0xfffe
	s_and_not1_saveexec_b32 s3, s3
	s_cbranch_execz .LBB9_32
; %bb.31:                               ;   in Loop: Header=BB9_9 Depth=1
	v_mad_co_u64_u32 v[0:1], null, v213, s7, v[136:137]
	s_delay_alu instid0(VALU_DEP_1) | instskip(NEXT) | instid1(VALU_DEP_1)
	v_ashrrev_i32_e32 v1, 31, v0
	v_lshlrev_b64_e32 v[0:1], 3, v[0:1]
	s_delay_alu instid0(VALU_DEP_1) | instskip(SKIP_1) | instid1(VALU_DEP_2)
	v_add_co_u32 v0, vcc_lo, s90, v0
	s_wait_alu 0xfffd
	v_add_co_ci_u32_e64 v1, null, s91, v1, vcc_lo
	global_load_b64 v[0:1], v[0:1], off
	s_wait_loadcnt 0x0
	v_cvt_f16_f32_e32 v0, v0
	v_cvt_f16_f32_e32 v1, v1
	s_delay_alu instid0(VALU_DEP_1)
	v_pack_b32_f16 v0, v0, v1
	scratch_load_b32 v1, off, off           ; 4-byte Folded Reload
	v_pk_mul_f16 v0, v0, s100
	s_wait_loadcnt 0x0
	v_add_nc_u32_e32 v1, v219, v1
	ds_store_b32 v1, v0
.LBB9_32:                               ;   in Loop: Header=BB9_9 Depth=1
	s_wait_alu 0xfffe
	s_or_b32 exec_lo, exec_lo, s3
	scratch_load_b32 v0, off, off offset:4  ; 4-byte Folded Reload
	s_wait_loadcnt 0x0
	v_add_nc_u32_e32 v158, s0, v0
	s_delay_alu instid0(VALU_DEP_1)
	v_cmp_le_i32_e32 vcc_lo, s24, v158
	s_or_b32 s3, vcc_lo, s1
	s_wait_alu 0xfffe
	s_and_saveexec_b32 s4, s3
	s_wait_alu 0xfffe
	s_xor_b32 s3, exec_lo, s4
	s_cbranch_execz .LBB9_34
; %bb.33:                               ;   in Loop: Header=BB9_9 Depth=1
	scratch_load_b32 v0, off, off offset:8  ; 4-byte Folded Reload
	s_wait_loadcnt 0x0
	v_add_nc_u32_e32 v0, v219, v0
	ds_store_b32 v0, v230
.LBB9_34:                               ;   in Loop: Header=BB9_9 Depth=1
	s_wait_alu 0xfffe
	s_and_not1_saveexec_b32 s3, s3
	s_cbranch_execz .LBB9_36
; %bb.35:                               ;   in Loop: Header=BB9_9 Depth=1
	v_mad_co_u64_u32 v[0:1], null, v158, s7, v[136:137]
	s_delay_alu instid0(VALU_DEP_1) | instskip(NEXT) | instid1(VALU_DEP_1)
	v_ashrrev_i32_e32 v1, 31, v0
	v_lshlrev_b64_e32 v[0:1], 3, v[0:1]
	s_delay_alu instid0(VALU_DEP_1) | instskip(SKIP_1) | instid1(VALU_DEP_2)
	v_add_co_u32 v0, vcc_lo, s90, v0
	s_wait_alu 0xfffd
	v_add_co_ci_u32_e64 v1, null, s91, v1, vcc_lo
	global_load_b64 v[0:1], v[0:1], off
	s_wait_loadcnt 0x0
	v_cvt_f16_f32_e32 v0, v0
	v_cvt_f16_f32_e32 v1, v1
	s_delay_alu instid0(VALU_DEP_1)
	v_pack_b32_f16 v0, v0, v1
	scratch_load_b32 v1, off, off offset:8  ; 4-byte Folded Reload
	v_pk_mul_f16 v0, v0, s100
	s_wait_loadcnt 0x0
	v_add_nc_u32_e32 v1, v219, v1
	ds_store_b32 v1, v0
.LBB9_36:                               ;   in Loop: Header=BB9_9 Depth=1
	s_wait_alu 0xfffe
	s_or_b32 exec_lo, exec_lo, s3
	scratch_load_b32 v0, off, off offset:12 ; 4-byte Folded Reload
	s_wait_loadcnt 0x0
	v_add_nc_u32_e32 v212, s0, v0
	s_delay_alu instid0(VALU_DEP_1)
	v_cmp_le_i32_e32 vcc_lo, s24, v212
	s_or_b32 s3, vcc_lo, s1
	s_wait_alu 0xfffe
	s_and_saveexec_b32 s4, s3
	s_wait_alu 0xfffe
	s_xor_b32 s3, exec_lo, s4
; %bb.37:                               ;   in Loop: Header=BB9_9 Depth=1
	v_add_nc_u32_e32 v0, v219, v251
	ds_store_b32 v0, v230
; %bb.38:                               ;   in Loop: Header=BB9_9 Depth=1
	s_wait_alu 0xfffe
	s_and_not1_saveexec_b32 s3, s3
	s_cbranch_execz .LBB9_40
; %bb.39:                               ;   in Loop: Header=BB9_9 Depth=1
	v_mad_co_u64_u32 v[0:1], null, v212, s7, v[136:137]
	s_delay_alu instid0(VALU_DEP_1) | instskip(NEXT) | instid1(VALU_DEP_1)
	v_ashrrev_i32_e32 v1, 31, v0
	v_lshlrev_b64_e32 v[0:1], 3, v[0:1]
	s_delay_alu instid0(VALU_DEP_1) | instskip(SKIP_1) | instid1(VALU_DEP_2)
	v_add_co_u32 v0, vcc_lo, s90, v0
	s_wait_alu 0xfffd
	v_add_co_ci_u32_e64 v1, null, s91, v1, vcc_lo
	global_load_b64 v[0:1], v[0:1], off
	s_wait_loadcnt 0x0
	v_cvt_f16_f32_e32 v0, v0
	v_cvt_f16_f32_e32 v1, v1
	s_delay_alu instid0(VALU_DEP_1) | instskip(SKIP_1) | instid1(VALU_DEP_2)
	v_pack_b32_f16 v0, v0, v1
	v_add_nc_u32_e32 v1, v219, v251
	v_pk_mul_f16 v0, v0, s100
	ds_store_b32 v1, v0
.LBB9_40:                               ;   in Loop: Header=BB9_9 Depth=1
	s_wait_alu 0xfffe
	s_or_b32 exec_lo, exec_lo, s3
	scratch_load_b32 v0, off, off offset:16 ; 4-byte Folded Reload
	s_wait_loadcnt 0x0
	v_add_nc_u32_e32 v157, s0, v0
	s_delay_alu instid0(VALU_DEP_1)
	v_cmp_le_i32_e32 vcc_lo, s24, v157
	s_or_b32 s3, vcc_lo, s1
	s_wait_alu 0xfffe
	s_and_saveexec_b32 s4, s3
	s_wait_alu 0xfffe
	s_xor_b32 s3, exec_lo, s4
; %bb.41:                               ;   in Loop: Header=BB9_9 Depth=1
	v_add_nc_u32_e32 v0, v219, v251
	ds_store_b32 v0, v230 offset:704
; %bb.42:                               ;   in Loop: Header=BB9_9 Depth=1
	s_wait_alu 0xfffe
	s_and_not1_saveexec_b32 s3, s3
	s_cbranch_execz .LBB9_44
; %bb.43:                               ;   in Loop: Header=BB9_9 Depth=1
	v_mad_co_u64_u32 v[0:1], null, v157, s7, v[136:137]
	s_delay_alu instid0(VALU_DEP_1) | instskip(NEXT) | instid1(VALU_DEP_1)
	v_ashrrev_i32_e32 v1, 31, v0
	v_lshlrev_b64_e32 v[0:1], 3, v[0:1]
	s_delay_alu instid0(VALU_DEP_1) | instskip(SKIP_1) | instid1(VALU_DEP_2)
	v_add_co_u32 v0, vcc_lo, s90, v0
	s_wait_alu 0xfffd
	v_add_co_ci_u32_e64 v1, null, s91, v1, vcc_lo
	global_load_b64 v[0:1], v[0:1], off
	s_wait_loadcnt 0x0
	v_cvt_f16_f32_e32 v0, v0
	v_cvt_f16_f32_e32 v1, v1
	s_delay_alu instid0(VALU_DEP_1) | instskip(SKIP_1) | instid1(VALU_DEP_2)
	v_pack_b32_f16 v0, v0, v1
	v_add_nc_u32_e32 v1, v219, v251
	v_pk_mul_f16 v0, v0, s100
	ds_store_b32 v1, v0 offset:704
.LBB9_44:                               ;   in Loop: Header=BB9_9 Depth=1
	s_wait_alu 0xfffe
	s_or_b32 exec_lo, exec_lo, s3
	scratch_load_b32 v0, off, off offset:28 ; 4-byte Folded Reload
	s_wait_loadcnt 0x0
	v_add_nc_u32_e32 v211, s0, v0
	s_delay_alu instid0(VALU_DEP_1)
	v_cmp_le_i32_e32 vcc_lo, s24, v211
	s_or_b32 s3, vcc_lo, s1
	s_wait_alu 0xfffe
	s_and_saveexec_b32 s4, s3
	s_wait_alu 0xfffe
	s_xor_b32 s3, exec_lo, s4
; %bb.45:                               ;   in Loop: Header=BB9_9 Depth=1
	v_add_nc_u32_e32 v0, v219, v251
	ds_store_b32 v0, v230 offset:1408
; %bb.46:                               ;   in Loop: Header=BB9_9 Depth=1
	s_wait_alu 0xfffe
	s_and_not1_saveexec_b32 s3, s3
	s_cbranch_execz .LBB9_48
; %bb.47:                               ;   in Loop: Header=BB9_9 Depth=1
	v_mad_co_u64_u32 v[0:1], null, v211, s7, v[136:137]
	s_delay_alu instid0(VALU_DEP_1) | instskip(NEXT) | instid1(VALU_DEP_1)
	v_ashrrev_i32_e32 v1, 31, v0
	v_lshlrev_b64_e32 v[0:1], 3, v[0:1]
	s_delay_alu instid0(VALU_DEP_1) | instskip(SKIP_1) | instid1(VALU_DEP_2)
	v_add_co_u32 v0, vcc_lo, s90, v0
	s_wait_alu 0xfffd
	v_add_co_ci_u32_e64 v1, null, s91, v1, vcc_lo
	global_load_b64 v[0:1], v[0:1], off
	s_wait_loadcnt 0x0
	v_cvt_f16_f32_e32 v0, v0
	v_cvt_f16_f32_e32 v1, v1
	s_delay_alu instid0(VALU_DEP_1) | instskip(SKIP_1) | instid1(VALU_DEP_2)
	v_pack_b32_f16 v0, v0, v1
	v_add_nc_u32_e32 v1, v219, v251
	v_pk_mul_f16 v0, v0, s100
	ds_store_b32 v1, v0 offset:1408
.LBB9_48:                               ;   in Loop: Header=BB9_9 Depth=1
	;; [unrolled: 38-line block ×9, first 2 shown]
	s_wait_alu 0xfffe
	s_or_b32 exec_lo, exec_lo, s1
	v_add_nc_u32_e32 v156, s0, v165
	v_or_b32_e32 v169, s67, v22
	s_delay_alu instid0(VALU_DEP_2) | instskip(NEXT) | instid1(VALU_DEP_2)
	v_cmp_le_i32_e64 s3, s24, v156
	v_cmp_le_i32_e64 s4, s33, v169
	v_cmp_gt_i32_e32 vcc_lo, s33, v169
	s_or_b32 s1, s3, s4
	s_wait_alu 0xfffe
	s_and_saveexec_b32 s3, s1
	s_wait_alu 0xfffe
	s_xor_b32 s1, exec_lo, s3
	s_cbranch_execz .LBB9_78
; %bb.77:                               ;   in Loop: Header=BB9_9 Depth=1
	scratch_load_b32 v0, off, off offset:68 ; 4-byte Folded Reload
	s_wait_loadcnt 0x0
	ds_store_b32 v0, v230 offset:128
.LBB9_78:                               ;   in Loop: Header=BB9_9 Depth=1
	s_wait_alu 0xfffe
	s_and_not1_saveexec_b32 s1, s1
	s_cbranch_execz .LBB9_80
; %bb.79:                               ;   in Loop: Header=BB9_9 Depth=1
	v_mad_co_u64_u32 v[0:1], null, v156, s7, v[23:24]
	s_delay_alu instid0(VALU_DEP_1) | instskip(NEXT) | instid1(VALU_DEP_1)
	v_ashrrev_i32_e32 v1, 31, v0
	v_lshlrev_b64_e32 v[0:1], 3, v[0:1]
	s_delay_alu instid0(VALU_DEP_1) | instskip(SKIP_1) | instid1(VALU_DEP_2)
	v_add_co_u32 v0, s3, s90, v0
	s_wait_alu 0xf1ff
	v_add_co_ci_u32_e64 v1, null, s91, v1, s3
	global_load_b64 v[0:1], v[0:1], off
	s_wait_loadcnt 0x0
	v_cvt_f16_f32_e32 v0, v0
	v_cvt_f16_f32_e32 v1, v1
	s_delay_alu instid0(VALU_DEP_1) | instskip(SKIP_1) | instid1(VALU_DEP_2)
	v_pack_b32_f16 v0, v0, v1
	v_add_nc_u32_e32 v1, v177, v160
	v_pk_mul_f16 v0, v0, s100
	ds_store_b32 v1, v0 offset:128
.LBB9_80:                               ;   in Loop: Header=BB9_9 Depth=1
	s_wait_alu 0xfffe
	s_or_b32 exec_lo, exec_lo, s1
	v_add_nc_u32_e32 v155, s0, v166
	s_xor_b32 s1, vcc_lo, -1
	s_delay_alu instid0(VALU_DEP_1)
	v_cmp_le_i32_e64 s3, s24, v155
	s_wait_alu 0xfffe
	s_or_b32 s3, s3, s1
	s_wait_alu 0xfffe
	s_and_saveexec_b32 s4, s3
	s_wait_alu 0xfffe
	s_xor_b32 s3, exec_lo, s4
	s_cbranch_execz .LBB9_82
; %bb.81:                               ;   in Loop: Header=BB9_9 Depth=1
	scratch_load_b32 v0, off, off offset:104 ; 4-byte Folded Reload
	s_wait_loadcnt 0x0
	ds_store_b32 v0, v230 offset:128
.LBB9_82:                               ;   in Loop: Header=BB9_9 Depth=1
	s_wait_alu 0xfffe
	s_and_not1_saveexec_b32 s3, s3
	s_cbranch_execz .LBB9_84
; %bb.83:                               ;   in Loop: Header=BB9_9 Depth=1
	v_mad_co_u64_u32 v[0:1], null, v155, s7, v[23:24]
	s_delay_alu instid0(VALU_DEP_1) | instskip(NEXT) | instid1(VALU_DEP_1)
	v_ashrrev_i32_e32 v1, 31, v0
	v_lshlrev_b64_e32 v[0:1], 3, v[0:1]
	s_delay_alu instid0(VALU_DEP_1) | instskip(SKIP_1) | instid1(VALU_DEP_2)
	v_add_co_u32 v0, vcc_lo, s90, v0
	s_wait_alu 0xfffd
	v_add_co_ci_u32_e64 v1, null, s91, v1, vcc_lo
	global_load_b64 v[0:1], v[0:1], off
	s_wait_loadcnt 0x0
	v_cvt_f16_f32_e32 v0, v0
	v_cvt_f16_f32_e32 v1, v1
	s_delay_alu instid0(VALU_DEP_1) | instskip(SKIP_1) | instid1(VALU_DEP_2)
	v_pack_b32_f16 v0, v0, v1
	v_add_nc_u32_e32 v1, v177, v160
	v_pk_mul_f16 v0, v0, s100
	ds_store_b32 v1, v0 offset:2944
.LBB9_84:                               ;   in Loop: Header=BB9_9 Depth=1
	s_wait_alu 0xfffe
	s_or_b32 exec_lo, exec_lo, s3
	v_add_nc_u32_e32 v154, s0, v167
	s_delay_alu instid0(VALU_DEP_1)
	v_cmp_le_i32_e32 vcc_lo, s24, v154
	s_or_b32 s3, vcc_lo, s1
	s_wait_alu 0xfffe
	s_and_saveexec_b32 s4, s3
	s_wait_alu 0xfffe
	s_xor_b32 s3, exec_lo, s4
	s_cbranch_execz .LBB9_86
; %bb.85:                               ;   in Loop: Header=BB9_9 Depth=1
	scratch_load_b32 v0, off, off offset:112 ; 4-byte Folded Reload
	s_wait_loadcnt 0x0
	ds_store_b32 v0, v230 offset:128
.LBB9_86:                               ;   in Loop: Header=BB9_9 Depth=1
	s_wait_alu 0xfffe
	s_and_not1_saveexec_b32 s3, s3
	s_cbranch_execz .LBB9_88
; %bb.87:                               ;   in Loop: Header=BB9_9 Depth=1
	v_mad_co_u64_u32 v[0:1], null, v154, s7, v[23:24]
	s_delay_alu instid0(VALU_DEP_1) | instskip(NEXT) | instid1(VALU_DEP_1)
	v_ashrrev_i32_e32 v1, 31, v0
	v_lshlrev_b64_e32 v[0:1], 3, v[0:1]
	s_delay_alu instid0(VALU_DEP_1) | instskip(SKIP_1) | instid1(VALU_DEP_2)
	v_add_co_u32 v0, vcc_lo, s90, v0
	s_wait_alu 0xfffd
	v_add_co_ci_u32_e64 v1, null, s91, v1, vcc_lo
	global_load_b64 v[0:1], v[0:1], off
	s_wait_loadcnt 0x0
	v_cvt_f16_f32_e32 v0, v0
	v_cvt_f16_f32_e32 v1, v1
	s_delay_alu instid0(VALU_DEP_1) | instskip(SKIP_1) | instid1(VALU_DEP_2)
	v_pack_b32_f16 v0, v0, v1
	v_add_nc_u32_e32 v1, v177, v160
	v_pk_mul_f16 v0, v0, s100
	ds_store_b32 v1, v0 offset:5760
.LBB9_88:                               ;   in Loop: Header=BB9_9 Depth=1
	s_wait_alu 0xfffe
	s_or_b32 exec_lo, exec_lo, s3
	v_add_nc_u32_e32 v215, s0, v180
	s_delay_alu instid0(VALU_DEP_1)
	v_cmp_le_i32_e32 vcc_lo, s24, v215
	s_or_b32 s1, vcc_lo, s1
	s_wait_alu 0xfffe
	s_and_saveexec_b32 s3, s1
	s_wait_alu 0xfffe
	s_xor_b32 s1, exec_lo, s3
	s_cbranch_execz .LBB9_90
; %bb.89:                               ;   in Loop: Header=BB9_9 Depth=1
	scratch_load_b32 v0, off, off offset:120 ; 4-byte Folded Reload
	s_wait_loadcnt 0x0
	ds_store_b32 v0, v230 offset:128
.LBB9_90:                               ;   in Loop: Header=BB9_9 Depth=1
	s_wait_alu 0xfffe
	s_and_not1_saveexec_b32 s1, s1
	s_cbranch_execz .LBB9_92
; %bb.91:                               ;   in Loop: Header=BB9_9 Depth=1
	v_mad_co_u64_u32 v[0:1], null, v215, s7, v[23:24]
	s_delay_alu instid0(VALU_DEP_1) | instskip(NEXT) | instid1(VALU_DEP_1)
	v_ashrrev_i32_e32 v1, 31, v0
	v_lshlrev_b64_e32 v[0:1], 3, v[0:1]
	s_delay_alu instid0(VALU_DEP_1) | instskip(SKIP_1) | instid1(VALU_DEP_2)
	v_add_co_u32 v0, vcc_lo, s90, v0
	s_wait_alu 0xfffd
	v_add_co_ci_u32_e64 v1, null, s91, v1, vcc_lo
	global_load_b64 v[0:1], v[0:1], off
	s_wait_loadcnt 0x0
	v_cvt_f16_f32_e32 v0, v0
	v_cvt_f16_f32_e32 v1, v1
	s_delay_alu instid0(VALU_DEP_1) | instskip(SKIP_1) | instid1(VALU_DEP_2)
	v_pack_b32_f16 v0, v0, v1
	v_add_nc_u32_e32 v1, v177, v160
	v_pk_mul_f16 v0, v0, s100
	ds_store_b32 v1, v0 offset:8576
.LBB9_92:                               ;   in Loop: Header=BB9_9 Depth=1
	s_wait_alu 0xfffe
	s_or_b32 exec_lo, exec_lo, s1
	s_wait_storecnt_dscnt 0x0
	s_barrier_signal -1
	s_barrier_wait -1
	global_inv scope:SCOPE_SE
	ds_load_b128 v[36:39], v178
	ds_load_b128 v[32:35], v178 offset:32
	ds_load_b128 v[28:31], v178 offset:64
	;; [unrolled: 1-line block ×4, first 2 shown]
	v_add_nc_u32_e32 v9, s0, v248
	v_add_nc_u32_e32 v8, s0, v224
	;; [unrolled: 1-line block ×8, first 2 shown]
	v_mul_hi_u32 v15, s36, v9
	v_mul_hi_u32 v14, s36, v8
	;; [unrolled: 1-line block ×8, first 2 shown]
	s_add_co_i32 s0, s49, -1
	s_mov_b32 s1, -1
	s_wait_alu 0xfffe
	s_cmp_lt_i32 s94, s0
	s_wait_loadcnt_dscnt 0x0
	s_barrier_signal -1
	s_barrier_wait -1
	global_inv scope:SCOPE_SE
                                        ; implicit-def: $vgpr139_vgpr140
                                        ; implicit-def: $vgpr137_vgpr138
                                        ; implicit-def: $vgpr141_vgpr142
                                        ; implicit-def: $vgpr151_vgpr152
                                        ; implicit-def: $vgpr149_vgpr150
                                        ; implicit-def: $vgpr147_vgpr148
                                        ; implicit-def: $vgpr145_vgpr146
                                        ; implicit-def: $vgpr143_vgpr144
                                        ; implicit-def: $vgpr112
                                        ; implicit-def: $vgpr113
	s_cbranch_scc1 .LBB9_94
; %bb.93:                               ;   in Loop: Header=BB9_9 Depth=1
	v_dual_mov_b32 v113, 32 :: v_dual_add_nc_u32 v16, v9, v15
	v_add_nc_u32_e32 v17, v8, v14
	v_add_nc_u32_e32 v18, v5, v13
	;; [unrolled: 1-line block ×3, first 2 shown]
	s_delay_alu instid0(VALU_DEP_4)
	v_lshrrev_b32_e32 v16, s37, v16
	v_add_nc_u32_e32 v40, v4, v12
	v_lshrrev_b32_e32 v17, s37, v17
	v_lshrrev_b32_e32 v18, s37, v18
	v_add_nc_u32_e32 v41, v0, v10
	v_mul_lo_u32 v16, v16, s24
	v_lshrrev_b32_e32 v19, s37, v19
	v_mul_lo_u32 v17, v17, s24
	v_mul_lo_u32 v18, v18, s24
	v_add_nc_u32_e32 v42, v1, v7
	v_add_nc_u32_e32 v43, v2, v6
	v_lshrrev_b32_e32 v40, s37, v40
	v_lshrrev_b32_e32 v41, s37, v41
	v_sub_nc_u32_e32 v16, v9, v16
	v_mul_lo_u32 v19, v19, s24
	v_sub_nc_u32_e32 v17, v8, v17
	v_xor_b32_e32 v112, 16, v225
	s_mov_b32 s1, 0
	v_mad_co_i64_i32 v[139:140], null, v16, s38, 0
	s_delay_alu instid0(VALU_DEP_3)
	v_mad_co_i64_i32 v[137:138], null, v17, s38, 0
	v_sub_nc_u32_e32 v16, v5, v18
	v_mul_lo_u32 v17, v40, s24
	v_mul_lo_u32 v18, v41, s24
	v_lshrrev_b32_e32 v40, s37, v42
	v_lshrrev_b32_e32 v41, s37, v43
	v_mad_co_i64_i32 v[141:142], null, v16, s38, 0
	v_sub_nc_u32_e32 v16, v3, v19
	s_delay_alu instid0(VALU_DEP_4) | instskip(NEXT) | instid1(VALU_DEP_4)
	v_mul_lo_u32 v19, v40, s24
	v_mul_lo_u32 v40, v41, s24
	v_sub_nc_u32_e32 v17, v4, v17
	s_delay_alu instid0(VALU_DEP_4) | instskip(SKIP_1) | instid1(VALU_DEP_3)
	v_mad_co_i64_i32 v[151:152], null, v16, s38, 0
	v_sub_nc_u32_e32 v16, v0, v18
	v_mad_co_i64_i32 v[149:150], null, v17, s38, 0
	v_sub_nc_u32_e32 v17, v1, v19
	v_sub_nc_u32_e32 v18, v2, v40
	s_delay_alu instid0(VALU_DEP_4) | instskip(NEXT) | instid1(VALU_DEP_3)
	v_mad_co_i64_i32 v[147:148], null, v16, s38, 0
	v_mad_co_i64_i32 v[145:146], null, v17, s38, 0
	s_delay_alu instid0(VALU_DEP_3)
	v_mad_co_i64_i32 v[143:144], null, v18, s38, 0
.LBB9_94:                               ;   in Loop: Header=BB9_9 Depth=1
	s_wait_alu 0xfffe
	s_and_not1_b32 vcc_lo, exec_lo, s1
	s_wait_alu 0xfffe
	s_cbranch_vccnz .LBB9_99
; %bb.95:                               ;   in Loop: Header=BB9_9 Depth=1
	v_xor_b32_e32 v112, 16, v225
	v_dual_mov_b32 v113, 32 :: v_dual_add_nc_u32 v12, v4, v12
	v_add_nc_u32_e32 v15, v9, v15
	s_lshl_b32 s92, s94, 6
	s_delay_alu instid0(VALU_DEP_3) | instskip(SKIP_3) | instid1(VALU_DEP_3)
	v_cmp_gt_i32_e32 vcc_lo, 32, v112
	v_add_nc_u32_e32 v14, v8, v14
	v_lshrrev_b32_e32 v12, s37, v12
	v_dual_mov_b32 v209, 0xfeffffff :: v_dual_mov_b32 v226, 0
	v_lshrrev_b32_e32 v14, s37, v14
	s_delay_alu instid0(VALU_DEP_1) | instskip(NEXT) | instid1(VALU_DEP_1)
	v_mul_lo_u32 v14, v14, s24
	v_sub_nc_u32_e32 v8, v8, v14
	s_delay_alu instid0(VALU_DEP_1) | instskip(SKIP_2) | instid1(VALU_DEP_2)
	v_mad_co_i64_i32 v[137:138], null, v8, s38, 0
	v_add_nc_u32_e32 v8, v0, v10
	v_mul_lo_u32 v10, v12, s24
	v_lshrrev_b32_e32 v8, s37, v8
	s_delay_alu instid0(VALU_DEP_2) | instskip(SKIP_4) | instid1(VALU_DEP_4)
	v_sub_nc_u32_e32 v41, v4, v10
	v_dual_mov_b32 v4, 0 :: v_dual_add_nc_u32 v7, v1, v7
	v_add_nc_u32_e32 v6, v2, v6
	v_add_nc_u32_e32 v13, v5, v13
	v_lshrrev_b32_e32 v15, s37, v15
	v_mov_b32_e32 v18, v4
	v_lshrrev_b32_e32 v7, s37, v7
	v_add_nc_u32_e32 v11, v3, v11
	v_lshlrev_b32_e32 v16, 1, v196
	v_mul_lo_u32 v15, v15, s24
	v_mul_lo_u32 v8, v8, s24
	;; [unrolled: 1-line block ×3, first 2 shown]
	v_mad_co_i64_i32 v[149:150], null, v41, s38, 0
	v_dual_mov_b32 v17, v4 :: v_dual_mov_b32 v14, v4
	v_mov_b32_e32 v19, v4
	v_sub_nc_u32_e32 v9, v9, v15
	v_sub_nc_u32_e32 v42, v0, v8
	;; [unrolled: 1-line block ×3, first 2 shown]
	v_mov_b32_e32 v7, v4
	v_lshrrev_b32_e32 v6, s37, v6
	v_mad_co_i64_i32 v[139:140], null, v9, s38, 0
	v_mad_co_i64_i32 v[147:148], null, v42, s38, 0
	s_delay_alu instid0(VALU_DEP_3)
	v_mul_lo_u32 v6, v6, s24
	v_mad_co_i64_i32 v[145:146], null, v43, s38, 0
	v_dual_mov_b32 v15, v4 :: v_dual_mov_b32 v0, v4
	v_mov_b32_e32 v8, v4
	v_dual_mov_b32 v10, v4 :: v_dual_mov_b32 v1, v4
	v_sub_nc_u32_e32 v44, v2, v6
	v_mov_b32_e32 v6, v4
	v_lshrrev_b32_e32 v13, s37, v13
	v_mov_b32_e32 v2, v4
	v_mov_b32_e32 v12, v4
	v_mad_co_i64_i32 v[143:144], null, v44, s38, 0
	s_delay_alu instid0(VALU_DEP_4) | instskip(NEXT) | instid1(VALU_DEP_1)
	v_mul_lo_u32 v13, v13, s24
	v_sub_nc_u32_e32 v5, v5, v13
	v_mov_b32_e32 v13, v4
	s_delay_alu instid0(VALU_DEP_2)
	v_mad_co_i64_i32 v[141:142], null, v5, s38, 0
	v_mov_b32_e32 v5, v4
	v_add_co_u32 v181, s1, s80, v16
	v_mov_b32_e32 v16, v4
	v_lshrrev_b32_e32 v11, s37, v11
	s_wait_alu 0xf1ff
	v_add_co_ci_u32_e64 v228, null, s81, 0, s1
	s_delay_alu instid0(VALU_DEP_2) | instskip(SKIP_1) | instid1(VALU_DEP_2)
	v_mul_lo_u32 v9, v11, s24
	v_mov_b32_e32 v11, v4
	v_sub_nc_u32_e32 v40, v3, v9
	s_wait_alu 0xfffd
	v_cndmask_b32_e32 v3, v225, v112, vcc_lo
	v_mov_b32_e32 v9, v4
	s_delay_alu instid0(VALU_DEP_3) | instskip(NEXT) | instid1(VALU_DEP_3)
	v_mad_co_i64_i32 v[151:152], null, v40, s38, 0
	v_lshlrev_b32_e32 v223, 2, v3
	v_mov_b32_e32 v3, v4
.LBB9_96:                               ;   Parent Loop BB9_9 Depth=1
                                        ; =>  This Inner Loop Header: Depth=2
	s_ashr_i32 s93, s92, 31
	v_lshlrev_b64_e32 v[40:41], 1, v[139:140]
	s_lshl_b64 s[4:5], s[92:93], 1
	v_lshlrev_b64_e32 v[42:43], 1, v[137:138]
	s_wait_alu 0xfffe
	v_add_co_u32 v56, vcc_lo, v181, s4
	s_wait_alu 0xfffd
	v_add_co_ci_u32_e64 v57, null, s5, v228, vcc_lo
	v_lshlrev_b64_e32 v[44:45], 1, v[141:142]
	s_delay_alu instid0(VALU_DEP_3)
	v_add_co_u32 v40, vcc_lo, v56, v40
	v_lshlrev_b64_e32 v[46:47], 1, v[151:152]
	s_wait_alu 0xfffd
	v_add_co_ci_u32_e64 v41, null, v57, v41, vcc_lo
	v_add_co_u32 v42, vcc_lo, v56, v42
	v_lshlrev_b64_e32 v[48:49], 1, v[149:150]
	s_wait_alu 0xfffd
	v_add_co_ci_u32_e64 v43, null, v57, v43, vcc_lo
	;; [unrolled: 4-line block ×5, first 2 shown]
	v_add_co_u32 v50, vcc_lo, v56, v50
	s_wait_alu 0xfffd
	v_add_co_ci_u32_e64 v51, null, v57, v51, vcc_lo
	v_add_co_u32 v52, vcc_lo, v56, v52
	s_wait_alu 0xfffd
	v_add_co_ci_u32_e64 v53, null, v57, v53, vcc_lo
	;; [unrolled: 3-line block ×3, first 2 shown]
	s_clause 0x7
	global_load_b32 v40, v[40:41], off
	global_load_b32 v41, v[42:43], off
	;; [unrolled: 1-line block ×8, first 2 shown]
	v_add_nc_u32_e32 v48, v219, v231
	s_mul_u64 s[4:5], s[92:93], s[26:27]
	s_add_co_i32 s94, s94, 1
	s_wait_alu 0xfffe
	s_lshl_b64 s[4:5], s[4:5], 2
	v_add_nc_u32_e32 v49, 0x2c00, v48
	s_wait_alu 0xfffe
	s_add_nc_u64 s[4:5], s[78:79], s[4:5]
	s_wait_loadcnt 0x6
	ds_store_2addr_b32 v49, v40, v41 offset1:144
	v_add_nc_u32_e32 v40, 0x3000, v48
	s_wait_loadcnt 0x4
	ds_store_2addr_b32 v40, v42, v43 offset0:32 offset1:176
	v_add_nc_u32_e32 v40, 0x3400, v48
	s_wait_loadcnt 0x2
	ds_store_2addr_b32 v40, v44, v45 offset0:64 offset1:208
	;; [unrolled: 3-line block ×3, first 2 shown]
	s_wait_alu 0xfffe
	v_add_co_u32 v40, vcc_lo, s4, v116
	s_wait_alu 0xfffd
	v_add_co_ci_u32_e64 v41, null, s5, v117, vcc_lo
	s_delay_alu instid0(VALU_DEP_2) | instskip(SKIP_1) | instid1(VALU_DEP_2)
	v_add_co_u32 v40, vcc_lo, v40, v220
	s_wait_alu 0xfffd
	v_add_co_ci_u32_e64 v41, null, 0, v41, vcc_lo
	v_add_co_u32 v42, vcc_lo, s4, v126
	s_wait_alu 0xfffd
	v_add_co_ci_u32_e64 v43, null, s5, v127, vcc_lo
	s_delay_alu instid0(VALU_DEP_2) | instskip(SKIP_1) | instid1(VALU_DEP_2)
	v_add_co_u32 v44, vcc_lo, v42, v221
	s_wait_alu 0xfffd
	v_add_co_ci_u32_e64 v45, null, 0, v43, vcc_lo
	s_clause 0x1
	global_load_b128 v[40:43], v[40:41], off offset:128
	global_load_b128 v[44:47], v[44:45], off
	s_wait_loadcnt 0x1
	ds_store_b128 v183, v[40:43]
	v_add_co_u32 v40, vcc_lo, s4, v128
	s_wait_alu 0xfffd
	v_add_co_ci_u32_e64 v41, null, s5, v129, vcc_lo
	s_delay_alu instid0(VALU_DEP_2) | instskip(SKIP_1) | instid1(VALU_DEP_2)
	v_add_co_u32 v40, vcc_lo, v40, v221
	s_wait_alu 0xfffd
	v_add_co_ci_u32_e64 v41, null, 0, v41, vcc_lo
	v_add_co_u32 v42, vcc_lo, s4, v130
	s_wait_alu 0xfffd
	v_add_co_ci_u32_e64 v43, null, s5, v131, vcc_lo
	s_delay_alu instid0(VALU_DEP_2) | instskip(SKIP_1) | instid1(VALU_DEP_2)
	v_add_co_u32 v48, vcc_lo, v42, v221
	s_wait_alu 0xfffd
	v_add_co_ci_u32_e64 v49, null, 0, v43, vcc_lo
	s_clause 0x1
	global_load_b128 v[40:43], v[40:41], off
	global_load_b128 v[48:51], v[48:49], off
	s_wait_loadcnt 0x2
	ds_store_b128 v184, v[44:47]
	s_wait_loadcnt 0x1
	ds_store_b128 v185, v[40:43]
	v_add_co_u32 v40, vcc_lo, s4, v132
	s_wait_alu 0xfffd
	v_add_co_ci_u32_e64 v41, null, s5, v133, vcc_lo
	s_mul_u64 s[4:5], s[92:93], s[34:35]
	v_add_co_u32 v40, vcc_lo, v40, v221
	s_wait_alu 0xfffd
	v_add_co_ci_u32_e64 v41, null, 0, v41, vcc_lo
	s_wait_alu 0xfffe
	s_lshl_b64 s[4:5], s[4:5], 2
	s_add_co_i32 s92, s92, 64
	s_wait_alu 0xfffe
	s_add_nc_u64 s[4:5], s[76:77], s[4:5]
	global_load_b128 v[40:43], v[40:41], off
	s_cmp_lt_i32 s94, s0
	s_wait_loadcnt 0x1
	ds_store_b128 v186, v[48:51]
	s_wait_loadcnt 0x0
	ds_store_b128 v189, v[40:43]
	s_wait_dscnt 0x0
	s_barrier_signal -1
	s_barrier_wait -1
	global_inv scope:SCOPE_SE
	ds_load_b128 v[51:54], v190
	ds_load_b128 v[55:58], v190 offset:32
	v_add_nc_u32_e32 v42, 0x2c00, v232
	s_wait_dscnt 0x1
	v_wmma_f32_16x16x16_f16 v[43:50], v[51:54], v[36:39], 0
	s_wait_dscnt 0x0
	s_delay_alu instid0(VALU_DEP_1)
	v_wmma_f32_16x16x16_f16 v[43:50], v[55:58], v[32:35], v[43:50]
	ds_load_b128 v[51:54], v190 offset:64
	ds_load_b128 v[55:58], v190 offset:96
	s_wait_dscnt 0x1
	v_wmma_f32_16x16x16_f16 v[43:50], v[51:54], v[28:31], v[43:50]
	ds_load_b128 v[51:54], v190 offset:128
	ds_load_b128 v[65:68], v190 offset:2816
	s_wait_dscnt 0x2
	v_wmma_f32_16x16x16_f16 v[43:50], v[55:58], v[24:27], v[43:50]
	s_wait_dscnt 0x1
	s_delay_alu instid0(VALU_DEP_1)
	v_wmma_f32_16x16x16_f16 v[43:50], v[51:54], v[20:23], v[43:50]
	v_add_nc_u32_e32 v40, 0x2c00, v191
	ds_load_b128 v[51:54], v190 offset:2848
	ds_load_b128 v[69:72], v190 offset:2880
	;; [unrolled: 1-line block ×14, first 2 shown]
	s_wait_loadcnt_dscnt 0x0
	s_barrier_signal -1
	s_barrier_wait -1
	global_inv scope:SCOPE_SE
	ds_load_2addr_b32 v[40:41], v40 offset1:1
	ds_load_2addr_b32 v[55:56], v42 offset1:1
	ds_load_b32 v42, v192 offset:11264
	ds_load_b32 v59, v191 offset:11272
	s_wait_dscnt 0x3
	v_cvt_f32_f16_e32 v57, v40
	v_lshrrev_b32_e32 v40, 16, v40
	v_cvt_f32_f16_e32 v58, v41
	v_lshrrev_b32_e32 v41, 16, v41
	s_wait_dscnt 0x0
	v_cvt_f32_f16_e32 v60, v59
	v_lshrrev_b32_e32 v59, 16, v59
	v_lshrrev_b32_e32 v61, 16, v42
	v_cvt_f32_f16_e32 v42, v42
	v_cvt_f32_f16_e32 v62, v40
	v_cvt_f32_f16_e32 v63, v41
	v_cvt_f32_f16_e32 v59, v59
	v_cvt_f32_f16_e32 v61, v61
	v_add_f32_e32 v40, v43, v57
	v_add_f32_e32 v44, v44, v62
	v_add_f32_e32 v41, v45, v58
	v_add_f32_e32 v45, v46, v63
	v_dual_add_f32 v47, v47, v60 :: v_dual_add_f32 v46, v48, v59
	v_dual_add_f32 v43, v49, v42 :: v_dual_add_f32 v42, v50, v61
	v_wmma_f32_16x16x16_f16 v[57:64], v[65:68], v[36:39], 0
	v_cvt_f32_f16_e32 v50, v55
	v_add_nc_u32_e32 v65, 0x2c00, v236
	s_delay_alu instid0(VALU_DEP_3) | instskip(SKIP_3) | instid1(VALU_DEP_4)
	v_wmma_f32_16x16x16_f16 v[57:64], v[51:54], v[32:35], v[57:64]
	v_lshrrev_b32_e32 v51, 16, v55
	v_cvt_f32_f16_e32 v54, v56
	v_lshrrev_b32_e32 v55, 16, v56
	v_wmma_f32_16x16x16_f16 v[57:64], v[69:72], v[28:31], v[57:64]
	s_delay_alu instid0(VALU_DEP_4) | instskip(NEXT) | instid1(VALU_DEP_3)
	v_cvt_f32_f16_e32 v66, v51
	v_cvt_f32_f16_e32 v67, v55
	s_delay_alu instid0(VALU_DEP_3) | instskip(NEXT) | instid1(VALU_DEP_1)
	v_wmma_f32_16x16x16_f16 v[57:64], v[73:76], v[24:27], v[57:64]
	v_wmma_f32_16x16x16_f16 v[57:64], v[77:80], v[20:23], v[57:64]
	v_add_nc_u32_e32 v48, 0x2c00, v233
	v_add_nc_u32_e32 v52, 0x2c00, v234
	;; [unrolled: 1-line block ×3, first 2 shown]
	ds_load_2addr_b32 v[48:49], v48 offset1:1
	ds_load_2addr_b32 v[52:53], v52 offset1:1
	;; [unrolled: 1-line block ×4, first 2 shown]
	v_wmma_f32_16x16x16_f16 v[78:85], v[86:89], v[36:39], 0
	v_add_f32_e32 v55, v58, v66
	v_add_f32_e32 v51, v57, v50
	;; [unrolled: 1-line block ×3, first 2 shown]
	s_delay_alu instid0(VALU_DEP_4) | instskip(NEXT) | instid1(VALU_DEP_1)
	v_wmma_f32_16x16x16_f16 v[78:85], v[90:93], v[32:35], v[78:85]
	v_wmma_f32_16x16x16_f16 v[78:85], v[94:97], v[28:31], v[78:85]
	s_delay_alu instid0(VALU_DEP_1)
	v_wmma_f32_16x16x16_f16 v[78:85], v[98:101], v[24:27], v[78:85]
	s_wait_dscnt 0x3
	v_cvt_f32_f16_e32 v56, v48
	v_lshrrev_b32_e32 v48, 16, v48
	v_lshrrev_b32_e32 v65, 16, v49
	v_cvt_f32_f16_e32 v49, v49
	v_wmma_f32_16x16x16_f16 v[78:85], v[102:105], v[20:23], v[78:85]
	s_wait_dscnt 0x1
	v_cvt_f32_f16_e32 v58, v69
	v_cvt_f32_f16_e32 v48, v48
	;; [unrolled: 1-line block ×3, first 2 shown]
	v_add_f32_e32 v72, v63, v49
	v_lshrrev_b32_e32 v49, 16, v52
	v_cvt_f32_f16_e32 v74, v65
	v_add_f32_e32 v73, v62, v48
	v_cvt_f32_f16_e32 v48, v52
	v_lshrrev_b32_e32 v52, 16, v53
	v_lshrrev_b32_e32 v53, 16, v68
	v_cvt_f32_f16_e32 v49, v49
	v_add_f32_e32 v65, v60, v67
	v_add_f32_e32 v77, v61, v56
	v_cvt_f32_f16_e32 v57, v52
	v_add_f32_e32 v52, v78, v48
	v_add_nc_u32_e32 v48, 0x2c00, v237
	v_cvt_f32_f16_e32 v60, v53
	v_add_f32_e32 v53, v79, v49
	v_lshrrev_b32_e32 v56, 16, v69
	v_cvt_f32_f16_e32 v54, v68
	ds_load_2addr_b32 v[48:49], v48 offset1:1
	v_add_f32_e32 v67, v64, v74
	v_add_f32_e32 v57, v81, v57
	v_cvt_f32_f16_e32 v62, v56
	v_add_f32_e32 v56, v80, v50
	v_dual_add_f32 v64, v82, v54 :: v_dual_add_f32 v63, v83, v60
	v_add_f32_e32 v61, v84, v58
	s_wait_dscnt 0x1
	v_lshrrev_b32_e32 v54, 16, v70
	v_cvt_f32_f16_e32 v50, v70
	v_cvt_f32_f16_e32 v58, v71
	s_delay_alu instid0(VALU_DEP_3)
	v_cvt_f32_f16_e32 v54, v54
	s_wait_dscnt 0x0
	v_lshrrev_b32_e32 v68, 16, v49
	v_cvt_f32_f16_e32 v49, v49
	v_add_f32_e32 v60, v85, v62
	v_wmma_f32_16x16x16_f16 v[78:85], v[106:109], v[36:39], 0
	v_cvt_f32_f16_e32 v66, v48
	v_lshrrev_b32_e32 v48, 16, v48
	v_cvt_f32_f16_e32 v69, v68
	s_delay_alu instid0(VALU_DEP_4) | instskip(SKIP_1) | instid1(VALU_DEP_4)
	v_wmma_f32_16x16x16_f16 v[78:85], v[159:162], v[32:35], v[78:85]
	v_lshrrev_b32_e32 v62, 16, v71
	v_cvt_f32_f16_e32 v48, v48
	s_delay_alu instid0(VALU_DEP_3) | instskip(NEXT) | instid1(VALU_DEP_3)
	v_wmma_f32_16x16x16_f16 v[78:85], v[163:166], v[28:31], v[78:85]
	v_cvt_f32_f16_e32 v62, v62
	s_delay_alu instid0(VALU_DEP_2) | instskip(NEXT) | instid1(VALU_DEP_1)
	v_wmma_f32_16x16x16_f16 v[78:85], v[196:199], v[24:27], v[78:85]
	v_wmma_f32_16x16x16_f16 v[78:85], v[200:203], v[20:23], v[78:85]
	s_delay_alu instid0(VALU_DEP_1) | instskip(SKIP_2) | instid1(VALU_DEP_3)
	v_dual_add_f32 v165, v82, v66 :: v_dual_add_f32 v164, v83, v48
	s_wait_alu 0xfffe
	v_add_co_u32 v48, vcc_lo, s4, v114
	v_add_f32_e32 v163, v84, v49
	s_wait_alu 0xfffd
	v_add_co_ci_u32_e64 v49, null, s5, v115, vcc_lo
	s_delay_alu instid0(VALU_DEP_3) | instskip(SKIP_2) | instid1(VALU_DEP_3)
	v_add_co_u32 v48, vcc_lo, v48, v220
	v_add_f32_e32 v68, v78, v50
	s_wait_alu 0xfffd
	v_add_co_ci_u32_e64 v49, null, 0, v49, vcc_lo
	v_add_co_u32 v50, vcc_lo, s4, v118
	v_add_f32_e32 v108, v79, v54
	s_wait_alu 0xfffd
	v_add_co_ci_u32_e64 v54, null, s5, v119, vcc_lo
	v_add_f32_e32 v162, v85, v69
	v_add_co_u32 v69, vcc_lo, v50, v221
	s_wait_alu 0xfffd
	s_delay_alu instid0(VALU_DEP_3)
	v_add_co_ci_u32_e64 v70, null, 0, v54, vcc_lo
	v_add_f32_e32 v160, v80, v58
	v_add_f32_e32 v161, v81, v62
	s_clause 0x1
	global_load_b128 v[78:81], v[48:49], off offset:128
	global_load_b128 v[82:85], v[69:70], off
	v_add_co_u32 v48, vcc_lo, s4, v120
	s_wait_alu 0xfffd
	v_add_co_ci_u32_e64 v49, null, s5, v121, vcc_lo
	s_delay_alu instid0(VALU_DEP_2) | instskip(SKIP_1) | instid1(VALU_DEP_2)
	v_add_co_u32 v48, vcc_lo, v48, v221
	s_wait_alu 0xfffd
	v_add_co_ci_u32_e64 v49, null, 0, v49, vcc_lo
	v_add_co_u32 v50, vcc_lo, s4, v122
	s_wait_alu 0xfffd
	v_add_co_ci_u32_e64 v54, null, s5, v123, vcc_lo
	s_delay_alu instid0(VALU_DEP_2) | instskip(SKIP_1) | instid1(VALU_DEP_2)
	v_add_co_u32 v69, vcc_lo, v50, v221
	s_wait_alu 0xfffd
	v_add_co_ci_u32_e64 v70, null, 0, v54, vcc_lo
	v_add_f32_e32 v50, 0x40051340, v44
	v_add_f32_e32 v54, 0x40051340, v45
	s_wait_loadcnt 0x1
	ds_store_b128 v183, v[78:81]
	s_clause 0x1
	global_load_b128 v[78:81], v[48:49], off
	global_load_b128 v[86:89], v[69:70], off
	v_add_co_u32 v48, vcc_lo, s4, v124
	s_wait_alu 0xfffd
	v_add_co_ci_u32_e64 v49, null, s5, v125, vcc_lo
	s_wait_loadcnt 0x2
	ds_store_b128 v184, v[82:85]
	s_wait_loadcnt 0x1
	ds_store_b128 v185, v[78:81]
	v_add_co_u32 v48, vcc_lo, v48, v221
	s_wait_alu 0xfffd
	v_add_co_ci_u32_e64 v49, null, 0, v49, vcc_lo
	global_load_b128 v[78:81], v[48:49], off
	v_dual_mov_b32 v48, v209 :: v_dual_add_f32 v49, 0x40051340, v40
	s_wait_loadcnt 0x1
	ds_store_b128 v186, v[86:89]
	s_wait_loadcnt 0x0
	ds_store_b128 v189, v[78:81]
	v_max3_num_f32 v49, v48, v49, v50
	v_add_f32_e32 v50, 0x40051340, v41
	s_wait_dscnt 0x0
	s_barrier_signal -1
	s_barrier_wait -1
	global_inv scope:SCOPE_SE
	v_max3_num_f32 v49, v49, v50, v54
	v_add_f32_e32 v50, 0x40051340, v47
	v_add_f32_e32 v54, 0x40051340, v46
	s_delay_alu instid0(VALU_DEP_1) | instskip(SKIP_2) | instid1(VALU_DEP_1)
	v_max3_num_f32 v49, v49, v50, v54
	v_add_f32_e32 v50, 0x40051340, v43
	v_add_f32_e32 v54, 0x40051340, v42
	v_max3_num_f32 v49, v49, v50, v54
	v_add_f32_e32 v50, 0x40051340, v51
	v_add_f32_e32 v54, 0x40051340, v55
	s_delay_alu instid0(VALU_DEP_1) | instskip(SKIP_2) | instid1(VALU_DEP_1)
	v_max3_num_f32 v49, v49, v50, v54
	v_add_f32_e32 v50, 0x40051340, v59
	v_add_f32_e32 v54, 0x40051340, v65
	v_max3_num_f32 v49, v49, v50, v54
	v_add_f32_e32 v50, 0x40051340, v77
	v_add_f32_e32 v54, 0x40051340, v73
	s_delay_alu instid0(VALU_DEP_1) | instskip(SKIP_2) | instid1(VALU_DEP_1)
	v_max3_num_f32 v49, v49, v50, v54
	v_add_f32_e32 v50, 0x40051340, v72
	v_add_f32_e32 v54, 0x40051340, v67
	v_max3_num_f32 v49, v49, v50, v54
	v_add_f32_e32 v50, 0x40051340, v52
	v_add_f32_e32 v54, 0x40051340, v53
	s_delay_alu instid0(VALU_DEP_1) | instskip(SKIP_2) | instid1(VALU_DEP_1)
	v_max3_num_f32 v49, v49, v50, v54
	v_add_f32_e32 v50, 0x40051340, v56
	v_add_f32_e32 v54, 0x40051340, v57
	v_max3_num_f32 v49, v49, v50, v54
	v_add_f32_e32 v50, 0x40051340, v64
	v_add_f32_e32 v54, 0x40051340, v63
	s_delay_alu instid0(VALU_DEP_1) | instskip(SKIP_2) | instid1(VALU_DEP_1)
	v_max3_num_f32 v49, v49, v50, v54
	v_add_f32_e32 v50, 0x40051340, v61
	v_add_f32_e32 v54, 0x40051340, v60
	v_max3_num_f32 v49, v49, v50, v54
	v_add_f32_e32 v50, 0x40051340, v68
	v_add_f32_e32 v54, 0x40051340, v108
	s_delay_alu instid0(VALU_DEP_1) | instskip(SKIP_2) | instid1(VALU_DEP_1)
	v_max3_num_f32 v49, v49, v50, v54
	v_add_f32_e32 v50, 0x40051340, v160
	v_add_f32_e32 v54, 0x40051340, v161
	v_max3_num_f32 v49, v49, v50, v54
	v_add_f32_e32 v50, 0x40051340, v165
	v_add_f32_e32 v54, 0x40051340, v164
	s_delay_alu instid0(VALU_DEP_1) | instskip(SKIP_2) | instid1(VALU_DEP_1)
	v_max3_num_f32 v49, v49, v50, v54
	v_add_f32_e32 v50, 0x40051340, v163
	v_add_f32_e32 v54, 0x40051340, v162
	v_max3_num_f32 v49, v49, v50, v54
	ds_bpermute_b32 v50, v223, v49
	s_wait_dscnt 0x0
	v_max_num_f32_e32 v50, v50, v50
	s_delay_alu instid0(VALU_DEP_1) | instskip(NEXT) | instid1(VALU_DEP_1)
	v_max_num_f32_e32 v209, v49, v50
	v_sub_f32_e32 v47, v47, v209
	v_sub_f32_e32 v44, v44, v209
	;; [unrolled: 1-line block ×5, first 2 shown]
	v_mul_f32_e32 v49, 0x3fb8aa3b, v47
	v_sub_f32_e32 v43, v43, v209
	v_sub_f32_e32 v67, v67, v209
	;; [unrolled: 1-line block ×3, first 2 shown]
	v_cmp_ngt_f32_e32 vcc_lo, 0xc2ce8ed0, v46
	v_fma_f32 v50, 0x3fb8aa3b, v47, -v49
	v_rndne_f32_e32 v54, v49
	v_cmp_ngt_f32_e64 s3, 0xc2ce8ed0, v43
	v_cmp_ngt_f32_e64 s4, 0xc2ce8ed0, v42
	;; [unrolled: 1-line block ×3, first 2 shown]
	s_delay_alu instid0(VALU_DEP_4) | instskip(SKIP_2) | instid1(VALU_DEP_3)
	v_dual_fmac_f32 v50, 0x32a5705f, v47 :: v_dual_sub_f32 v49, v49, v54
	v_cvt_i32_f32_e32 v54, v54
	v_sub_f32_e32 v45, v45, v209
	v_dual_sub_f32 v60, v60, v209 :: v_dual_add_f32 v49, v49, v50
	v_mul_f32_e32 v50, 0x3fb8aa3b, v46
	s_delay_alu instid0(VALU_DEP_2) | instskip(NEXT) | instid1(VALU_DEP_1)
	v_exp_f32_e32 v49, v49
	v_fma_f32 v58, 0x3fb8aa3b, v46, -v50
	v_rndne_f32_e32 v62, v50
	s_delay_alu instid0(VALU_DEP_2) | instskip(NEXT) | instid1(VALU_DEP_2)
	v_fmac_f32_e32 v58, 0x32a5705f, v46
	v_sub_f32_e32 v50, v50, v62
	s_delay_alu instid0(TRANS32_DEP_1) | instskip(NEXT) | instid1(VALU_DEP_2)
	v_ldexp_f32 v49, v49, v54
	v_add_f32_e32 v50, v50, v58
	v_mul_f32_e32 v58, 0x3fb8aa3b, v43
	s_delay_alu instid0(VALU_DEP_2) | instskip(NEXT) | instid1(VALU_DEP_1)
	v_exp_f32_e32 v50, v50
	v_fma_f32 v66, 0x3fb8aa3b, v43, -v58
	v_rndne_f32_e32 v69, v58
	s_delay_alu instid0(VALU_DEP_2) | instskip(NEXT) | instid1(VALU_DEP_2)
	v_fmac_f32_e32 v66, 0x32a5705f, v43
	v_sub_f32_e32 v58, v58, v69
	v_cvt_i32_f32_e32 v54, v69
	s_delay_alu instid0(VALU_DEP_2) | instskip(SKIP_1) | instid1(VALU_DEP_2)
	v_add_f32_e32 v58, v58, v66
	v_mul_f32_e32 v66, 0x3fb8aa3b, v42
	v_exp_f32_e32 v58, v58
	s_delay_alu instid0(VALU_DEP_1) | instskip(SKIP_1) | instid1(VALU_DEP_2)
	v_fma_f32 v70, 0x3fb8aa3b, v42, -v66
	v_rndne_f32_e32 v71, v66
	v_fmac_f32_e32 v70, 0x32a5705f, v42
	s_delay_alu instid0(VALU_DEP_2) | instskip(NEXT) | instid1(TRANS32_DEP_1)
	v_sub_f32_e32 v66, v66, v71
	v_ldexp_f32 v54, v58, v54
	v_cvt_i32_f32_e32 v58, v62
	s_delay_alu instid0(VALU_DEP_3) | instskip(NEXT) | instid1(VALU_DEP_2)
	v_add_f32_e32 v66, v66, v70
	v_ldexp_f32 v50, v50, v58
	s_delay_alu instid0(VALU_DEP_2) | instskip(SKIP_2) | instid1(VALU_DEP_2)
	v_exp_f32_e32 v62, v66
	v_cvt_i32_f32_e32 v58, v71
	s_wait_alu 0xfffd
	v_cndmask_b32_e32 v50, 0, v50, vcc_lo
	v_cmp_nlt_f32_e32 vcc_lo, 0x42b17218, v46
	s_wait_alu 0xf1ff
	v_cndmask_b32_e64 v46, 0, v54, s3
	v_cmp_nlt_f32_e64 s3, 0x42b17218, v43
	s_delay_alu instid0(TRANS32_DEP_1)
	v_ldexp_f32 v58, v62, v58
	s_wait_alu 0xfffd
	v_cndmask_b32_e32 v182, 0x7f800000, v50, vcc_lo
	s_wait_alu 0xf1ff
	v_cndmask_b32_e64 v166, 0x7f800000, v46, s3
	v_cmp_ngt_f32_e32 vcc_lo, 0xc2ce8ed0, v45
	v_cmp_ngt_f32_e64 s3, 0xc2ce8ed0, v41
	v_cndmask_b32_e64 v43, 0, v58, s4
	v_cmp_nlt_f32_e64 s4, 0x42b17218, v42
	v_cndmask_b32_e64 v42, 0, v49, s5
	v_cmp_nlt_f32_e64 s5, 0x42b17218, v47
	v_cvt_f16_f32_e64 v47, v182
	s_wait_alu 0xf1ff
	v_cndmask_b32_e64 v167, 0x7f800000, v43, s4
	v_cvt_f16_f32_e64 v43, v166
	v_cndmask_b32_e64 v180, 0x7f800000, v42, s5
	v_cmp_ngt_f32_e64 s4, 0xc2ce8ed0, v67
	s_delay_alu instid0(VALU_DEP_4) | instskip(NEXT) | instid1(VALU_DEP_3)
	v_cvt_f16_f32_e64 v46, v167
	v_cvt_f16_f32_e64 v42, v180
	s_delay_alu instid0(VALU_DEP_2) | instskip(SKIP_1) | instid1(VALU_DEP_3)
	v_pack_b32_f16 v43, v43, v46
	v_mul_f32_e32 v46, 0x3fb8aa3b, v45
	v_pack_b32_f16 v42, v42, v47
	s_delay_alu instid0(VALU_DEP_2) | instskip(SKIP_1) | instid1(VALU_DEP_2)
	v_fma_f32 v47, 0x3fb8aa3b, v45, -v46
	v_rndne_f32_e32 v49, v46
	v_fmac_f32_e32 v47, 0x32a5705f, v45
	s_delay_alu instid0(VALU_DEP_2) | instskip(SKIP_1) | instid1(VALU_DEP_2)
	v_sub_f32_e32 v46, v46, v49
	v_cvt_i32_f32_e32 v49, v49
	v_dual_add_f32 v46, v46, v47 :: v_dual_mul_f32 v47, 0x3fb8aa3b, v41
	s_delay_alu instid0(VALU_DEP_1) | instskip(NEXT) | instid1(VALU_DEP_1)
	v_exp_f32_e32 v46, v46
	v_fma_f32 v50, 0x3fb8aa3b, v41, -v47
	v_rndne_f32_e32 v54, v47
	s_delay_alu instid0(VALU_DEP_1) | instskip(NEXT) | instid1(TRANS32_DEP_1)
	v_dual_fmac_f32 v50, 0x32a5705f, v41 :: v_dual_sub_f32 v47, v47, v54
	v_ldexp_f32 v46, v46, v49
	v_cvt_i32_f32_e32 v49, v54
	s_delay_alu instid0(VALU_DEP_3) | instskip(SKIP_1) | instid1(VALU_DEP_3)
	v_add_f32_e32 v47, v47, v50
	s_wait_alu 0xfffd
	v_cndmask_b32_e32 v46, 0, v46, vcc_lo
	v_cmp_nlt_f32_e32 vcc_lo, 0x42b17218, v45
	s_delay_alu instid0(VALU_DEP_3) | instskip(SKIP_1) | instid1(VALU_DEP_2)
	v_exp_f32_e32 v47, v47
	s_wait_alu 0xfffd
	v_cndmask_b32_e32 v197, 0x7f800000, v46, vcc_lo
	v_cmp_ngt_f32_e32 vcc_lo, 0xc2ce8ed0, v44
	s_delay_alu instid0(TRANS32_DEP_1) | instskip(NEXT) | instid1(VALU_DEP_1)
	v_ldexp_f32 v47, v47, v49
	v_cndmask_b32_e64 v45, 0, v47, s3
	v_cmp_nlt_f32_e64 s3, 0x42b17218, v41
	s_wait_alu 0xf1ff
	s_delay_alu instid0(VALU_DEP_1) | instskip(SKIP_2) | instid1(VALU_DEP_3)
	v_cndmask_b32_e64 v196, 0x7f800000, v45, s3
	v_cvt_f16_f32_e64 v45, v197
	v_cmp_ngt_f32_e64 s3, 0xc2ce8ed0, v40
	v_cvt_f16_f32_e64 v41, v196
	s_delay_alu instid0(VALU_DEP_1) | instskip(SKIP_1) | instid1(VALU_DEP_1)
	v_pack_b32_f16 v41, v41, v45
	v_mul_f32_e32 v45, 0x3fb8aa3b, v44
	v_fma_f32 v46, 0x3fb8aa3b, v44, -v45
	v_rndne_f32_e32 v47, v45
	s_delay_alu instid0(VALU_DEP_1) | instskip(SKIP_1) | instid1(VALU_DEP_2)
	v_dual_fmac_f32 v46, 0x32a5705f, v44 :: v_dual_sub_f32 v45, v45, v47
	v_cvt_i32_f32_e32 v47, v47
	v_dual_add_f32 v45, v45, v46 :: v_dual_mul_f32 v46, 0x3fb8aa3b, v40
	s_delay_alu instid0(VALU_DEP_1) | instskip(NEXT) | instid1(VALU_DEP_1)
	v_exp_f32_e32 v45, v45
	v_fma_f32 v49, 0x3fb8aa3b, v40, -v46
	v_rndne_f32_e32 v50, v46
	s_delay_alu instid0(VALU_DEP_1) | instskip(NEXT) | instid1(TRANS32_DEP_1)
	v_dual_fmac_f32 v49, 0x32a5705f, v40 :: v_dual_sub_f32 v46, v46, v50
	v_ldexp_f32 v45, v45, v47
	v_cvt_i32_f32_e32 v47, v50
	s_delay_alu instid0(VALU_DEP_3) | instskip(SKIP_1) | instid1(VALU_DEP_3)
	v_add_f32_e32 v46, v46, v49
	s_wait_alu 0xfffd
	v_cndmask_b32_e32 v45, 0, v45, vcc_lo
	v_cmp_nlt_f32_e32 vcc_lo, 0x42b17218, v44
	s_delay_alu instid0(VALU_DEP_3) | instskip(SKIP_1) | instid1(VALU_DEP_2)
	v_exp_f32_e32 v46, v46
	s_wait_alu 0xfffd
	v_cndmask_b32_e32 v200, 0x7f800000, v45, vcc_lo
	s_delay_alu instid0(TRANS32_DEP_1) | instskip(SKIP_1) | instid1(VALU_DEP_1)
	v_ldexp_f32 v46, v46, v47
	s_wait_alu 0xf1ff
	v_cndmask_b32_e64 v44, 0, v46, s3
	v_cmp_nlt_f32_e64 s3, 0x42b17218, v40
	s_wait_alu 0xf1ff
	s_delay_alu instid0(VALU_DEP_1) | instskip(SKIP_1) | instid1(VALU_DEP_2)
	v_cndmask_b32_e64 v199, 0x7f800000, v44, s3
	v_cvt_f16_f32_e64 v44, v200
	v_cvt_f16_f32_e64 v40, v199
	s_delay_alu instid0(VALU_DEP_1) | instskip(SKIP_1) | instid1(VALU_DEP_1)
	v_pack_b32_f16 v40, v40, v44
	v_sub_f32_e32 v44, v48, v209
	v_mul_f32_e32 v45, 0x3fb8aa3b, v44
	v_cmp_ngt_f32_e32 vcc_lo, 0xc2ce8ed0, v44
	s_delay_alu instid0(VALU_DEP_2) | instskip(SKIP_1) | instid1(VALU_DEP_1)
	v_fma_f32 v46, 0x3fb8aa3b, v44, -v45
	v_rndne_f32_e32 v47, v45
	v_dual_fmac_f32 v46, 0x32a5705f, v44 :: v_dual_sub_f32 v45, v45, v47
	s_delay_alu instid0(VALU_DEP_1) | instskip(SKIP_1) | instid1(VALU_DEP_2)
	v_add_f32_e32 v45, v45, v46
	v_cvt_i32_f32_e32 v46, v47
	v_exp_f32_e32 v45, v45
	s_delay_alu instid0(TRANS32_DEP_1)
	v_ldexp_f32 v45, v45, v46
	ds_load_u16 v48, v193 offset:800
	ds_load_u16 v47, v193 offset:448
	;; [unrolled: 1-line block ×13, first 2 shown]
	s_wait_alu 0xfffd
	v_cndmask_b32_e32 v45, 0, v45, vcc_lo
	v_cmp_nlt_f32_e32 vcc_lo, 0x42b17218, v44
	s_wait_alu 0xfffd
	s_delay_alu instid0(VALU_DEP_2) | instskip(SKIP_2) | instid1(VALU_DEP_2)
	v_cndmask_b32_e32 v45, 0x7f800000, v45, vcc_lo
	v_cmp_le_f32_e32 vcc_lo, 0xc1a00000, v44
	s_wait_alu 0xfffd
	v_cndmask_b32_e32 v198, 0, v45, vcc_lo
	s_wait_dscnt 0x5
	ds_load_u16_d16_hi v105, v195 offset:128
	s_wait_dscnt 0x5
	ds_load_u16_d16_hi v82, v195 offset:2816
	;; [unrolled: 2-line block ×4, first 2 shown]
	ds_load_u16 v97, v193 offset:704
	ds_load_u16 v86, v194 offset:2912
	;; [unrolled: 1-line block ×9, first 2 shown]
	s_wait_dscnt 0x7
	ds_load_u16_d16_hi v86, v195 offset:2912
	s_wait_dscnt 0x7
	ds_load_u16_d16_hi v90, v195 offset:2944
	;; [unrolled: 2-line block ×4, first 2 shown]
	ds_load_u16_d16_hi v102, v193 offset:304
	ds_load_u16_d16_hi v96, v193 offset:528
	;; [unrolled: 1-line block ×3, first 2 shown]
	ds_load_u16 v101, v193 offset:736
	ds_load_u16 v100, v193 offset:384
	ds_load_u16_d16_hi v46, v193 offset:272
	ds_load_u16_d16_hi v93, v193 offset:944
	;; [unrolled: 1-line block ×3, first 2 shown]
	ds_load_u16 v87, v193 offset:2944
	ds_load_u16 v79, v193 offset:2816
	;; [unrolled: 1-line block ×3, first 2 shown]
	ds_load_u16_d16_hi v97, v193 offset:880
	ds_load_u16_d16_hi v104, v193 offset:1008
	;; [unrolled: 1-line block ×3, first 2 shown]
	ds_load_u16 v75, v193 offset:2848
	v_cvt_f16_f32_e64 v44, v198
	s_wait_dscnt 0x6
	ds_load_u16_d16_hi v87, v193 offset:3120
	ds_load_u16 v83, v193 offset:2912
	ds_load_u16 v76, v193 offset:3200
	s_wait_dscnt 0x8
	ds_load_u16_d16_hi v79, v193 offset:2992
	v_and_b32_e32 v44, 0xffff, v44
	s_delay_alu instid0(VALU_DEP_1) | instskip(NEXT) | instid1(VALU_DEP_1)
	v_mul_u32_u24_e32 v80, 0x10001, v44
	v_pk_mul_f16 v0, v0, v80
	v_pk_mul_f16 v1, v1, v80
	;; [unrolled: 1-line block ×8, first 2 shown]
	s_wait_dscnt 0x6
	v_wmma_f16_16x16x16_f16 v[0:3], v[102:105], v[40:43], v[0:3]
	ds_load_u16 v69, v193 offset:9280
	ds_load_u16 v44, v193 offset:9152
	;; [unrolled: 1-line block ×4, first 2 shown]
	ds_load_u16 v98, v194
	ds_load_u16 v95, v193
	ds_load_u16 v99, v193 offset:32
	ds_load_u16 v91, v193 offset:64
	;; [unrolled: 1-line block ×5, first 2 shown]
	s_wait_dscnt 0x8
	ds_load_u16_d16_hi v103, v193 offset:9072
	ds_load_u16_d16_hi v69, v193 offset:9456
	;; [unrolled: 1-line block ×3, first 2 shown]
	ds_load_u16 v203, v193 offset:9184
	s_wait_dscnt 0xb
	ds_load_u16_d16_hi v104, v193 offset:9424
	s_wait_dscnt 0xb
	ds_load_u16_d16_hi v98, v195
	s_wait_dscnt 0xb
	ds_load_u16_d16_hi v95, v193 offset:176
	s_wait_dscnt 0xb
	ds_load_u16_d16_hi v99, v193 offset:208
	;; [unrolled: 2-line block ×4, first 2 shown]
	ds_load_u16_d16_hi v94, v195 offset:64
	s_wait_dscnt 0xc
	ds_load_u16_d16_hi v49, v195 offset:96
	ds_load_u16 v70, v194 offset:8576
	ds_load_u16 v92, v193 offset:416
	ds_load_u16_d16_hi v101, v193 offset:912
	ds_load_u16_d16_hi v100, v193 offset:560
	v_pk_mul_f16 v4, v4, v80
	v_pk_mul_f16 v5, v5, v80
	;; [unrolled: 1-line block ×12, first 2 shown]
	s_wait_dscnt 0x9
	v_wmma_f16_16x16x16_f16 v[16:19], v[95:98], v[40:43], v[16:19]
	s_wait_dscnt 0x2
	ds_load_u16_d16_hi v92, v193 offset:592
	v_wmma_f16_16x16x16_f16 v[8:11], v[46:49], v[40:43], v[8:11]
	s_wait_dscnt 0x1
	v_wmma_f16_16x16x16_f16 v[4:7], v[99:102], v[40:43], v[4:7]
	s_wait_dscnt 0x0
	v_wmma_f16_16x16x16_f16 v[12:15], v[91:94], v[40:43], v[12:15]
	v_sub_f32_e32 v40, v77, v209
	s_delay_alu instid0(VALU_DEP_1) | instskip(SKIP_1) | instid1(VALU_DEP_2)
	v_mul_f32_e32 v41, 0x3fb8aa3b, v40
	v_cmp_ngt_f32_e64 s5, 0xc2ce8ed0, v40
	v_fma_f32 v42, 0x3fb8aa3b, v40, -v41
	v_rndne_f32_e32 v43, v41
	s_delay_alu instid0(VALU_DEP_1) | instskip(SKIP_1) | instid1(VALU_DEP_2)
	v_dual_fmac_f32 v42, 0x32a5705f, v40 :: v_dual_sub_f32 v41, v41, v43
	v_cvt_i32_f32_e32 v43, v43
	v_add_f32_e32 v41, v41, v42
	v_sub_f32_e32 v42, v73, v209
	s_delay_alu instid0(VALU_DEP_2) | instskip(NEXT) | instid1(VALU_DEP_1)
	v_exp_f32_e32 v41, v41
	v_mul_f32_e32 v46, 0x3fb8aa3b, v42
	v_cmp_ngt_f32_e32 vcc_lo, 0xc2ce8ed0, v42
	s_delay_alu instid0(VALU_DEP_2) | instskip(SKIP_1) | instid1(TRANS32_DEP_1)
	v_fma_f32 v47, 0x3fb8aa3b, v42, -v46
	v_rndne_f32_e32 v48, v46
	v_ldexp_f32 v41, v41, v43
	s_delay_alu instid0(VALU_DEP_2) | instskip(SKIP_2) | instid1(VALU_DEP_3)
	v_dual_fmac_f32 v47, 0x32a5705f, v42 :: v_dual_sub_f32 v46, v46, v48
	v_cvt_i32_f32_e32 v48, v48
	s_wait_alu 0xf1ff
	v_cndmask_b32_e64 v41, 0, v41, s5
	v_cmp_nlt_f32_e64 s5, 0x42b17218, v40
	v_dual_add_f32 v46, v46, v47 :: v_dual_sub_f32 v47, v72, v209
	s_wait_alu 0xf1ff
	s_delay_alu instid0(VALU_DEP_2) | instskip(NEXT) | instid1(VALU_DEP_2)
	v_cndmask_b32_e64 v91, 0x7f800000, v41, s5
	v_exp_f32_e32 v46, v46
	s_delay_alu instid0(VALU_DEP_2) | instskip(SKIP_1) | instid1(VALU_DEP_3)
	v_mul_f32_e32 v49, 0x3fb8aa3b, v47
	v_cmp_ngt_f32_e64 s3, 0xc2ce8ed0, v47
	v_cvt_f16_f32_e32 v40, v91
	s_delay_alu instid0(VALU_DEP_3) | instskip(SKIP_1) | instid1(TRANS32_DEP_1)
	v_fma_f32 v72, 0x3fb8aa3b, v47, -v49
	v_rndne_f32_e32 v73, v49
	v_ldexp_f32 v46, v46, v48
	s_delay_alu instid0(VALU_DEP_2) | instskip(SKIP_2) | instid1(VALU_DEP_3)
	v_dual_fmac_f32 v72, 0x32a5705f, v47 :: v_dual_sub_f32 v49, v49, v73
	v_cvt_i32_f32_e32 v43, v73
	s_wait_alu 0xfffd
	v_cndmask_b32_e32 v46, 0, v46, vcc_lo
	v_cmp_nlt_f32_e32 vcc_lo, 0x42b17218, v42
	v_dual_add_f32 v49, v49, v72 :: v_dual_mul_f32 v72, 0x3fb8aa3b, v67
	s_wait_alu 0xfffd
	s_delay_alu instid0(VALU_DEP_3) | instskip(NEXT) | instid1(VALU_DEP_2)
	v_cndmask_b32_e32 v94, 0x7f800000, v46, vcc_lo
	v_exp_f32_e32 v49, v49
	s_delay_alu instid0(VALU_DEP_2) | instskip(SKIP_1) | instid1(VALU_DEP_3)
	v_fma_f32 v77, 0x3fb8aa3b, v67, -v72
	v_rndne_f32_e32 v80, v72
	v_cvt_f16_f32_e32 v46, v94
	s_delay_alu instid0(VALU_DEP_2) | instskip(SKIP_1) | instid1(TRANS32_DEP_1)
	v_dual_fmac_f32 v77, 0x32a5705f, v67 :: v_dual_sub_f32 v72, v72, v80
	v_cvt_i32_f32_e32 v48, v80
	v_ldexp_f32 v43, v49, v43
	s_delay_alu instid0(VALU_DEP_3) | instskip(SKIP_1) | instid1(VALU_DEP_2)
	v_add_f32_e32 v72, v72, v77
	s_wait_alu 0xf1ff
	v_cndmask_b32_e64 v42, 0, v43, s3
	v_cmp_nlt_f32_e64 s3, 0x42b17218, v47
	s_delay_alu instid0(VALU_DEP_3)
	v_exp_f32_e32 v49, v72
	ds_load_u16 v85, v193 offset:3616
	ds_load_u16 v89, v193 offset:3648
	;; [unrolled: 1-line block ×4, first 2 shown]
	ds_load_u16_d16_hi v76, v193 offset:3376
	ds_load_u16 v72, v193 offset:3232
	s_wait_alu 0xf1ff
	v_cndmask_b32_e64 v92, 0x7f800000, v42, s3
	s_delay_alu instid0(VALU_DEP_1) | instskip(SKIP_1) | instid1(VALU_DEP_1)
	v_cvt_f16_f32_e32 v41, v92
	v_ldexp_f32 v48, v49, v48
	v_cndmask_b32_e64 v43, 0, v48, s4
	v_cmp_nlt_f32_e64 s4, 0x42b17218, v67
	s_wait_alu 0xf1ff
	s_delay_alu instid0(VALU_DEP_1) | instskip(SKIP_1) | instid1(VALU_DEP_2)
	v_cndmask_b32_e64 v93, 0x7f800000, v43, s4
	v_cmp_ngt_f32_e64 s4, 0xc2ce8ed0, v60
	v_cvt_f16_f32_e32 v42, v93
	s_delay_alu instid0(VALU_DEP_1) | instskip(SKIP_2) | instid1(VALU_DEP_1)
	v_pack_b32_f16 v43, v41, v42
	v_pack_b32_f16 v42, v40, v46
	v_sub_f32_e32 v40, v65, v209
	v_mul_f32_e32 v41, 0x3fb8aa3b, v40
	v_cmp_ngt_f32_e32 vcc_lo, 0xc2ce8ed0, v40
	s_delay_alu instid0(VALU_DEP_2) | instskip(SKIP_1) | instid1(VALU_DEP_1)
	v_fma_f32 v46, 0x3fb8aa3b, v40, -v41
	v_rndne_f32_e32 v47, v41
	v_dual_fmac_f32 v46, 0x32a5705f, v40 :: v_dual_sub_f32 v41, v41, v47
	v_cvt_i32_f32_e32 v47, v47
	s_delay_alu instid0(VALU_DEP_2) | instskip(NEXT) | instid1(VALU_DEP_1)
	v_dual_add_f32 v41, v41, v46 :: v_dual_sub_f32 v46, v59, v209
	v_exp_f32_e32 v41, v41
	s_delay_alu instid0(VALU_DEP_1) | instskip(SKIP_1) | instid1(VALU_DEP_2)
	v_mul_f32_e32 v48, 0x3fb8aa3b, v46
	v_cmp_ngt_f32_e64 s3, 0xc2ce8ed0, v46
	v_fma_f32 v49, 0x3fb8aa3b, v46, -v48
	v_rndne_f32_e32 v59, v48
	s_delay_alu instid0(TRANS32_DEP_1) | instskip(NEXT) | instid1(VALU_DEP_2)
	v_ldexp_f32 v41, v41, v47
	v_dual_fmac_f32 v49, 0x32a5705f, v46 :: v_dual_sub_f32 v48, v48, v59
	v_cvt_i32_f32_e32 v47, v59
	s_wait_alu 0xfffd
	s_delay_alu instid0(VALU_DEP_3) | instskip(SKIP_3) | instid1(VALU_DEP_3)
	v_cndmask_b32_e32 v41, 0, v41, vcc_lo
	v_cmp_nlt_f32_e32 vcc_lo, 0x42b17218, v40
	v_add_f32_e32 v48, v48, v49
	s_wait_alu 0xfffd
	v_cndmask_b32_e32 v96, 0x7f800000, v41, vcc_lo
	s_delay_alu instid0(VALU_DEP_2) | instskip(NEXT) | instid1(VALU_DEP_1)
	v_exp_f32_e32 v48, v48
	v_cvt_f16_f32_e32 v41, v96
	s_delay_alu instid0(TRANS32_DEP_1) | instskip(SKIP_1) | instid1(VALU_DEP_1)
	v_ldexp_f32 v47, v48, v47
	s_wait_alu 0xf1ff
	v_cndmask_b32_e64 v40, 0, v47, s3
	v_cmp_nlt_f32_e64 s3, 0x42b17218, v46
	s_wait_alu 0xf1ff
	s_delay_alu instid0(VALU_DEP_1) | instskip(NEXT) | instid1(VALU_DEP_1)
	v_cndmask_b32_e64 v95, 0x7f800000, v40, s3
	v_cvt_f16_f32_e32 v40, v95
	s_delay_alu instid0(VALU_DEP_1) | instskip(SKIP_1) | instid1(VALU_DEP_1)
	v_pack_b32_f16 v41, v40, v41
	v_sub_f32_e32 v40, v55, v209
	v_mul_f32_e32 v46, 0x3fb8aa3b, v40
	v_cmp_ngt_f32_e32 vcc_lo, 0xc2ce8ed0, v40
	s_delay_alu instid0(VALU_DEP_2) | instskip(SKIP_1) | instid1(VALU_DEP_2)
	v_fma_f32 v47, 0x3fb8aa3b, v40, -v46
	v_rndne_f32_e32 v48, v46
	v_fmac_f32_e32 v47, 0x32a5705f, v40
	s_delay_alu instid0(VALU_DEP_2) | instskip(SKIP_1) | instid1(VALU_DEP_2)
	v_sub_f32_e32 v46, v46, v48
	v_cvt_i32_f32_e32 v48, v48
	v_dual_add_f32 v46, v46, v47 :: v_dual_sub_f32 v47, v51, v209
	s_delay_alu instid0(VALU_DEP_1) | instskip(NEXT) | instid1(VALU_DEP_1)
	v_exp_f32_e32 v46, v46
	v_mul_f32_e32 v49, 0x3fb8aa3b, v47
	v_cmp_ngt_f32_e64 s3, 0xc2ce8ed0, v47
	s_delay_alu instid0(VALU_DEP_2) | instskip(SKIP_1) | instid1(TRANS32_DEP_1)
	v_fma_f32 v51, 0x3fb8aa3b, v47, -v49
	v_rndne_f32_e32 v55, v49
	v_ldexp_f32 v46, v46, v48
	s_delay_alu instid0(VALU_DEP_3) | instskip(NEXT) | instid1(VALU_DEP_3)
	v_fmac_f32_e32 v51, 0x32a5705f, v47
	v_sub_f32_e32 v49, v49, v55
	v_cvt_i32_f32_e32 v48, v55
	s_wait_alu 0xfffd
	v_cndmask_b32_e32 v46, 0, v46, vcc_lo
	v_cmp_nlt_f32_e32 vcc_lo, 0x42b17218, v40
	s_wait_alu 0xfffd
	s_delay_alu instid0(VALU_DEP_2) | instskip(NEXT) | instid1(VALU_DEP_1)
	v_dual_add_f32 v49, v49, v51 :: v_dual_cndmask_b32 v98, 0x7f800000, v46
	v_exp_f32_e32 v49, v49
	s_delay_alu instid0(VALU_DEP_1) | instskip(NEXT) | instid1(TRANS32_DEP_1)
	v_cvt_f16_f32_e32 v46, v98
	v_ldexp_f32 v48, v49, v48
	s_wait_alu 0xf1ff
	s_delay_alu instid0(VALU_DEP_1)
	v_cndmask_b32_e64 v40, 0, v48, s3
	v_cmp_nlt_f32_e64 s3, 0x42b17218, v47
	s_wait_dscnt 0x3
	ds_load_u16_d16_hi v88, v193 offset:3472
	s_wait_dscnt 0x3
	ds_load_u16_d16_hi v81, v193 offset:3696
	ds_load_u16_d16_hi v89, v193 offset:3824
	ds_load_u16 v59, v193 offset:5632
	ds_load_u16 v51, v193 offset:5664
	;; [unrolled: 1-line block ×5, first 2 shown]
	s_wait_dscnt 0x8
	ds_load_u16_d16_hi v72, v193 offset:3408
	ds_load_u16_d16_hi v85, v193 offset:3792
	ds_load_u16 v80, v193 offset:3168
	ds_load_u16_d16_hi v83, v193 offset:3088
	s_wait_alu 0xf1ff
	v_cndmask_b32_e64 v97, 0x7f800000, v40, s3
	s_delay_alu instid0(VALU_DEP_1) | instskip(NEXT) | instid1(VALU_DEP_1)
	v_cvt_f16_f32_e32 v40, v97
	v_pack_b32_f16 v40, v40, v46
	s_wait_dscnt 0x9
	s_delay_alu instid0(VALU_DEP_1)
	v_wmma_f16_16x16x16_f16 v[0:3], v[87:90], v[40:43], v[0:3]
	s_wait_dscnt 0x1
	ds_load_u16_d16_hi v80, v193 offset:3344
	ds_load_u16 v73, v193 offset:3584
	ds_load_u16_d16_hi v75, v193 offset:3024
	ds_load_u16_d16_hi v77, v193 offset:3728
	;; [unrolled: 1-line block ×3, first 2 shown]
	ds_load_u16 v84, v193 offset:3264
	s_wait_dscnt 0x4
	ds_load_u16_d16_hi v73, v193 offset:3760
	v_wmma_f16_16x16x16_f16 v[16:19], v[79:82], v[40:43], v[16:19]
	s_wait_dscnt 0x3
	v_wmma_f16_16x16x16_f16 v[4:7], v[75:78], v[40:43], v[4:7]
	s_wait_dscnt 0x1
	ds_load_u16_d16_hi v84, v193 offset:3440
	s_wait_dscnt 0x1
	v_wmma_f16_16x16x16_f16 v[12:15], v[71:74], v[40:43], v[12:15]
	s_wait_dscnt 0x0
	v_wmma_f16_16x16x16_f16 v[8:11], v[83:86], v[40:43], v[8:11]
	v_sub_f32_e32 v40, v64, v209
	s_delay_alu instid0(VALU_DEP_1) | instskip(SKIP_1) | instid1(VALU_DEP_2)
	v_mul_f32_e32 v41, 0x3fb8aa3b, v40
	v_cmp_ngt_f32_e64 s5, 0xc2ce8ed0, v40
	v_fma_f32 v42, 0x3fb8aa3b, v40, -v41
	v_rndne_f32_e32 v43, v41
	s_delay_alu instid0(VALU_DEP_1) | instskip(SKIP_1) | instid1(VALU_DEP_2)
	v_dual_fmac_f32 v42, 0x32a5705f, v40 :: v_dual_sub_f32 v41, v41, v43
	v_cvt_i32_f32_e32 v43, v43
	v_dual_add_f32 v41, v41, v42 :: v_dual_sub_f32 v42, v63, v209
	s_delay_alu instid0(VALU_DEP_1) | instskip(NEXT) | instid1(VALU_DEP_1)
	v_exp_f32_e32 v41, v41
	v_mul_f32_e32 v46, 0x3fb8aa3b, v42
	v_cmp_ngt_f32_e32 vcc_lo, 0xc2ce8ed0, v42
	s_delay_alu instid0(VALU_DEP_2) | instskip(SKIP_1) | instid1(TRANS32_DEP_1)
	v_fma_f32 v48, 0x3fb8aa3b, v42, -v46
	v_rndne_f32_e32 v49, v46
	v_ldexp_f32 v41, v41, v43
	s_delay_alu instid0(VALU_DEP_3) | instskip(NEXT) | instid1(VALU_DEP_3)
	v_fmac_f32_e32 v48, 0x32a5705f, v42
	v_sub_f32_e32 v46, v46, v49
	v_cvt_i32_f32_e32 v49, v49
	s_wait_alu 0xf1ff
	v_cndmask_b32_e64 v41, 0, v41, s5
	v_cmp_nlt_f32_e64 s5, 0x42b17218, v40
	v_add_f32_e32 v46, v46, v48
	v_sub_f32_e32 v48, v61, v209
	s_wait_alu 0xf1ff
	s_delay_alu instid0(VALU_DEP_3) | instskip(NEXT) | instid1(VALU_DEP_3)
	v_cndmask_b32_e64 v40, 0x7f800000, v41, s5
	v_exp_f32_e32 v46, v46
	s_delay_alu instid0(VALU_DEP_2) | instskip(SKIP_1) | instid1(VALU_DEP_2)
	v_mul_f32_e32 v61, 0x3fb8aa3b, v48
	v_cmp_ngt_f32_e64 s3, 0xc2ce8ed0, v48
	v_fma_f32 v63, 0x3fb8aa3b, v48, -v61
	v_rndne_f32_e32 v64, v61
	s_delay_alu instid0(TRANS32_DEP_1) | instskip(NEXT) | instid1(VALU_DEP_3)
	v_ldexp_f32 v46, v46, v49
	v_fmac_f32_e32 v63, 0x32a5705f, v48
	s_delay_alu instid0(VALU_DEP_3)
	v_sub_f32_e32 v61, v61, v64
	v_cvt_i32_f32_e32 v43, v64
	s_wait_alu 0xfffd
	v_cndmask_b32_e32 v46, 0, v46, vcc_lo
	v_cmp_nlt_f32_e32 vcc_lo, 0x42b17218, v42
	v_add_f32_e32 v61, v61, v63
	v_mul_f32_e32 v63, 0x3fb8aa3b, v60
	s_wait_alu 0xfffd
	v_cndmask_b32_e32 v76, 0x7f800000, v46, vcc_lo
	s_delay_alu instid0(VALU_DEP_3) | instskip(NEXT) | instid1(VALU_DEP_2)
	v_exp_f32_e32 v61, v61
	v_fma_f32 v65, 0x3fb8aa3b, v60, -v63
	v_rndne_f32_e32 v67, v63
	s_delay_alu instid0(VALU_DEP_2) | instskip(NEXT) | instid1(VALU_DEP_2)
	v_fmac_f32_e32 v65, 0x32a5705f, v60
	v_sub_f32_e32 v63, v63, v67
	v_cvt_i32_f32_e32 v49, v67
	s_delay_alu instid0(TRANS32_DEP_1) | instskip(NEXT) | instid1(VALU_DEP_3)
	v_ldexp_f32 v43, v61, v43
	v_add_f32_e32 v63, v63, v65
	s_wait_alu 0xf1ff
	s_delay_alu instid0(VALU_DEP_2) | instskip(SKIP_1) | instid1(VALU_DEP_3)
	v_cndmask_b32_e64 v42, 0, v43, s3
	v_cmp_nlt_f32_e64 s3, 0x42b17218, v48
	v_exp_f32_e32 v61, v63
	v_cvt_f16_f32_e32 v48, v76
	ds_load_u16 v64, v193 offset:6112
	ds_load_u16 v63, v193 offset:5760
	ds_load_u16 v65, v193 offset:6464
	ds_load_u16 v109, v194 offset:8512
	ds_load_u16 v105, v194 offset:8544
	ds_load_u16 v204, v194 offset:8480
	ds_load_u16_d16_hi v66, v195 offset:5760
	ds_load_u16_d16_hi v45, v195 offset:8448
	s_wait_alu 0xf1ff
	v_cndmask_b32_e64 v41, 0x7f800000, v42, s3
	v_cvt_f16_f32_e32 v42, v40
	v_ldexp_f32 v49, v61, v49
	s_delay_alu instid0(VALU_DEP_2) | instskip(SKIP_1) | instid1(VALU_DEP_3)
	v_pack_b32_f16 v73, v42, v48
	v_sub_f32_e32 v42, v57, v209
	v_cndmask_b32_e64 v43, 0, v49, s4
	v_cmp_nlt_f32_e64 s4, 0x42b17218, v60
	s_delay_alu instid0(VALU_DEP_3) | instskip(SKIP_1) | instid1(VALU_DEP_2)
	v_cmp_ngt_f32_e32 vcc_lo, 0xc2ce8ed0, v42
	s_wait_alu 0xf1ff
	v_cndmask_b32_e64 v75, 0x7f800000, v43, s4
	v_cvt_f16_f32_e32 v43, v41
	s_delay_alu instid0(VALU_DEP_2) | instskip(NEXT) | instid1(VALU_DEP_1)
	v_cvt_f16_f32_e32 v46, v75
	v_pack_b32_f16 v74, v43, v46
	v_mul_f32_e32 v43, 0x3fb8aa3b, v42
	s_delay_alu instid0(VALU_DEP_1) | instskip(SKIP_1) | instid1(VALU_DEP_1)
	v_fma_f32 v46, 0x3fb8aa3b, v42, -v43
	v_rndne_f32_e32 v48, v43
	v_dual_fmac_f32 v46, 0x32a5705f, v42 :: v_dual_sub_f32 v43, v43, v48
	v_cvt_i32_f32_e32 v48, v48
	s_delay_alu instid0(VALU_DEP_2) | instskip(NEXT) | instid1(VALU_DEP_1)
	v_dual_add_f32 v43, v43, v46 :: v_dual_sub_f32 v46, v56, v209
	v_exp_f32_e32 v43, v43
	s_delay_alu instid0(VALU_DEP_1) | instskip(SKIP_1) | instid1(VALU_DEP_2)
	v_mul_f32_e32 v49, 0x3fb8aa3b, v46
	v_cmp_ngt_f32_e64 s3, 0xc2ce8ed0, v46
	v_fma_f32 v56, 0x3fb8aa3b, v46, -v49
	v_rndne_f32_e32 v57, v49
	s_delay_alu instid0(TRANS32_DEP_1) | instskip(NEXT) | instid1(VALU_DEP_2)
	v_ldexp_f32 v43, v43, v48
	v_dual_fmac_f32 v56, 0x32a5705f, v46 :: v_dual_sub_f32 v49, v49, v57
	v_cvt_i32_f32_e32 v48, v57
	s_wait_alu 0xfffd
	s_delay_alu instid0(VALU_DEP_3) | instskip(SKIP_2) | instid1(VALU_DEP_2)
	v_cndmask_b32_e32 v43, 0, v43, vcc_lo
	v_cmp_nlt_f32_e32 vcc_lo, 0x42b17218, v42
	s_wait_alu 0xfffd
	v_dual_add_f32 v49, v49, v56 :: v_dual_cndmask_b32 v78, 0x7f800000, v43
	s_delay_alu instid0(VALU_DEP_1) | instskip(NEXT) | instid1(VALU_DEP_1)
	v_exp_f32_e32 v49, v49
	v_cvt_f16_f32_e32 v43, v78
	s_delay_alu instid0(TRANS32_DEP_1) | instskip(SKIP_1) | instid1(VALU_DEP_1)
	v_ldexp_f32 v48, v49, v48
	s_wait_alu 0xf1ff
	v_cndmask_b32_e64 v42, 0, v48, s3
	v_cmp_nlt_f32_e64 s3, 0x42b17218, v46
	s_wait_alu 0xf1ff
	s_delay_alu instid0(VALU_DEP_1) | instskip(NEXT) | instid1(VALU_DEP_1)
	v_cndmask_b32_e64 v77, 0x7f800000, v42, s3
	v_cvt_f16_f32_e32 v42, v77
	s_delay_alu instid0(VALU_DEP_1) | instskip(SKIP_1) | instid1(VALU_DEP_1)
	v_pack_b32_f16 v72, v42, v43
	v_sub_f32_e32 v42, v53, v209
	v_mul_f32_e32 v43, 0x3fb8aa3b, v42
	v_cmp_ngt_f32_e32 vcc_lo, 0xc2ce8ed0, v42
	s_delay_alu instid0(VALU_DEP_2) | instskip(SKIP_1) | instid1(VALU_DEP_1)
	v_fma_f32 v46, 0x3fb8aa3b, v42, -v43
	v_rndne_f32_e32 v48, v43
	v_dual_fmac_f32 v46, 0x32a5705f, v42 :: v_dual_sub_f32 v43, v43, v48
	v_cvt_i32_f32_e32 v48, v48
	s_delay_alu instid0(VALU_DEP_2) | instskip(NEXT) | instid1(VALU_DEP_1)
	v_dual_add_f32 v43, v43, v46 :: v_dual_sub_f32 v46, v52, v209
	v_exp_f32_e32 v43, v43
	s_delay_alu instid0(VALU_DEP_1) | instskip(SKIP_1) | instid1(VALU_DEP_2)
	v_mul_f32_e32 v49, 0x3fb8aa3b, v46
	v_cmp_ngt_f32_e64 s3, 0xc2ce8ed0, v46
	v_fma_f32 v52, 0x3fb8aa3b, v46, -v49
	v_rndne_f32_e32 v53, v49
	s_delay_alu instid0(TRANS32_DEP_1) | instskip(NEXT) | instid1(VALU_DEP_2)
	v_ldexp_f32 v43, v43, v48
	v_dual_fmac_f32 v52, 0x32a5705f, v46 :: v_dual_sub_f32 v49, v49, v53
	v_cvt_i32_f32_e32 v48, v53
	s_wait_alu 0xfffd
	s_delay_alu instid0(VALU_DEP_3) | instskip(SKIP_2) | instid1(VALU_DEP_2)
	v_cndmask_b32_e32 v43, 0, v43, vcc_lo
	v_cmp_nlt_f32_e32 vcc_lo, 0x42b17218, v42
	s_wait_alu 0xfffd
	v_dual_add_f32 v49, v49, v52 :: v_dual_cndmask_b32 v80, 0x7f800000, v43
	s_delay_alu instid0(VALU_DEP_1) | instskip(NEXT) | instid1(VALU_DEP_1)
	v_exp_f32_e32 v49, v49
	v_cvt_f16_f32_e32 v43, v80
	s_delay_alu instid0(TRANS32_DEP_1) | instskip(SKIP_1) | instid1(VALU_DEP_1)
	v_ldexp_f32 v48, v49, v48
	s_wait_alu 0xf1ff
	v_cndmask_b32_e64 v42, 0, v48, s3
	v_cmp_nlt_f32_e64 s3, 0x42b17218, v46
	s_wait_alu 0xf1ff
	s_delay_alu instid0(VALU_DEP_1) | instskip(NEXT) | instid1(VALU_DEP_1)
	v_cndmask_b32_e64 v79, 0x7f800000, v42, s3
	v_cvt_f16_f32_e32 v42, v79
	s_delay_alu instid0(VALU_DEP_1)
	v_pack_b32_f16 v71, v42, v43
	s_wait_dscnt 0x2
	ds_load_u16_d16_hi v204, v195 offset:8480
	ds_load_u16_d16_hi v109, v195 offset:8512
	;; [unrolled: 1-line block ×5, first 2 shown]
	ds_load_u16 v53, v193 offset:6368
	ds_load_u16_d16_hi v47, v193 offset:5872
	ds_load_u16 v60, v193 offset:5984
	ds_load_u16_d16_hi v55, v193 offset:5904
	ds_load_u16_d16_hi v59, v193 offset:5808
	;; [unrolled: 1-line block ×4, first 2 shown]
	ds_load_u16 v42, v193 offset:8448
	s_wait_dscnt 0x7
	ds_load_u16_d16_hi v53, v193 offset:6544
	ds_load_u16 v49, v193 offset:6400
	ds_load_u16_d16_hi v65, v193 offset:6640
	s_wait_dscnt 0x8
	ds_load_u16_d16_hi v60, v193 offset:6160
	ds_load_u16 v52, v193 offset:6016
	ds_load_u16 v201, v193 offset:8480
	;; [unrolled: 1-line block ×5, first 2 shown]
	s_wait_dscnt 0x9
	ds_load_u16_d16_hi v42, v193 offset:8624
	v_sub_f32_e32 v43, v165, v209
	s_delay_alu instid0(VALU_DEP_1)
	v_mul_f32_e32 v46, 0x3fb8aa3b, v43
	v_cmp_ngt_f32_e64 s5, 0xc2ce8ed0, v43
	s_wait_dscnt 0x8
	ds_load_u16_d16_hi v49, v193 offset:6576
	ds_load_u16 v56, v193 offset:6080
	ds_load_u16 v61, v193 offset:6336
	s_wait_dscnt 0x1
	ds_load_u16_d16_hi v56, v193 offset:6256
	s_wait_dscnt 0x1
	ds_load_u16_d16_hi v61, v193 offset:6512
	ds_load_u16 v57, v193 offset:6432
	s_wait_dscnt 0x0
	ds_load_u16_d16_hi v57, v193 offset:6608
	ds_load_u16_d16_hi v52, v193 offset:6192
	ds_load_u16_d16_hi v51, v193 offset:5840
	ds_load_u16 v48, v193 offset:6048
	ds_load_u16_d16_hi v50, v195 offset:5696
	v_wmma_f16_16x16x16_f16 v[16:19], v[59:62], v[71:74], v[16:19]
	v_wmma_f16_16x16x16_f16 v[0:3], v[63:66], v[71:74], v[0:3]
	s_wait_dscnt 0x4
	v_wmma_f16_16x16x16_f16 v[8:11], v[55:58], v[71:74], v[8:11]
	s_wait_dscnt 0x1
	ds_load_u16_d16_hi v48, v193 offset:6224
	v_wmma_f16_16x16x16_f16 v[4:7], v[51:54], v[71:74], v[4:7]
	s_wait_dscnt 0x0
	v_wmma_f16_16x16x16_f16 v[12:15], v[47:50], v[71:74], v[12:15]
	v_fma_f32 v47, 0x3fb8aa3b, v43, -v46
	v_rndne_f32_e32 v48, v46
	s_delay_alu instid0(VALU_DEP_1) | instskip(SKIP_1) | instid1(VALU_DEP_2)
	v_dual_fmac_f32 v47, 0x32a5705f, v43 :: v_dual_sub_f32 v46, v46, v48
	v_cvt_i32_f32_e32 v48, v48
	v_dual_add_f32 v46, v46, v47 :: v_dual_sub_f32 v47, v164, v209
	s_delay_alu instid0(VALU_DEP_1) | instskip(NEXT) | instid1(VALU_DEP_1)
	v_exp_f32_e32 v46, v46
	v_mul_f32_e32 v49, 0x3fb8aa3b, v47
	v_cmp_ngt_f32_e32 vcc_lo, 0xc2ce8ed0, v47
	s_delay_alu instid0(VALU_DEP_2) | instskip(SKIP_1) | instid1(TRANS32_DEP_1)
	v_fma_f32 v50, 0x3fb8aa3b, v47, -v49
	v_rndne_f32_e32 v51, v49
	v_ldexp_f32 v46, v46, v48
	s_delay_alu instid0(VALU_DEP_3) | instskip(NEXT) | instid1(VALU_DEP_3)
	v_fmac_f32_e32 v50, 0x32a5705f, v47
	v_sub_f32_e32 v49, v49, v51
	v_cvt_i32_f32_e32 v51, v51
	s_wait_alu 0xf1ff
	v_cndmask_b32_e64 v46, 0, v46, s5
	v_cmp_nlt_f32_e64 s5, 0x42b17218, v43
	v_dual_add_f32 v49, v49, v50 :: v_dual_sub_f32 v50, v163, v209
	s_delay_alu instid0(VALU_DEP_1) | instskip(NEXT) | instid1(VALU_DEP_1)
	v_exp_f32_e32 v49, v49
	v_mul_f32_e32 v52, 0x3fb8aa3b, v50
	v_cmp_ngt_f32_e64 s3, 0xc2ce8ed0, v50
	s_delay_alu instid0(VALU_DEP_2) | instskip(SKIP_1) | instid1(TRANS32_DEP_1)
	v_fma_f32 v53, 0x3fb8aa3b, v50, -v52
	v_rndne_f32_e32 v54, v52
	v_ldexp_f32 v49, v49, v51
	s_delay_alu instid0(VALU_DEP_3) | instskip(NEXT) | instid1(VALU_DEP_3)
	v_fmac_f32_e32 v53, 0x32a5705f, v50
	v_sub_f32_e32 v52, v52, v54
	v_cvt_i32_f32_e32 v48, v54
	s_wait_alu 0xfffd
	v_cndmask_b32_e32 v49, 0, v49, vcc_lo
	v_cmp_nlt_f32_e32 vcc_lo, 0x42b17218, v47
	v_add_f32_e32 v52, v52, v53
	v_sub_f32_e32 v53, v162, v209
	s_delay_alu instid0(VALU_DEP_2) | instskip(NEXT) | instid1(VALU_DEP_1)
	v_exp_f32_e32 v52, v52
	v_mul_f32_e32 v55, 0x3fb8aa3b, v53
	v_cmp_ngt_f32_e64 s4, 0xc2ce8ed0, v53
	s_delay_alu instid0(VALU_DEP_2) | instskip(SKIP_1) | instid1(TRANS32_DEP_1)
	v_fma_f32 v56, 0x3fb8aa3b, v53, -v55
	v_rndne_f32_e32 v57, v55
	v_ldexp_f32 v48, v52, v48
	s_delay_alu instid0(VALU_DEP_3) | instskip(NEXT) | instid1(VALU_DEP_3)
	v_fmac_f32_e32 v56, 0x32a5705f, v53
	v_sub_f32_e32 v55, v55, v57
	v_cvt_i32_f32_e32 v51, v57
	s_wait_alu 0xf1ff
	v_cndmask_b32_e64 v47, 0, v48, s3
	v_cmp_nlt_f32_e64 s3, 0x42b17218, v50
	v_add_f32_e32 v55, v55, v56
	v_cndmask_b32_e64 v50, 0x7f800000, v46, s5
	s_delay_alu instid0(VALU_DEP_2) | instskip(NEXT) | instid1(VALU_DEP_1)
	v_exp_f32_e32 v52, v55
	v_cvt_f16_f32_e32 v43, v50
	s_delay_alu instid0(TRANS32_DEP_1) | instskip(NEXT) | instid1(VALU_DEP_1)
	v_ldexp_f32 v51, v52, v51
	v_cndmask_b32_e64 v48, 0, v51, s4
	v_cmp_nlt_f32_e64 s4, 0x42b17218, v53
	s_wait_alu 0xfffd
	v_cndmask_b32_e32 v53, 0x7f800000, v49, vcc_lo
	s_wait_alu 0xf1ff
	v_cndmask_b32_e64 v51, 0x7f800000, v47, s3
	v_cndmask_b32_e64 v52, 0x7f800000, v48, s4
	s_delay_alu instid0(VALU_DEP_3) | instskip(NEXT) | instid1(VALU_DEP_3)
	v_cvt_f16_f32_e32 v48, v53
	v_cvt_f16_f32_e32 v46, v51
	s_delay_alu instid0(VALU_DEP_3) | instskip(NEXT) | instid1(VALU_DEP_3)
	v_cvt_f16_f32_e32 v47, v52
	v_pack_b32_f16 v48, v43, v48
	v_sub_f32_e32 v43, v161, v209
	s_delay_alu instid0(VALU_DEP_3) | instskip(NEXT) | instid1(VALU_DEP_2)
	v_pack_b32_f16 v49, v46, v47
	v_mul_f32_e32 v46, 0x3fb8aa3b, v43
	v_cmp_ngt_f32_e32 vcc_lo, 0xc2ce8ed0, v43
	s_delay_alu instid0(VALU_DEP_2) | instskip(SKIP_1) | instid1(VALU_DEP_1)
	v_fma_f32 v47, 0x3fb8aa3b, v43, -v46
	v_rndne_f32_e32 v54, v46
	v_dual_fmac_f32 v47, 0x32a5705f, v43 :: v_dual_sub_f32 v46, v46, v54
	v_cvt_i32_f32_e32 v54, v54
	s_delay_alu instid0(VALU_DEP_2) | instskip(NEXT) | instid1(VALU_DEP_1)
	v_dual_add_f32 v46, v46, v47 :: v_dual_sub_f32 v47, v160, v209
	v_exp_f32_e32 v46, v46
	s_delay_alu instid0(VALU_DEP_1) | instskip(SKIP_1) | instid1(VALU_DEP_2)
	v_mul_f32_e32 v55, 0x3fb8aa3b, v47
	v_cmp_ngt_f32_e64 s3, 0xc2ce8ed0, v47
	v_fma_f32 v56, 0x3fb8aa3b, v47, -v55
	v_rndne_f32_e32 v57, v55
	s_delay_alu instid0(TRANS32_DEP_1) | instskip(NEXT) | instid1(VALU_DEP_2)
	v_ldexp_f32 v46, v46, v54
	v_dual_fmac_f32 v56, 0x32a5705f, v47 :: v_dual_sub_f32 v55, v55, v57
	v_cvt_i32_f32_e32 v54, v57
	s_wait_alu 0xfffd
	s_delay_alu instid0(VALU_DEP_3) | instskip(SKIP_2) | instid1(VALU_DEP_1)
	v_cndmask_b32_e32 v46, 0, v46, vcc_lo
	v_cmp_nlt_f32_e32 vcc_lo, 0x42b17218, v43
	v_add_f32_e32 v55, v55, v56
	v_exp_f32_e32 v55, v55
	s_delay_alu instid0(TRANS32_DEP_1) | instskip(SKIP_3) | instid1(VALU_DEP_2)
	v_ldexp_f32 v54, v55, v54
	s_wait_alu 0xfffd
	v_cndmask_b32_e32 v55, 0x7f800000, v46, vcc_lo
	s_wait_alu 0xf1ff
	v_cndmask_b32_e64 v43, 0, v54, s3
	v_cmp_nlt_f32_e64 s3, 0x42b17218, v47
	s_delay_alu instid0(VALU_DEP_3) | instskip(SKIP_1) | instid1(VALU_DEP_2)
	v_cvt_f16_f32_e32 v46, v55
	s_wait_alu 0xf1ff
	v_cndmask_b32_e64 v54, 0x7f800000, v43, s3
	s_delay_alu instid0(VALU_DEP_1) | instskip(NEXT) | instid1(VALU_DEP_1)
	v_cvt_f16_f32_e32 v43, v54
	v_pack_b32_f16 v47, v43, v46
	v_sub_f32_e32 v43, v108, v209
	s_delay_alu instid0(VALU_DEP_1) | instskip(SKIP_1) | instid1(VALU_DEP_2)
	v_mul_f32_e32 v46, 0x3fb8aa3b, v43
	v_cmp_ngt_f32_e32 vcc_lo, 0xc2ce8ed0, v43
	v_fma_f32 v56, 0x3fb8aa3b, v43, -v46
	v_rndne_f32_e32 v57, v46
	s_delay_alu instid0(VALU_DEP_2) | instskip(NEXT) | instid1(VALU_DEP_2)
	v_fmac_f32_e32 v56, 0x32a5705f, v43
	v_sub_f32_e32 v46, v46, v57
	v_cvt_i32_f32_e32 v57, v57
	s_delay_alu instid0(VALU_DEP_2) | instskip(SKIP_1) | instid1(VALU_DEP_2)
	v_add_f32_e32 v46, v46, v56
	v_sub_f32_e32 v56, v68, v209
	v_exp_f32_e32 v46, v46
	s_delay_alu instid0(VALU_DEP_1) | instskip(SKIP_1) | instid1(VALU_DEP_2)
	v_mul_f32_e32 v58, 0x3fb8aa3b, v56
	v_cmp_ngt_f32_e64 s3, 0xc2ce8ed0, v56
	v_fma_f32 v59, 0x3fb8aa3b, v56, -v58
	v_rndne_f32_e32 v60, v58
	s_delay_alu instid0(TRANS32_DEP_1) | instskip(NEXT) | instid1(VALU_DEP_3)
	v_ldexp_f32 v46, v46, v57
	v_fmac_f32_e32 v59, 0x32a5705f, v56
	s_delay_alu instid0(VALU_DEP_3)
	v_sub_f32_e32 v58, v58, v60
	v_cvt_i32_f32_e32 v57, v60
	s_wait_alu 0xfffd
	v_cndmask_b32_e32 v46, 0, v46, vcc_lo
	v_cmp_nlt_f32_e32 vcc_lo, 0x42b17218, v43
	v_add_f32_e32 v58, v58, v59
	s_delay_alu instid0(VALU_DEP_1) | instskip(NEXT) | instid1(TRANS32_DEP_1)
	v_exp_f32_e32 v58, v58
	v_ldexp_f32 v57, v58, v57
	s_wait_alu 0xf1ff
	s_delay_alu instid0(VALU_DEP_1) | instskip(SKIP_4) | instid1(VALU_DEP_2)
	v_cndmask_b32_e64 v43, 0, v57, s3
	v_cmp_nlt_f32_e64 s3, 0x42b17218, v56
	s_wait_alu 0xfffd
	v_cndmask_b32_e32 v57, 0x7f800000, v46, vcc_lo
	s_wait_alu 0xf1ff
	v_cndmask_b32_e64 v56, 0x7f800000, v43, s3
	s_delay_alu instid0(VALU_DEP_2) | instskip(NEXT) | instid1(VALU_DEP_2)
	v_cvt_f16_f32_e32 v46, v57
	v_cvt_f16_f32_e32 v43, v56
	s_delay_alu instid0(VALU_DEP_1)
	v_pack_b32_f16 v46, v43, v46
	ds_load_u16 v43, v193 offset:8800
	ds_load_u16 v202, v193 offset:8832
	ds_load_u16_d16_hi v67, v193 offset:8752
	s_wait_dscnt 0x2
	ds_load_u16_d16_hi v43, v193 offset:8976
	s_wait_dscnt 0x2
	ds_load_u16_d16_hi v202, v193 offset:9008
	ds_load_u16_d16_hi v107, v193 offset:9040
	ds_load_u16 v68, v193 offset:8928
	ds_load_u16_d16_hi v102, v193 offset:8720
	s_wait_dscnt 0x1
	ds_load_u16_d16_hi v68, v193 offset:9104
	ds_load_u16_d16_hi v203, v193 offset:9360
	v_wmma_f16_16x16x16_f16 v[16:19], v[42:45], v[46:49], v[16:19]
	v_add_f32_e32 v42, v199, v200
	ds_load_u16 v108, v193 offset:9216
	s_wait_dscnt 0x0
	ds_load_u16_d16_hi v108, v193 offset:9392
	ds_load_u16_d16_hi v106, v193 offset:8688
	v_add_f32_e32 v42, v196, v42
	ds_load_u16_d16_hi v201, v193 offset:8656
	v_wmma_f16_16x16x16_f16 v[8:11], v[102:105], v[46:49], v[8:11]
	v_wmma_f16_16x16x16_f16 v[0:3], v[67:70], v[46:49], v[0:3]
	s_wait_loadcnt_dscnt 0x0
	v_add_f32_e32 v42, v197, v42
	s_barrier_signal -1
	s_barrier_wait -1
	global_inv scope:SCOPE_SE
	v_add_f32_e32 v42, v180, v42
	s_delay_alu instid0(VALU_DEP_1) | instskip(SKIP_1) | instid1(VALU_DEP_2)
	v_add_f32_e32 v42, v182, v42
	v_wmma_f16_16x16x16_f16 v[12:15], v[106:109], v[46:49], v[12:15]
	v_add_f32_e32 v42, v166, v42
	v_wmma_f16_16x16x16_f16 v[4:7], v[201:204], v[46:49], v[4:7]
	s_delay_alu instid0(VALU_DEP_2) | instskip(NEXT) | instid1(VALU_DEP_1)
	v_add_f32_e32 v42, v167, v42
	v_add_f32_e32 v42, v97, v42
	s_delay_alu instid0(VALU_DEP_1) | instskip(NEXT) | instid1(VALU_DEP_1)
	v_add_f32_e32 v42, v98, v42
	v_add_f32_e32 v42, v95, v42
	s_delay_alu instid0(VALU_DEP_1) | instskip(NEXT) | instid1(VALU_DEP_1)
	;; [unrolled: 3-line block ×7, first 2 shown]
	v_add_f32_e32 v40, v76, v40
	v_dual_add_f32 v40, v41, v40 :: v_dual_mov_b32 v41, v226
	s_delay_alu instid0(VALU_DEP_1) | instskip(NEXT) | instid1(VALU_DEP_1)
	v_add_f32_e32 v40, v75, v40
	v_add_f32_e32 v40, v56, v40
	s_delay_alu instid0(VALU_DEP_1) | instskip(NEXT) | instid1(VALU_DEP_1)
	v_add_f32_e32 v40, v57, v40
	v_add_f32_e32 v40, v54, v40
	;; [unrolled: 3-line block ×4, first 2 shown]
	s_delay_alu instid0(VALU_DEP_1) | instskip(NEXT) | instid1(VALU_DEP_1)
	v_add_f32_e32 v226, v52, v40
	v_fmac_f32_e32 v226, v41, v198
	s_cbranch_scc1 .LBB9_96
; %bb.97:                               ;   in Loop: Header=BB9_9 Depth=1
	s_clause 0x13
	scratch_load_b32 v160, off, off offset:76
	scratch_load_b32 v161, off, off offset:80
	;; [unrolled: 1-line block ×20, first 2 shown]
	s_branch .LBB9_100
.LBB9_98:                               ;   in Loop: Header=BB9_9 Depth=1
	s_mov_b32 s39, 0
                                        ; implicit-def: $vgpr1
                                        ; implicit-def: $vgpr215
	s_cbranch_execnz .LBB9_202
	s_branch .LBB9_391
.LBB9_99:                               ;   in Loop: Header=BB9_9 Depth=1
	v_dual_mov_b32 v3, 0 :: v_dual_mov_b32 v226, 0
	s_delay_alu instid0(VALU_DEP_1)
	v_dual_mov_b32 v209, 0xfeffffff :: v_dual_mov_b32 v2, v3
	v_dual_mov_b32 v1, v3 :: v_dual_mov_b32 v0, v3
	;; [unrolled: 1-line block ×10, first 2 shown]
.LBB9_100:                              ;   in Loop: Header=BB9_9 Depth=1
	s_lshl_b32 s4, s94, 6
	s_wait_loadcnt 0x9
	v_lshlrev_b32_e32 v42, 1, v196
	s_wait_alu 0xfffe
	s_ashr_i32 s5, s4, 31
	v_lshlrev_b64_e32 v[40:41], 1, v[139:140]
	s_wait_alu 0xfffe
	s_lshl_b64 s[0:1], s[4:5], 1
	v_lshlrev_b64_e32 v[44:45], 1, v[149:150]
	s_wait_alu 0xfffe
	s_add_nc_u64 s[0:1], s[80:81], s[0:1]
	v_lshlrev_b64_e32 v[46:47], 1, v[147:148]
	s_wait_alu 0xfffe
	v_add_co_u32 v56, s0, s0, v42
	s_wait_alu 0xf1ff
	v_add_co_ci_u32_e64 v57, null, s1, 0, s0
	v_lshlrev_b64_e32 v[42:43], 1, v[151:152]
	s_delay_alu instid0(VALU_DEP_3) | instskip(SKIP_1) | instid1(VALU_DEP_3)
	v_add_co_u32 v52, vcc_lo, v56, v40
	s_wait_alu 0xfffd
	v_add_co_ci_u32_e64 v53, null, v57, v41, vcc_lo
	v_lshlrev_b64_e32 v[40:41], 1, v[137:138]
	v_lshlrev_b64_e32 v[48:49], 1, v[145:146]
	;; [unrolled: 1-line block ×3, first 2 shown]
	s_mul_u64 s[0:1], s[26:27], s[4:5]
	v_add_nc_u32_e32 v88, v164, v161
	s_wait_alu 0xfffe
	s_lshl_b64 s[0:1], s[0:1], 2
	v_add_co_u32 v54, vcc_lo, v56, v40
	s_wait_alu 0xfffd
	v_add_co_ci_u32_e64 v55, null, v57, v41, vcc_lo
	v_lshlrev_b64_e32 v[40:41], 1, v[141:142]
	s_wait_alu 0xfffe
	s_add_nc_u64 s[0:1], s[78:79], s[0:1]
	v_add_nc_u32_e32 v108, v164, v162
	s_delay_alu instid0(VALU_DEP_2)
	v_add_co_u32 v40, vcc_lo, v56, v40
	s_wait_alu 0xfffd
	v_add_co_ci_u32_e64 v41, null, v57, v41, vcc_lo
	v_add_co_u32 v42, vcc_lo, v56, v42
	s_wait_alu 0xfffd
	v_add_co_ci_u32_e64 v43, null, v57, v43, vcc_lo
	;; [unrolled: 3-line block ×6, first 2 shown]
	s_clause 0x7
	global_load_b32 v52, v[52:53], off
	global_load_b32 v53, v[54:55], off
	;; [unrolled: 1-line block ×8, first 2 shown]
	v_add_nc_u32_e32 v46, v219, v231
	s_delay_alu instid0(VALU_DEP_1)
	v_add_nc_u32_e32 v47, 0x2c00, v46
	s_wait_loadcnt 0x6
	ds_store_2addr_b32 v47, v52, v53 offset1:144
	v_add_nc_u32_e32 v47, 0x3000, v46
	s_wait_loadcnt 0x4
	ds_store_2addr_b32 v47, v40, v41 offset0:32 offset1:176
	v_add_nc_u32_e32 v40, 0x3400, v46
	s_wait_loadcnt 0x2
	ds_store_2addr_b32 v40, v42, v43 offset0:64 offset1:208
	;; [unrolled: 3-line block ×3, first 2 shown]
	s_wait_alu 0xfffe
	v_add_co_u32 v40, vcc_lo, s0, v116
	s_wait_alu 0xfffd
	v_add_co_ci_u32_e64 v41, null, s1, v117, vcc_lo
	s_delay_alu instid0(VALU_DEP_2) | instskip(SKIP_1) | instid1(VALU_DEP_2)
	v_add_co_u32 v40, vcc_lo, v40, v220
	s_wait_alu 0xfffd
	v_add_co_ci_u32_e64 v41, null, 0, v41, vcc_lo
	v_add_co_u32 v42, vcc_lo, s0, v126
	s_wait_alu 0xfffd
	v_add_co_ci_u32_e64 v43, null, s1, v127, vcc_lo
	s_delay_alu instid0(VALU_DEP_2) | instskip(SKIP_1) | instid1(VALU_DEP_2)
	v_add_co_u32 v44, vcc_lo, v42, v221
	s_wait_alu 0xfffd
	v_add_co_ci_u32_e64 v45, null, 0, v43, vcc_lo
	s_clause 0x1
	global_load_b128 v[40:43], v[40:41], off offset:128
	global_load_b128 v[44:47], v[44:45], off
	s_wait_loadcnt 0x1
	ds_store_b128 v183, v[40:43]
	v_add_co_u32 v40, vcc_lo, s0, v128
	s_wait_alu 0xfffd
	v_add_co_ci_u32_e64 v41, null, s1, v129, vcc_lo
	s_delay_alu instid0(VALU_DEP_2) | instskip(SKIP_1) | instid1(VALU_DEP_2)
	v_add_co_u32 v40, vcc_lo, v40, v221
	s_wait_alu 0xfffd
	v_add_co_ci_u32_e64 v41, null, 0, v41, vcc_lo
	v_add_co_u32 v42, vcc_lo, s0, v130
	s_wait_alu 0xfffd
	v_add_co_ci_u32_e64 v43, null, s1, v131, vcc_lo
	s_delay_alu instid0(VALU_DEP_2) | instskip(SKIP_1) | instid1(VALU_DEP_2)
	v_add_co_u32 v48, vcc_lo, v42, v221
	s_wait_alu 0xfffd
	v_add_co_ci_u32_e64 v49, null, 0, v43, vcc_lo
	s_clause 0x1
	global_load_b128 v[40:43], v[40:41], off
	global_load_b128 v[48:51], v[48:49], off
	s_wait_loadcnt 0x2
	ds_store_b128 v184, v[44:47]
	s_wait_loadcnt 0x1
	ds_store_b128 v185, v[40:43]
	v_add_co_u32 v40, vcc_lo, s0, v132
	s_wait_alu 0xfffd
	v_add_co_ci_u32_e64 v41, null, s1, v133, vcc_lo
	s_mul_u64 s[0:1], s[34:35], s[4:5]
	v_add_co_u32 v40, vcc_lo, v40, v221
	s_wait_alu 0xfffd
	v_add_co_ci_u32_e64 v41, null, 0, v41, vcc_lo
	v_cmp_lt_i32_e32 vcc_lo, v112, v113
	s_wait_alu 0xfffe
	s_lshl_b64 s[0:1], s[0:1], 2
	s_cmp_eq_u64 s[74:75], 0
	global_load_b128 v[40:43], v[40:41], off
	s_wait_loadcnt 0x1
	ds_store_b128 v186, v[48:51]
	s_wait_loadcnt 0x0
	ds_store_b128 v189, v[40:43]
	s_wait_dscnt 0x0
	s_barrier_signal -1
	s_barrier_wait -1
	global_inv scope:SCOPE_SE
	ds_load_b128 v[48:51], v190
	ds_load_b128 v[52:55], v190 offset:32
	ds_load_b128 v[56:59], v190 offset:2816
	;; [unrolled: 1-line block ×9, first 2 shown]
	s_wait_alu 0xfffe
	s_add_nc_u64 s[0:1], s[76:77], s[0:1]
	s_wait_dscnt 0x9
	v_wmma_f32_16x16x16_f16 v[40:47], v[48:51], v[36:39], 0
	s_wait_dscnt 0x8
	s_delay_alu instid0(VALU_DEP_1) | instskip(SKIP_3) | instid1(VALU_DEP_1)
	v_wmma_f32_16x16x16_f16 v[40:47], v[52:55], v[32:35], v[40:47]
	s_wait_dscnt 0x7
	v_wmma_f32_16x16x16_f16 v[48:55], v[56:59], v[36:39], 0
	s_wait_dscnt 0x6
	v_wmma_f32_16x16x16_f16 v[48:55], v[60:63], v[32:35], v[48:55]
	s_wait_dscnt 0x3
	v_wmma_f32_16x16x16_f16 v[56:63], v[64:67], v[36:39], 0
	s_delay_alu instid0(VALU_DEP_2) | instskip(SKIP_1) | instid1(VALU_DEP_2)
	v_wmma_f32_16x16x16_f16 v[48:55], v[76:79], v[28:31], v[48:55]
	s_wait_dscnt 0x2
	v_wmma_f32_16x16x16_f16 v[56:63], v[68:71], v[32:35], v[56:63]
	s_wait_dscnt 0x1
	v_wmma_f32_16x16x16_f16 v[64:71], v[80:83], v[36:39], 0
	ds_load_b128 v[36:39], v190 offset:8480
	ds_load_b128 v[80:83], v190 offset:8512
	s_wait_dscnt 0x1
	v_wmma_f32_16x16x16_f16 v[64:71], v[36:39], v[32:35], v[64:71]
	ds_load_b128 v[32:35], v190 offset:64
	ds_load_b128 v[36:39], v190 offset:96
	s_wait_dscnt 0x2
	v_wmma_f32_16x16x16_f16 v[64:71], v[80:83], v[28:31], v[64:71]
	s_wait_dscnt 0x1
	v_wmma_f32_16x16x16_f16 v[40:47], v[32:35], v[28:31], v[40:47]
	ds_load_b128 v[32:35], v190 offset:5696
	ds_load_b128 v[76:79], v190 offset:5728
	s_wait_dscnt 0x2
	v_wmma_f32_16x16x16_f16 v[40:47], v[36:39], v[24:27], v[40:47]
	s_delay_alu instid0(VALU_DEP_1)
	v_wmma_f32_16x16x16_f16 v[40:47], v[72:75], v[20:23], v[40:47]
	s_wait_dscnt 0x1
	v_wmma_f32_16x16x16_f16 v[56:63], v[32:35], v[28:31], v[56:63]
	ds_load_b128 v[28:31], v190 offset:2912
	ds_load_b128 v[32:35], v190 offset:2944
	s_wait_dscnt 0x2
	v_wmma_f32_16x16x16_f16 v[56:63], v[76:79], v[24:27], v[56:63]
	s_delay_alu instid0(VALU_DEP_1)
	v_wmma_f32_16x16x16_f16 v[56:63], v[84:87], v[20:23], v[56:63]
	s_wait_dscnt 0x1
	v_wmma_f32_16x16x16_f16 v[48:55], v[28:31], v[24:27], v[48:55]
	ds_load_b128 v[28:31], v190 offset:8544
	ds_load_b128 v[36:39], v190 offset:8576
	s_wait_loadcnt_dscnt 0x0
	s_barrier_signal -1
	s_barrier_wait -1
	v_wmma_f32_16x16x16_f16 v[48:55], v[32:35], v[20:23], v[48:55]
	global_inv scope:SCOPE_SE
	v_add_nc_u32_e32 v35, 0x2c00, v235
	v_wmma_f32_16x16x16_f16 v[64:71], v[28:31], v[24:27], v[64:71]
	s_delay_alu instid0(VALU_DEP_1)
	v_wmma_f32_16x16x16_f16 v[64:71], v[36:39], v[20:23], v[64:71]
	v_add_nc_u32_e32 v20, 0x2c00, v191
	v_add_nc_u32_e32 v22, 0x2c00, v232
	;; [unrolled: 1-line block ×3, first 2 shown]
	ds_load_2addr_b32 v[20:21], v20 offset1:1
	ds_load_2addr_b32 v[26:27], v22 offset1:1
	ds_load_b32 v22, v192 offset:11264
	ds_load_b32 v24, v191 offset:11272
	s_wait_dscnt 0x3
	v_cvt_f32_f16_e32 v23, v20
	v_lshrrev_b32_e32 v20, 16, v20
	s_wait_dscnt 0x0
	v_cvt_f32_f16_e32 v28, v24
	v_lshrrev_b32_e32 v24, 16, v24
	v_lshrrev_b32_e32 v29, 16, v22
	v_cvt_f32_f16_e32 v22, v22
	v_cvt_f32_f16_e32 v30, v20
	v_add_f32_e32 v33, v44, v28
	v_cvt_f32_f16_e32 v32, v24
	v_cvt_f32_f16_e32 v34, v29
	;; [unrolled: 1-line block ×3, first 2 shown]
	v_add_f32_e32 v24, v41, v30
	v_lshrrev_b32_e32 v30, 16, v26
	v_add_nc_u32_e32 v26, 0x2c00, v233
	v_cvt_f32_f16_e32 v25, v21
	v_lshrrev_b32_e32 v21, 16, v21
	v_dual_add_f32 v20, v40, v23 :: v_dual_add_f32 v23, v46, v22
	v_add_f32_e32 v22, v47, v34
	v_cvt_f32_f16_e32 v37, v27
	v_lshrrev_b32_e32 v34, 16, v27
	ds_load_2addr_b32 v[26:27], v26 offset1:1
	v_cvt_f32_f16_e32 v31, v21
	v_add_f32_e32 v21, v42, v25
	v_cvt_f32_f16_e32 v40, v30
	v_add_f32_e32 v29, v45, v32
	;; [unrolled: 2-line block ×3, first 2 shown]
	s_delay_alu instid0(VALU_DEP_4)
	v_dual_add_f32 v34, v49, v40 :: v_dual_add_nc_u32 v31, 0x2c00, v234
	ds_load_2addr_b32 v[31:32], v31 offset1:1
	ds_load_2addr_b32 v[35:36], v35 offset1:1
	;; [unrolled: 1-line block ×3, first 2 shown]
	v_add_f32_e32 v30, v48, v28
	s_wait_dscnt 0x3
	v_cvt_f32_f16_e32 v39, v26
	v_lshrrev_b32_e32 v26, 16, v26
	v_lshrrev_b32_e32 v38, 16, v27
	v_cvt_f32_f16_e32 v27, v27
	s_delay_alu instid0(VALU_DEP_4) | instskip(NEXT) | instid1(VALU_DEP_4)
	v_add_f32_e32 v52, v52, v39
	v_cvt_f32_f16_e32 v26, v26
	s_delay_alu instid0(VALU_DEP_4) | instskip(NEXT) | instid1(VALU_DEP_4)
	v_cvt_f32_f16_e32 v42, v38
	v_add_f32_e32 v43, v54, v27
	s_wait_dscnt 0x2
	v_lshrrev_b32_e32 v27, 16, v31
	v_add_f32_e32 v44, v53, v26
	v_cvt_f32_f16_e32 v26, v31
	v_cvt_f32_f16_e32 v28, v32
	v_lshrrev_b32_e32 v31, 16, v32
	s_wait_dscnt 0x1
	v_cvt_f32_f16_e32 v32, v35
	v_add_f32_e32 v38, v50, v37
	v_lshrrev_b32_e32 v35, 16, v35
	v_lshrrev_b32_e32 v37, 16, v36
	s_wait_dscnt 0x0
	v_cvt_f32_f16_e32 v47, v46
	v_add_f32_e32 v40, v51, v41
	v_cvt_f32_f16_e32 v41, v36
	v_cvt_f32_f16_e32 v35, v35
	;; [unrolled: 1-line block ×3, first 2 shown]
	v_add_f32_e32 v39, v60, v32
	v_lshrrev_b32_e32 v48, 16, v46
	v_cvt_f32_f16_e32 v27, v27
	v_dual_add_f32 v36, v61, v35 :: v_dual_add_f32 v35, v62, v41
	v_add_f32_e32 v32, v63, v37
	v_cvt_f32_f16_e32 v37, v45
	v_lshrrev_b32_e32 v41, 16, v45
	v_add_nc_u32_e32 v45, 0x2c00, v237
	v_add_f32_e32 v27, v57, v27
	v_cvt_f32_f16_e32 v48, v48
	v_add_f32_e32 v90, v64, v37
	v_cvt_f32_f16_e32 v41, v41
	ds_load_2addr_b32 v[45:46], v45 offset1:1
	v_dual_add_f32 v42, v55, v42 :: v_dual_add_f32 v37, 0x40051340, v20
	v_dual_add_f32 v94, v67, v48 :: v_dual_add_f32 v91, v65, v41
	v_add_f32_e32 v41, 0x40051340, v24
	v_add_f32_e32 v93, v66, v47
	v_cvt_f32_f16_e32 v31, v31
	s_delay_alu instid0(VALU_DEP_3) | instskip(SKIP_1) | instid1(VALU_DEP_3)
	v_max3_num_f32 v37, v209, v37, v41
	v_add_f32_e32 v41, 0x40051340, v21
	v_add_f32_e32 v31, v59, v31
	s_wait_dscnt 0x0
	v_cvt_f32_f16_e32 v49, v45
	v_lshrrev_b32_e32 v45, 16, v45
	v_lshrrev_b32_e32 v50, 16, v46
	v_cvt_f32_f16_e32 v46, v46
	s_delay_alu instid0(VALU_DEP_4) | instskip(NEXT) | instid1(VALU_DEP_4)
	v_add_f32_e32 v98, v68, v49
	v_cvt_f32_f16_e32 v45, v45
	v_add_f32_e32 v26, v56, v26
	s_delay_alu instid0(VALU_DEP_4) | instskip(SKIP_1) | instid1(VALU_DEP_4)
	v_add_f32_e32 v96, v70, v46
	v_cvt_f32_f16_e32 v50, v50
	v_dual_add_f32 v28, v58, v28 :: v_dual_add_f32 v97, v69, v45
	v_add_f32_e32 v45, 0x40051340, v25
	s_delay_alu instid0(VALU_DEP_3) | instskip(NEXT) | instid1(VALU_DEP_2)
	v_add_f32_e32 v95, v71, v50
	v_max3_num_f32 v37, v37, v41, v45
	v_add_f32_e32 v41, 0x40051340, v33
	v_add_f32_e32 v45, 0x40051340, v29
	s_delay_alu instid0(VALU_DEP_1) | instskip(SKIP_2) | instid1(VALU_DEP_1)
	v_max3_num_f32 v37, v37, v41, v45
	v_add_f32_e32 v41, 0x40051340, v23
	v_add_f32_e32 v45, 0x40051340, v22
	v_max3_num_f32 v37, v37, v41, v45
	v_add_f32_e32 v41, 0x40051340, v30
	v_add_f32_e32 v45, 0x40051340, v34
	s_delay_alu instid0(VALU_DEP_1) | instskip(SKIP_2) | instid1(VALU_DEP_1)
	v_max3_num_f32 v37, v37, v41, v45
	v_add_f32_e32 v41, 0x40051340, v38
	;; [unrolled: 7-line block ×7, first 2 shown]
	v_add_f32_e32 v45, 0x40051340, v95
	v_max3_num_f32 v37, v37, v41, v45
	s_wait_alu 0xfffd
	v_cndmask_b32_e32 v41, v225, v112, vcc_lo
	s_delay_alu instid0(VALU_DEP_1) | instskip(SKIP_3) | instid1(VALU_DEP_1)
	v_lshlrev_b32_e32 v92, 2, v41
	ds_bpermute_b32 v41, v92, v37
	s_wait_dscnt 0x0
	v_max_num_f32_e32 v41, v41, v41
	v_max_num_f32_e32 v89, v37, v41
	s_delay_alu instid0(VALU_DEP_1) | instskip(SKIP_3) | instid1(VALU_DEP_4)
	v_sub_f32_e32 v37, v209, v89
	v_sub_f32_e32 v33, v33, v89
	;; [unrolled: 1-line block ×4, first 2 shown]
	v_mul_f32_e32 v41, 0x3fb8aa3b, v37
	v_cmp_ngt_f32_e32 vcc_lo, 0xc2ce8ed0, v37
	v_cmp_ngt_f32_e64 s5, 0xc2ce8ed0, v33
	s_delay_alu instid0(VALU_DEP_4) | instskip(NEXT) | instid1(VALU_DEP_4)
	v_cmp_ngt_f32_e64 s3, 0xc2ce8ed0, v23
	v_fma_f32 v45, 0x3fb8aa3b, v37, -v41
	v_rndne_f32_e32 v46, v41
	s_delay_alu instid0(VALU_DEP_2) | instskip(NEXT) | instid1(VALU_DEP_2)
	v_fmac_f32_e32 v45, 0x32a5705f, v37
	v_sub_f32_e32 v41, v41, v46
	s_delay_alu instid0(VALU_DEP_1) | instskip(SKIP_1) | instid1(VALU_DEP_2)
	v_add_f32_e32 v41, v41, v45
	v_cvt_i32_f32_e32 v45, v46
	v_exp_f32_e32 v41, v41
	s_delay_alu instid0(TRANS32_DEP_1) | instskip(SKIP_1) | instid1(VALU_DEP_1)
	v_ldexp_f32 v41, v41, v45
	s_wait_alu 0xfffd
	v_cndmask_b32_e32 v41, 0, v41, vcc_lo
	v_cmp_nlt_f32_e32 vcc_lo, 0x42b17218, v37
	s_wait_alu 0xfffd
	s_delay_alu instid0(VALU_DEP_2) | instskip(SKIP_2) | instid1(VALU_DEP_2)
	v_cndmask_b32_e32 v41, 0x7f800000, v41, vcc_lo
	v_cmp_le_f32_e32 vcc_lo, 0xc1a00000, v37
	s_wait_alu 0xfffd
	v_cndmask_b32_e32 v99, 0, v41, vcc_lo
	s_delay_alu instid0(VALU_DEP_1) | instskip(NEXT) | instid1(VALU_DEP_1)
	v_cvt_f16_f32_e32 v37, v99
	v_and_b32_e32 v37, 0xffff, v37
	s_delay_alu instid0(VALU_DEP_1) | instskip(NEXT) | instid1(VALU_DEP_1)
	v_mul_u32_u24_e32 v37, 0x10001, v37
	v_pk_mul_f16 v16, v16, v37
	v_pk_mul_f16 v17, v17, v37
	;; [unrolled: 1-line block ×20, first 2 shown]
	s_wait_alu 0xfffe
	v_add_co_u32 v37, vcc_lo, s0, v114
	s_wait_alu 0xfffd
	v_add_co_ci_u32_e64 v41, null, s1, v115, vcc_lo
	s_delay_alu instid0(VALU_DEP_2) | instskip(SKIP_1) | instid1(VALU_DEP_2)
	v_add_co_u32 v45, vcc_lo, v37, v220
	s_wait_alu 0xfffd
	v_add_co_ci_u32_e64 v46, null, 0, v41, vcc_lo
	v_add_co_u32 v37, vcc_lo, s0, v118
	s_wait_alu 0xfffd
	v_add_co_ci_u32_e64 v41, null, s1, v119, vcc_lo
	s_delay_alu instid0(VALU_DEP_2) | instskip(SKIP_1) | instid1(VALU_DEP_2)
	v_add_co_u32 v49, vcc_lo, v37, v221
	s_wait_alu 0xfffd
	v_add_co_ci_u32_e64 v50, null, 0, v41, vcc_lo
	s_clause 0x1
	global_load_b128 v[45:48], v[45:46], off offset:128
	global_load_b128 v[53:56], v[49:50], off
	v_add_co_u32 v37, vcc_lo, s0, v120
	s_wait_alu 0xfffd
	v_add_co_ci_u32_e64 v41, null, s1, v121, vcc_lo
	s_wait_loadcnt 0x1
	ds_store_b128 v183, v[45:48]
	v_add_co_u32 v45, vcc_lo, v37, v221
	s_wait_alu 0xfffd
	v_add_co_ci_u32_e64 v46, null, 0, v41, vcc_lo
	v_add_co_u32 v37, vcc_lo, s0, v122
	s_wait_alu 0xfffd
	v_add_co_ci_u32_e64 v41, null, s1, v123, vcc_lo
	s_delay_alu instid0(VALU_DEP_2) | instskip(SKIP_1) | instid1(VALU_DEP_2)
	v_add_co_u32 v49, vcc_lo, v37, v221
	s_wait_alu 0xfffd
	v_add_co_ci_u32_e64 v50, null, 0, v41, vcc_lo
	s_clause 0x1
	global_load_b128 v[45:48], v[45:46], off
	global_load_b128 v[57:60], v[49:50], off
	v_add_co_u32 v37, vcc_lo, s0, v124
	s_wait_alu 0xfffd
	v_add_co_ci_u32_e64 v41, null, s1, v125, vcc_lo
	s_wait_loadcnt 0x2
	ds_store_b128 v184, v[53:56]
	s_wait_loadcnt 0x1
	ds_store_b128 v185, v[45:48]
	v_add_co_u32 v45, vcc_lo, v37, v221
	s_wait_alu 0xfffd
	v_add_co_ci_u32_e64 v46, null, 0, v41, vcc_lo
	v_mul_f32_e32 v37, 0x3fb8aa3b, v33
	v_cmp_ngt_f32_e32 vcc_lo, 0xc2ce8ed0, v29
	global_load_b128 v[45:48], v[45:46], off
	s_wait_loadcnt 0x1
	ds_store_b128 v186, v[57:60]
	s_wait_loadcnt 0x0
	ds_store_b128 v189, v[45:48]
	v_fma_f32 v41, 0x3fb8aa3b, v33, -v37
	v_rndne_f32_e32 v45, v37
	s_wait_dscnt 0x0
	s_barrier_signal -1
	s_barrier_wait -1
	v_fmac_f32_e32 v41, 0x32a5705f, v33
	v_sub_f32_e32 v37, v37, v45
	v_cvt_i32_f32_e32 v45, v45
	global_inv scope:SCOPE_SE
	v_add_f32_e32 v37, v37, v41
	v_mul_f32_e32 v41, 0x3fb8aa3b, v29
	s_delay_alu instid0(VALU_DEP_2) | instskip(NEXT) | instid1(VALU_DEP_1)
	v_exp_f32_e32 v37, v37
	v_fma_f32 v46, 0x3fb8aa3b, v29, -v41
	v_rndne_f32_e32 v47, v41
	s_delay_alu instid0(VALU_DEP_1) | instskip(NEXT) | instid1(TRANS32_DEP_1)
	v_dual_fmac_f32 v46, 0x32a5705f, v29 :: v_dual_sub_f32 v41, v41, v47
	v_ldexp_f32 v37, v37, v45
	v_cvt_i32_f32_e32 v45, v47
	s_delay_alu instid0(VALU_DEP_3) | instskip(NEXT) | instid1(VALU_DEP_1)
	v_dual_add_f32 v41, v41, v46 :: v_dual_mul_f32 v46, 0x3fb8aa3b, v23
	v_exp_f32_e32 v41, v41
	s_delay_alu instid0(VALU_DEP_1) | instskip(SKIP_1) | instid1(VALU_DEP_2)
	v_fma_f32 v48, 0x3fb8aa3b, v23, -v46
	v_rndne_f32_e32 v49, v46
	v_fmac_f32_e32 v48, 0x32a5705f, v23
	s_delay_alu instid0(VALU_DEP_2) | instskip(SKIP_2) | instid1(TRANS32_DEP_1)
	v_sub_f32_e32 v46, v46, v49
	v_sub_f32_e32 v22, v22, v89
	;; [unrolled: 1-line block ×3, first 2 shown]
	v_ldexp_f32 v41, v41, v45
	s_delay_alu instid0(VALU_DEP_4) | instskip(NEXT) | instid1(VALU_DEP_4)
	v_dual_sub_f32 v21, v21, v89 :: v_dual_add_f32 v46, v46, v48
	v_mul_f32_e32 v48, 0x3fb8aa3b, v22
	v_cmp_ngt_f32_e64 s4, 0xc2ce8ed0, v22
	s_wait_alu 0xfffd
	v_cndmask_b32_e32 v41, 0, v41, vcc_lo
	v_cmp_nlt_f32_e32 vcc_lo, 0x42b17218, v29
	v_exp_f32_e32 v45, v46
	v_fma_f32 v50, 0x3fb8aa3b, v22, -v48
	v_rndne_f32_e32 v51, v48
	v_cvt_i32_f32_e32 v46, v49
	s_wait_alu 0xfffd
	v_cndmask_b32_e32 v103, 0x7f800000, v41, vcc_lo
	v_sub_f32_e32 v32, v32, v89
	v_fmac_f32_e32 v50, 0x32a5705f, v22
	v_sub_f32_e32 v48, v48, v51
	v_cvt_i32_f32_e32 v47, v51
	v_cmp_ngt_f32_e32 vcc_lo, 0xc2ce8ed0, v25
	v_ldexp_f32 v45, v45, v46
	v_sub_f32_e32 v24, v24, v89
	v_add_f32_e32 v48, v48, v50
	v_sub_f32_e32 v20, v20, v89
	v_sub_f32_e32 v28, v28, v89
	s_wait_alu 0xf1ff
	v_cndmask_b32_e64 v29, 0, v45, s3
	v_cmp_nlt_f32_e64 s3, 0x42b17218, v23
	v_exp_f32_e32 v46, v48
	v_sub_f32_e32 v43, v43, v89
	v_sub_f32_e32 v42, v42, v89
	v_sub_f32_e32 v38, v38, v89
	s_wait_alu 0xf1ff
	v_cndmask_b32_e64 v100, 0x7f800000, v29, s3
	v_cvt_f16_f32_e32 v29, v103
	v_cmp_ngt_f32_e64 s3, 0xc2ce8ed0, v21
	v_sub_f32_e32 v30, v30, v89
	v_sub_f32_e32 v26, v26, v89
	v_ldexp_f32 v46, v46, v47
	s_delay_alu instid0(VALU_DEP_1)
	v_cndmask_b32_e64 v23, 0, v46, s4
	v_cmp_nlt_f32_e64 s4, 0x42b17218, v22
	v_cndmask_b32_e64 v22, 0, v37, s5
	v_cmp_nlt_f32_e64 s5, 0x42b17218, v33
	ds_load_u16 v46, v193 offset:128
	ds_load_u16 v49, v88 offset:128
	;; [unrolled: 1-line block ×7, first 2 shown]
	s_wait_alu 0xf1ff
	v_cndmask_b32_e64 v101, 0x7f800000, v23, s4
	v_cvt_f16_f32_e32 v23, v100
	v_cndmask_b32_e64 v102, 0x7f800000, v22, s5
	v_cmp_ngt_f32_e64 s4, 0xc2ce8ed0, v42
	s_delay_alu instid0(VALU_DEP_4) | instskip(NEXT) | instid1(VALU_DEP_3)
	v_cvt_f16_f32_e32 v33, v101
	v_cvt_f16_f32_e32 v22, v102
	s_delay_alu instid0(VALU_DEP_2) | instskip(NEXT) | instid1(VALU_DEP_2)
	v_pack_b32_f16 v23, v23, v33
	v_pack_b32_f16 v22, v22, v29
	v_mul_f32_e32 v29, 0x3fb8aa3b, v25
	s_wait_dscnt 0x6
	ds_load_u16_d16_hi v46, v193 offset:304
	ds_load_u16 v57, v88 offset:2816
	ds_load_u16 v53, v88 offset:2848
	ds_load_u16 v81, v88 offset:64
	s_wait_dscnt 0x9
	ds_load_u16_d16_hi v49, v108 offset:128
	s_wait_dscnt 0x3
	ds_load_u16_d16_hi v57, v108 offset:2816
	;; [unrolled: 2-line block ×3, first 2 shown]
	ds_load_u16 v80, v193 offset:768
	ds_load_u16 v72, v193 offset:800
	;; [unrolled: 1-line block ×4, first 2 shown]
	v_fma_f32 v33, 0x3fb8aa3b, v25, -v29
	v_rndne_f32_e32 v37, v29
	s_delay_alu instid0(VALU_DEP_2) | instskip(NEXT) | instid1(VALU_DEP_2)
	v_fmac_f32_e32 v33, 0x32a5705f, v25
	v_sub_f32_e32 v29, v29, v37
	v_cvt_i32_f32_e32 v37, v37
	s_delay_alu instid0(VALU_DEP_2) | instskip(SKIP_1) | instid1(VALU_DEP_2)
	v_add_f32_e32 v29, v29, v33
	v_mul_f32_e32 v33, 0x3fb8aa3b, v21
	v_exp_f32_e32 v29, v29
	s_delay_alu instid0(VALU_DEP_1) | instskip(SKIP_1) | instid1(VALU_DEP_2)
	v_fma_f32 v41, 0x3fb8aa3b, v21, -v33
	v_rndne_f32_e32 v45, v33
	v_fmac_f32_e32 v41, 0x32a5705f, v21
	s_delay_alu instid0(VALU_DEP_2) | instskip(NEXT) | instid1(TRANS32_DEP_1)
	v_sub_f32_e32 v33, v33, v45
	v_ldexp_f32 v29, v29, v37
	v_cvt_i32_f32_e32 v37, v45
	s_delay_alu instid0(VALU_DEP_3) | instskip(SKIP_1) | instid1(VALU_DEP_3)
	v_add_f32_e32 v33, v33, v41
	s_wait_alu 0xfffd
	v_cndmask_b32_e32 v29, 0, v29, vcc_lo
	v_cmp_nlt_f32_e32 vcc_lo, 0x42b17218, v25
	s_delay_alu instid0(VALU_DEP_3) | instskip(SKIP_1) | instid1(VALU_DEP_2)
	v_exp_f32_e32 v33, v33
	s_wait_alu 0xfffd
	v_cndmask_b32_e32 v105, 0x7f800000, v29, vcc_lo
	v_cmp_ngt_f32_e32 vcc_lo, 0xc2ce8ed0, v24
	v_sub_f32_e32 v35, v35, v89
	s_delay_alu instid0(TRANS32_DEP_1) | instskip(NEXT) | instid1(VALU_DEP_1)
	v_ldexp_f32 v33, v33, v37
	v_cndmask_b32_e64 v25, 0, v33, s3
	v_cmp_nlt_f32_e64 s3, 0x42b17218, v21
	s_wait_alu 0xf1ff
	s_delay_alu instid0(VALU_DEP_1) | instskip(SKIP_2) | instid1(VALU_DEP_3)
	v_cndmask_b32_e64 v104, 0x7f800000, v25, s3
	v_cvt_f16_f32_e32 v25, v105
	v_cmp_ngt_f32_e64 s3, 0xc2ce8ed0, v20
	v_cvt_f16_f32_e32 v21, v104
	s_delay_alu instid0(VALU_DEP_1) | instskip(SKIP_1) | instid1(VALU_DEP_1)
	v_pack_b32_f16 v21, v21, v25
	v_mul_f32_e32 v25, 0x3fb8aa3b, v24
	v_fma_f32 v29, 0x3fb8aa3b, v24, -v25
	v_rndne_f32_e32 v33, v25
	s_delay_alu instid0(VALU_DEP_2) | instskip(NEXT) | instid1(VALU_DEP_2)
	v_fmac_f32_e32 v29, 0x32a5705f, v24
	v_sub_f32_e32 v25, v25, v33
	v_cvt_i32_f32_e32 v33, v33
	s_delay_alu instid0(VALU_DEP_2) | instskip(SKIP_1) | instid1(VALU_DEP_2)
	v_add_f32_e32 v25, v25, v29
	v_mul_f32_e32 v29, 0x3fb8aa3b, v20
	v_exp_f32_e32 v25, v25
	s_delay_alu instid0(VALU_DEP_1) | instskip(SKIP_1) | instid1(VALU_DEP_2)
	v_fma_f32 v37, 0x3fb8aa3b, v20, -v29
	v_rndne_f32_e32 v41, v29
	v_fmac_f32_e32 v37, 0x32a5705f, v20
	s_delay_alu instid0(VALU_DEP_2) | instskip(NEXT) | instid1(TRANS32_DEP_1)
	v_sub_f32_e32 v29, v29, v41
	v_ldexp_f32 v25, v25, v33
	v_cvt_i32_f32_e32 v33, v41
	s_delay_alu instid0(VALU_DEP_3) | instskip(SKIP_1) | instid1(VALU_DEP_3)
	v_add_f32_e32 v29, v29, v37
	s_wait_alu 0xfffd
	v_cndmask_b32_e32 v25, 0, v25, vcc_lo
	v_cmp_nlt_f32_e32 vcc_lo, 0x42b17218, v24
	s_delay_alu instid0(VALU_DEP_3) | instskip(SKIP_1) | instid1(VALU_DEP_2)
	v_exp_f32_e32 v29, v29
	s_wait_alu 0xfffd
	v_cndmask_b32_e32 v107, 0x7f800000, v25, vcc_lo
	s_delay_alu instid0(TRANS32_DEP_1) | instskip(SKIP_1) | instid1(VALU_DEP_1)
	v_ldexp_f32 v29, v29, v33
	s_wait_alu 0xf1ff
	v_cndmask_b32_e64 v24, 0, v29, s3
	v_cmp_nlt_f32_e64 s3, 0x42b17218, v20
	s_wait_dscnt 0x0
	ds_load_u16_d16_hi v61, v108 offset:2880
	ds_load_u16_d16_hi v47, v193 offset:656
	ds_load_u16 v84, v193 offset:736
	ds_load_u16_d16_hi v80, v193 offset:944
	ds_load_u16_d16_hi v72, v193 offset:976
	ds_load_u16 v54, v193 offset:2816
	ds_load_u16 v58, v193 offset:2880
	ds_load_u16 v66, v193 offset:2944
	ds_load_u16_d16_hi v76, v193 offset:880
	ds_load_u16_d16_hi v48, v193 offset:1008
	ds_load_u16 v69, v88 offset:2944
	ds_load_u16 v45, v88 offset:5632
	;; [unrolled: 1-line block ×8, first 2 shown]
	s_wait_dscnt 0x0
	ds_load_u16_d16_hi v65, v108 offset:2912
	ds_load_u16_d16_hi v69, v108 offset:2944
	;; [unrolled: 1-line block ×5, first 2 shown]
	ds_load_u16 v83, v193 offset:384
	ds_load_u16_d16_hi v70, v193 offset:272
	ds_load_u16_d16_hi v71, v193 offset:624
	ds_load_u16 v50, v193 offset:2848
	ds_load_u16_d16_hi v66, v193 offset:3120
	ds_load_u16 v62, v193 offset:2912
	ds_load_u16 v51, v193 offset:3200
	ds_load_u16_d16_hi v54, v193 offset:2992
	s_wait_alu 0xf1ff
	v_cndmask_b32_e64 v106, 0x7f800000, v24, s3
	v_cvt_f16_f32_e32 v24, v107
	v_cmp_ngt_f32_e64 s3, 0xc2ce8ed0, v43
	s_delay_alu instid0(VALU_DEP_3) | instskip(NEXT) | instid1(VALU_DEP_1)
	v_cvt_f16_f32_e32 v20, v106
	v_pack_b32_f16 v20, v20, v24
	s_delay_alu instid0(VALU_DEP_1)
	v_wmma_f16_16x16x16_f16 v[0:3], v[46:49], v[20:23], v[0:3]
	ds_load_u16 v48, v193 offset:9280
	ds_load_u16 v24, v193 offset:9152
	;; [unrolled: 1-line block ×4, first 2 shown]
	ds_load_u16 v77, v88
	ds_load_u16 v74, v193
	ds_load_u16 v82, v193 offset:32
	ds_load_u16 v78, v193 offset:64
	;; [unrolled: 1-line block ×3, first 2 shown]
	s_wait_dscnt 0x6
	ds_load_u16_d16_hi v86, v193 offset:9072
	ds_load_u16 v85, v88 offset:32
	ds_load_u16 v73, v88 offset:96
	ds_load_u16_d16_hi v48, v193 offset:9456
	ds_load_u16_d16_hi v24, v193 offset:9328
	ds_load_u16 v139, v193 offset:9184
	s_wait_dscnt 0xb
	ds_load_u16_d16_hi v87, v193 offset:9424
	s_wait_dscnt 0xb
	ds_load_u16_d16_hi v77, v108
	s_wait_dscnt 0xb
	ds_load_u16_d16_hi v74, v193 offset:176
	s_wait_dscnt 0xb
	ds_load_u16_d16_hi v82, v193 offset:208
	;; [unrolled: 2-line block ×4, first 2 shown]
	ds_load_u16_d16_hi v81, v108 offset:64
	s_wait_dscnt 0xa
	ds_load_u16_d16_hi v73, v108 offset:96
	ds_load_u16 v49, v88 offset:8576
	ds_load_u16 v79, v193 offset:416
	ds_load_u16_d16_hi v84, v193 offset:912
	ds_load_u16_d16_hi v83, v193 offset:560
	s_wait_dscnt 0x9
	v_wmma_f16_16x16x16_f16 v[16:19], v[74:77], v[20:23], v[16:19]
	s_wait_dscnt 0x2
	ds_load_u16_d16_hi v79, v193 offset:592
	v_wmma_f16_16x16x16_f16 v[8:11], v[70:73], v[20:23], v[8:11]
	s_wait_dscnt 0x1
	v_wmma_f16_16x16x16_f16 v[4:7], v[82:85], v[20:23], v[4:7]
	s_wait_dscnt 0x0
	v_wmma_f16_16x16x16_f16 v[12:15], v[78:81], v[20:23], v[12:15]
	v_sub_f32_e32 v20, v52, v89
	s_delay_alu instid0(VALU_DEP_1) | instskip(SKIP_1) | instid1(VALU_DEP_2)
	v_mul_f32_e32 v21, 0x3fb8aa3b, v20
	v_cmp_ngt_f32_e64 s5, 0xc2ce8ed0, v20
	v_fma_f32 v22, 0x3fb8aa3b, v20, -v21
	v_rndne_f32_e32 v23, v21
	s_delay_alu instid0(VALU_DEP_1) | instskip(SKIP_1) | instid1(VALU_DEP_2)
	v_dual_fmac_f32 v22, 0x32a5705f, v20 :: v_dual_sub_f32 v21, v21, v23
	v_cvt_i32_f32_e32 v23, v23
	v_dual_add_f32 v21, v21, v22 :: v_dual_sub_f32 v22, v44, v89
	s_delay_alu instid0(VALU_DEP_1) | instskip(NEXT) | instid1(VALU_DEP_1)
	v_exp_f32_e32 v21, v21
	v_mul_f32_e32 v44, 0x3fb8aa3b, v22
	v_cmp_ngt_f32_e32 vcc_lo, 0xc2ce8ed0, v22
	s_delay_alu instid0(VALU_DEP_2) | instskip(SKIP_1) | instid1(TRANS32_DEP_1)
	v_fma_f32 v46, 0x3fb8aa3b, v22, -v44
	v_rndne_f32_e32 v47, v44
	v_ldexp_f32 v21, v21, v23
	s_delay_alu instid0(VALU_DEP_3) | instskip(NEXT) | instid1(VALU_DEP_3)
	v_fmac_f32_e32 v46, 0x32a5705f, v22
	v_sub_f32_e32 v44, v44, v47
	s_wait_alu 0xf1ff
	s_delay_alu instid0(VALU_DEP_3) | instskip(SKIP_1) | instid1(VALU_DEP_3)
	v_cndmask_b32_e64 v21, 0, v21, s5
	v_cmp_nlt_f32_e64 s5, 0x42b17218, v20
	v_add_f32_e32 v44, v44, v46
	v_mul_f32_e32 v46, 0x3fb8aa3b, v43
	s_wait_alu 0xf1ff
	s_delay_alu instid0(VALU_DEP_3) | instskip(NEXT) | instid1(VALU_DEP_3)
	v_cndmask_b32_e64 v70, 0x7f800000, v21, s5
	v_exp_f32_e32 v23, v44
	s_delay_alu instid0(VALU_DEP_2) | instskip(SKIP_3) | instid1(VALU_DEP_4)
	v_fma_f32 v52, 0x3fb8aa3b, v43, -v46
	v_rndne_f32_e32 v55, v46
	v_cvt_i32_f32_e32 v44, v47
	v_cvt_f16_f32_e32 v20, v70
	v_fmac_f32_e32 v52, 0x32a5705f, v43
	s_delay_alu instid0(VALU_DEP_4)
	v_sub_f32_e32 v46, v46, v55
	s_delay_alu instid0(TRANS32_DEP_1) | instid1(VALU_DEP_4)
	v_ldexp_f32 v23, v23, v44
	s_delay_alu instid0(VALU_DEP_2) | instskip(SKIP_1) | instid1(VALU_DEP_2)
	v_add_f32_e32 v46, v46, v52
	s_wait_alu 0xfffd
	v_dual_mul_f32 v52, 0x3fb8aa3b, v42 :: v_dual_cndmask_b32 v23, 0, v23
	v_cmp_nlt_f32_e32 vcc_lo, 0x42b17218, v22
	s_delay_alu instid0(VALU_DEP_3) | instskip(NEXT) | instid1(VALU_DEP_2)
	v_exp_f32_e32 v44, v46
	v_fma_f32 v56, 0x3fb8aa3b, v42, -v52
	v_rndne_f32_e32 v59, v52
	v_cvt_i32_f32_e32 v46, v55
	s_wait_alu 0xfffd
	v_cndmask_b32_e32 v73, 0x7f800000, v23, vcc_lo
	v_fmac_f32_e32 v56, 0x32a5705f, v42
	v_sub_f32_e32 v52, v52, v59
	v_cvt_i32_f32_e32 v47, v59
	s_delay_alu instid0(TRANS32_DEP_1) | instskip(NEXT) | instid1(VALU_DEP_3)
	v_ldexp_f32 v44, v44, v46
	v_add_f32_e32 v52, v52, v56
	ds_load_u16 v56, v193 offset:3520
	ds_load_u16 v68, v193 offset:3648
	;; [unrolled: 1-line block ×3, first 2 shown]
	ds_load_u16_d16_hi v51, v193 offset:3376
	ds_load_u16 v59, v193 offset:3232
	v_cndmask_b32_e64 v22, 0, v44, s3
	v_cmp_nlt_f32_e64 s3, 0x42b17218, v43
	v_exp_f32_e32 v46, v52
	s_wait_alu 0xf1ff
	s_delay_alu instid0(VALU_DEP_1) | instskip(SKIP_1) | instid1(VALU_DEP_2)
	v_cndmask_b32_e64 v71, 0x7f800000, v22, s3
	v_cmp_ngt_f32_e64 s3, 0xc2ce8ed0, v38
	v_cvt_f16_f32_e32 v21, v71
	s_delay_alu instid0(TRANS32_DEP_1) | instskip(NEXT) | instid1(VALU_DEP_1)
	v_ldexp_f32 v46, v46, v47
	v_cndmask_b32_e64 v43, 0, v46, s4
	v_cmp_nlt_f32_e64 s4, 0x42b17218, v42
	v_cvt_f16_f32_e32 v42, v73
	s_wait_alu 0xf1ff
	s_delay_alu instid0(VALU_DEP_2) | instskip(NEXT) | instid1(VALU_DEP_1)
	v_cndmask_b32_e64 v72, 0x7f800000, v43, s4
	v_cvt_f16_f32_e32 v22, v72
	s_delay_alu instid0(VALU_DEP_1) | instskip(SKIP_2) | instid1(VALU_DEP_1)
	v_pack_b32_f16 v23, v21, v22
	v_pack_b32_f16 v22, v20, v42
	v_sub_f32_e32 v20, v40, v89
	v_mul_f32_e32 v21, 0x3fb8aa3b, v20
	v_cmp_ngt_f32_e32 vcc_lo, 0xc2ce8ed0, v20
	s_delay_alu instid0(VALU_DEP_2) | instskip(SKIP_1) | instid1(VALU_DEP_1)
	v_fma_f32 v40, 0x3fb8aa3b, v20, -v21
	v_rndne_f32_e32 v42, v21
	v_dual_fmac_f32 v40, 0x32a5705f, v20 :: v_dual_sub_f32 v21, v21, v42
	v_cvt_i32_f32_e32 v42, v42
	s_delay_alu instid0(VALU_DEP_2) | instskip(NEXT) | instid1(VALU_DEP_1)
	v_dual_add_f32 v21, v21, v40 :: v_dual_mul_f32 v40, 0x3fb8aa3b, v38
	v_exp_f32_e32 v21, v21
	s_delay_alu instid0(VALU_DEP_1) | instskip(SKIP_1) | instid1(VALU_DEP_1)
	v_fma_f32 v43, 0x3fb8aa3b, v38, -v40
	v_rndne_f32_e32 v44, v40
	v_dual_fmac_f32 v43, 0x32a5705f, v38 :: v_dual_sub_f32 v40, v40, v44
	s_delay_alu instid0(TRANS32_DEP_1) | instskip(SKIP_2) | instid1(VALU_DEP_2)
	v_ldexp_f32 v21, v21, v42
	v_cvt_i32_f32_e32 v42, v44
	s_wait_alu 0xfffd
	v_dual_add_f32 v40, v40, v43 :: v_dual_cndmask_b32 v21, 0, v21
	v_cmp_nlt_f32_e32 vcc_lo, 0x42b17218, v20
	s_delay_alu instid0(VALU_DEP_2) | instskip(SKIP_1) | instid1(VALU_DEP_2)
	v_exp_f32_e32 v40, v40
	s_wait_alu 0xfffd
	v_cndmask_b32_e32 v75, 0x7f800000, v21, vcc_lo
	s_delay_alu instid0(VALU_DEP_1) | instskip(NEXT) | instid1(TRANS32_DEP_1)
	v_cvt_f16_f32_e32 v21, v75
	v_ldexp_f32 v40, v40, v42
	s_delay_alu instid0(VALU_DEP_1) | instskip(SKIP_2) | instid1(VALU_DEP_1)
	v_cndmask_b32_e64 v20, 0, v40, s3
	v_cmp_nlt_f32_e64 s3, 0x42b17218, v38
	s_wait_alu 0xf1ff
	v_cndmask_b32_e64 v74, 0x7f800000, v20, s3
	v_cmp_ngt_f32_e64 s3, 0xc2ce8ed0, v30
	s_delay_alu instid0(VALU_DEP_2) | instskip(NEXT) | instid1(VALU_DEP_1)
	v_cvt_f16_f32_e32 v20, v74
	v_pack_b32_f16 v21, v20, v21
	v_sub_f32_e32 v20, v34, v89
	s_delay_alu instid0(VALU_DEP_1) | instskip(SKIP_1) | instid1(VALU_DEP_2)
	v_mul_f32_e32 v34, 0x3fb8aa3b, v20
	v_cmp_ngt_f32_e32 vcc_lo, 0xc2ce8ed0, v20
	v_fma_f32 v38, 0x3fb8aa3b, v20, -v34
	v_rndne_f32_e32 v40, v34
	s_delay_alu instid0(VALU_DEP_2) | instskip(NEXT) | instid1(VALU_DEP_2)
	v_fmac_f32_e32 v38, 0x32a5705f, v20
	v_sub_f32_e32 v34, v34, v40
	v_cvt_i32_f32_e32 v40, v40
	s_delay_alu instid0(VALU_DEP_2) | instskip(SKIP_1) | instid1(VALU_DEP_2)
	v_add_f32_e32 v34, v34, v38
	v_mul_f32_e32 v38, 0x3fb8aa3b, v30
	v_exp_f32_e32 v34, v34
	s_delay_alu instid0(VALU_DEP_1) | instskip(SKIP_1) | instid1(VALU_DEP_2)
	v_fma_f32 v42, 0x3fb8aa3b, v30, -v38
	v_rndne_f32_e32 v43, v38
	v_fmac_f32_e32 v42, 0x32a5705f, v30
	s_delay_alu instid0(VALU_DEP_2) | instskip(NEXT) | instid1(TRANS32_DEP_1)
	v_sub_f32_e32 v38, v38, v43
	v_ldexp_f32 v34, v34, v40
	v_cvt_i32_f32_e32 v40, v43
	s_delay_alu instid0(VALU_DEP_3) | instskip(SKIP_1) | instid1(VALU_DEP_3)
	v_add_f32_e32 v38, v38, v42
	s_wait_alu 0xfffd
	v_cndmask_b32_e32 v34, 0, v34, vcc_lo
	v_cmp_nlt_f32_e32 vcc_lo, 0x42b17218, v20
	s_delay_alu instid0(VALU_DEP_3) | instskip(SKIP_1) | instid1(VALU_DEP_2)
	v_exp_f32_e32 v38, v38
	s_wait_alu 0xfffd
	v_cndmask_b32_e32 v77, 0x7f800000, v34, vcc_lo
	s_delay_alu instid0(TRANS32_DEP_1) | instskip(SKIP_1) | instid1(VALU_DEP_1)
	v_ldexp_f32 v38, v38, v40
	s_wait_alu 0xf1ff
	v_cndmask_b32_e64 v20, 0, v38, s3
	v_cmp_nlt_f32_e64 s3, 0x42b17218, v30
	v_cvt_f16_f32_e32 v30, v77
	s_wait_alu 0xf1ff
	s_delay_alu instid0(VALU_DEP_2) | instskip(SKIP_1) | instid1(VALU_DEP_2)
	v_cndmask_b32_e64 v76, 0x7f800000, v20, s3
	v_cmp_ngt_f32_e64 s3, 0xc2ce8ed0, v35
	v_cvt_f16_f32_e32 v20, v76
	s_delay_alu instid0(VALU_DEP_1)
	v_pack_b32_f16 v20, v20, v30
	s_wait_dscnt 0x4
	ds_load_u16_d16_hi v56, v193 offset:3696
	ds_load_u16 v64, v193 offset:3616
	s_wait_dscnt 0x5
	ds_load_u16_d16_hi v68, v193 offset:3824
	s_wait_dscnt 0x5
	ds_load_u16_d16_hi v67, v193 offset:3472
	ds_load_u16 v52, v193 offset:3552
	s_wait_dscnt 0x5
	ds_load_u16_d16_hi v59, v193 offset:3408
	ds_load_u16 v42, v193 offset:5632
	ds_load_u16 v38, v193 offset:5664
	;; [unrolled: 1-line block ×4, first 2 shown]
	s_wait_dscnt 0x8
	ds_load_u16_d16_hi v64, v193 offset:3792
	ds_load_u16 v55, v193 offset:3168
	ds_load_u16_d16_hi v62, v193 offset:3088
	s_wait_dscnt 0x9
	v_wmma_f16_16x16x16_f16 v[0:3], v[66:69], v[20:23], v[0:3]
	s_wait_dscnt 0x1
	ds_load_u16_d16_hi v55, v193 offset:3344
	ds_load_u16 v60, v193 offset:3584
	ds_load_u16_d16_hi v50, v193 offset:3024
	ds_load_u16_d16_hi v52, v193 offset:3728
	;; [unrolled: 1-line block ×3, first 2 shown]
	ds_load_u16 v63, v193 offset:3264
	s_wait_dscnt 0x4
	ds_load_u16_d16_hi v60, v193 offset:3760
	v_wmma_f16_16x16x16_f16 v[16:19], v[54:57], v[20:23], v[16:19]
	s_wait_dscnt 0x3
	v_wmma_f16_16x16x16_f16 v[4:7], v[50:53], v[20:23], v[4:7]
	s_wait_dscnt 0x1
	ds_load_u16_d16_hi v63, v193 offset:3440
	s_wait_dscnt 0x1
	v_wmma_f16_16x16x16_f16 v[12:15], v[58:61], v[20:23], v[12:15]
	s_wait_dscnt 0x0
	v_wmma_f16_16x16x16_f16 v[8:11], v[62:65], v[20:23], v[8:11]
	v_sub_f32_e32 v20, v39, v89
	s_delay_alu instid0(VALU_DEP_1) | instskip(SKIP_1) | instid1(VALU_DEP_2)
	v_mul_f32_e32 v21, 0x3fb8aa3b, v20
	v_cmp_ngt_f32_e64 s5, 0xc2ce8ed0, v20
	v_fma_f32 v22, 0x3fb8aa3b, v20, -v21
	v_rndne_f32_e32 v23, v21
	s_delay_alu instid0(VALU_DEP_1) | instskip(SKIP_1) | instid1(VALU_DEP_2)
	v_dual_fmac_f32 v22, 0x32a5705f, v20 :: v_dual_sub_f32 v21, v21, v23
	v_cvt_i32_f32_e32 v23, v23
	v_dual_add_f32 v21, v21, v22 :: v_dual_sub_f32 v22, v36, v89
	s_delay_alu instid0(VALU_DEP_1) | instskip(NEXT) | instid1(VALU_DEP_1)
	v_exp_f32_e32 v21, v21
	v_mul_f32_e32 v36, 0x3fb8aa3b, v22
	v_cmp_ngt_f32_e32 vcc_lo, 0xc2ce8ed0, v22
	s_delay_alu instid0(VALU_DEP_2) | instskip(SKIP_1) | instid1(TRANS32_DEP_1)
	v_fma_f32 v39, 0x3fb8aa3b, v22, -v36
	v_rndne_f32_e32 v40, v36
	v_ldexp_f32 v21, v21, v23
	s_delay_alu instid0(VALU_DEP_2) | instskip(SKIP_1) | instid1(VALU_DEP_2)
	v_dual_fmac_f32 v39, 0x32a5705f, v22 :: v_dual_sub_f32 v36, v36, v40
	s_wait_alu 0xf1ff
	v_cndmask_b32_e64 v21, 0, v21, s5
	v_cmp_nlt_f32_e64 s5, 0x42b17218, v20
	s_delay_alu instid0(VALU_DEP_3) | instskip(SKIP_2) | instid1(VALU_DEP_3)
	v_add_f32_e32 v36, v36, v39
	v_mul_f32_e32 v39, 0x3fb8aa3b, v35
	s_wait_alu 0xf1ff
	v_cndmask_b32_e64 v20, 0x7f800000, v21, s5
	s_delay_alu instid0(VALU_DEP_3) | instskip(NEXT) | instid1(VALU_DEP_2)
	v_exp_f32_e32 v23, v36
	v_fma_f32 v43, 0x3fb8aa3b, v35, -v39
	v_rndne_f32_e32 v44, v39
	v_cvt_i32_f32_e32 v36, v40
	s_delay_alu instid0(VALU_DEP_3) | instskip(NEXT) | instid1(VALU_DEP_3)
	v_fmac_f32_e32 v43, 0x32a5705f, v35
	v_sub_f32_e32 v39, v39, v44
	s_delay_alu instid0(TRANS32_DEP_1) | instid1(VALU_DEP_3)
	v_ldexp_f32 v23, v23, v36
	s_delay_alu instid0(VALU_DEP_2) | instskip(SKIP_2) | instid1(VALU_DEP_3)
	v_add_f32_e32 v39, v39, v43
	v_mul_f32_e32 v43, 0x3fb8aa3b, v32
	s_wait_alu 0xfffd
	v_cndmask_b32_e32 v23, 0, v23, vcc_lo
	v_cmp_nlt_f32_e32 vcc_lo, 0x42b17218, v22
	v_exp_f32_e32 v36, v39
	v_fma_f32 v46, 0x3fb8aa3b, v32, -v43
	v_rndne_f32_e32 v47, v43
	v_cvt_i32_f32_e32 v39, v44
	s_wait_alu 0xfffd
	v_cndmask_b32_e32 v55, 0x7f800000, v23, vcc_lo
	s_delay_alu instid0(VALU_DEP_3) | instskip(SKIP_1) | instid1(TRANS32_DEP_1)
	v_dual_sub_f32 v43, v43, v47 :: v_dual_fmac_f32 v46, 0x32a5705f, v32
	v_cvt_i32_f32_e32 v40, v47
	v_ldexp_f32 v36, v36, v39
	v_cmp_ngt_f32_e64 s4, 0xc2ce8ed0, v32
	s_delay_alu instid0(VALU_DEP_4) | instskip(NEXT) | instid1(VALU_DEP_3)
	v_add_f32_e32 v43, v43, v46
	v_cndmask_b32_e64 v22, 0, v36, s3
	v_cmp_nlt_f32_e64 s3, 0x42b17218, v35
	s_delay_alu instid0(VALU_DEP_3) | instskip(SKIP_1) | instid1(VALU_DEP_1)
	v_exp_f32_e32 v39, v43
	s_wait_alu 0xf1ff
	v_cndmask_b32_e64 v21, 0x7f800000, v22, s3
	v_cvt_f16_f32_e32 v22, v20
	v_cmp_ngt_f32_e64 s3, 0xc2ce8ed0, v28
	s_delay_alu instid0(VALU_DEP_3) | instskip(NEXT) | instid1(TRANS32_DEP_1)
	v_cvt_f16_f32_e32 v23, v21
	v_ldexp_f32 v39, v39, v40
	s_delay_alu instid0(VALU_DEP_1) | instskip(SKIP_2) | instid1(VALU_DEP_1)
	v_cndmask_b32_e64 v35, 0, v39, s4
	v_cmp_nlt_f32_e64 s4, 0x42b17218, v32
	s_wait_alu 0xf1ff
	v_cndmask_b32_e64 v54, 0x7f800000, v35, s4
	v_cvt_f16_f32_e32 v35, v55
	s_delay_alu instid0(VALU_DEP_2) | instskip(NEXT) | instid1(VALU_DEP_2)
	v_cvt_f16_f32_e32 v32, v54
	v_pack_b32_f16 v52, v22, v35
	v_sub_f32_e32 v22, v31, v89
	s_delay_alu instid0(VALU_DEP_3) | instskip(NEXT) | instid1(VALU_DEP_2)
	v_pack_b32_f16 v53, v23, v32
	v_mul_f32_e32 v23, 0x3fb8aa3b, v22
	v_cmp_ngt_f32_e32 vcc_lo, 0xc2ce8ed0, v22
	s_delay_alu instid0(VALU_DEP_2) | instskip(SKIP_1) | instid1(VALU_DEP_2)
	v_fma_f32 v31, 0x3fb8aa3b, v22, -v23
	v_rndne_f32_e32 v32, v23
	v_fmac_f32_e32 v31, 0x32a5705f, v22
	s_delay_alu instid0(VALU_DEP_2) | instskip(SKIP_1) | instid1(VALU_DEP_2)
	v_sub_f32_e32 v23, v23, v32
	v_cvt_i32_f32_e32 v32, v32
	v_add_f32_e32 v23, v23, v31
	v_mul_f32_e32 v31, 0x3fb8aa3b, v28
	s_delay_alu instid0(VALU_DEP_2) | instskip(NEXT) | instid1(VALU_DEP_1)
	v_exp_f32_e32 v23, v23
	v_fma_f32 v35, 0x3fb8aa3b, v28, -v31
	v_rndne_f32_e32 v36, v31
	s_delay_alu instid0(VALU_DEP_2) | instskip(NEXT) | instid1(VALU_DEP_2)
	v_fmac_f32_e32 v35, 0x32a5705f, v28
	v_sub_f32_e32 v31, v31, v36
	s_delay_alu instid0(TRANS32_DEP_1) | instskip(SKIP_1) | instid1(VALU_DEP_3)
	v_ldexp_f32 v23, v23, v32
	v_cvt_i32_f32_e32 v32, v36
	v_add_f32_e32 v31, v31, v35
	s_wait_alu 0xfffd
	s_delay_alu instid0(VALU_DEP_3) | instskip(SKIP_1) | instid1(VALU_DEP_3)
	v_cndmask_b32_e32 v23, 0, v23, vcc_lo
	v_cmp_nlt_f32_e32 vcc_lo, 0x42b17218, v22
	v_exp_f32_e32 v31, v31
	s_wait_alu 0xfffd
	s_delay_alu instid0(VALU_DEP_2) | instskip(NEXT) | instid1(VALU_DEP_1)
	v_cndmask_b32_e32 v57, 0x7f800000, v23, vcc_lo
	v_cvt_f16_f32_e32 v23, v57
	s_delay_alu instid0(TRANS32_DEP_1) | instskip(NEXT) | instid1(VALU_DEP_1)
	v_ldexp_f32 v31, v31, v32
	v_cndmask_b32_e64 v22, 0, v31, s3
	v_cmp_nlt_f32_e64 s3, 0x42b17218, v28
	s_wait_alu 0xf1ff
	s_delay_alu instid0(VALU_DEP_1) | instskip(SKIP_1) | instid1(VALU_DEP_2)
	v_cndmask_b32_e64 v56, 0x7f800000, v22, s3
	v_cmp_ngt_f32_e64 s3, 0xc2ce8ed0, v26
	v_cvt_f16_f32_e32 v22, v56
	s_delay_alu instid0(VALU_DEP_1) | instskip(SKIP_1) | instid1(VALU_DEP_1)
	v_pack_b32_f16 v51, v22, v23
	v_sub_f32_e32 v22, v27, v89
	v_mul_f32_e32 v23, 0x3fb8aa3b, v22
	v_cmp_ngt_f32_e32 vcc_lo, 0xc2ce8ed0, v22
	s_delay_alu instid0(VALU_DEP_2) | instskip(SKIP_1) | instid1(VALU_DEP_2)
	v_fma_f32 v27, 0x3fb8aa3b, v22, -v23
	v_rndne_f32_e32 v28, v23
	v_fmac_f32_e32 v27, 0x32a5705f, v22
	s_delay_alu instid0(VALU_DEP_2) | instskip(SKIP_1) | instid1(VALU_DEP_2)
	v_sub_f32_e32 v23, v23, v28
	v_cvt_i32_f32_e32 v28, v28
	v_add_f32_e32 v23, v23, v27
	v_mul_f32_e32 v27, 0x3fb8aa3b, v26
	s_delay_alu instid0(VALU_DEP_2) | instskip(NEXT) | instid1(VALU_DEP_1)
	v_exp_f32_e32 v23, v23
	v_fma_f32 v31, 0x3fb8aa3b, v26, -v27
	v_rndne_f32_e32 v32, v27
	s_delay_alu instid0(VALU_DEP_2) | instskip(NEXT) | instid1(VALU_DEP_2)
	v_fmac_f32_e32 v31, 0x32a5705f, v26
	v_sub_f32_e32 v27, v27, v32
	s_delay_alu instid0(TRANS32_DEP_1) | instskip(SKIP_1) | instid1(VALU_DEP_3)
	v_ldexp_f32 v23, v23, v28
	v_cvt_i32_f32_e32 v28, v32
	v_add_f32_e32 v27, v27, v31
	s_wait_alu 0xfffd
	s_delay_alu instid0(VALU_DEP_3) | instskip(SKIP_1) | instid1(VALU_DEP_3)
	v_cndmask_b32_e32 v23, 0, v23, vcc_lo
	v_cmp_nlt_f32_e32 vcc_lo, 0x42b17218, v22
	v_exp_f32_e32 v27, v27
	s_wait_alu 0xfffd
	s_delay_alu instid0(VALU_DEP_2) | instskip(NEXT) | instid1(VALU_DEP_1)
	v_cndmask_b32_e32 v59, 0x7f800000, v23, vcc_lo
	v_cvt_f16_f32_e32 v23, v59
	s_delay_alu instid0(TRANS32_DEP_1) | instskip(SKIP_1) | instid1(VALU_DEP_1)
	v_ldexp_f32 v27, v27, v28
	s_wait_alu 0xf1ff
	v_cndmask_b32_e64 v22, 0, v27, s3
	ds_load_u16 v27, v193 offset:6112
	ds_load_u16 v43, v193 offset:5984
	;; [unrolled: 1-line block ×5, first 2 shown]
	ds_load_u16_d16_hi v30, v193 offset:5904
	v_cmp_nlt_f32_e64 s3, 0x42b17218, v26
	s_wait_alu 0xf1ff
	s_delay_alu instid0(VALU_DEP_1) | instskip(NEXT) | instid1(VALU_DEP_1)
	v_cndmask_b32_e64 v58, 0x7f800000, v22, s3
	v_cvt_f16_f32_e32 v22, v58
	s_delay_alu instid0(VALU_DEP_1)
	v_pack_b32_f16 v50, v22, v23
	s_wait_dscnt 0x5
	ds_load_u16_d16_hi v27, v193 offset:6288
	s_wait_dscnt 0x5
	ds_load_u16_d16_hi v43, v193 offset:6160
	ds_load_u16 v39, v193 offset:6016
	ds_load_u16 v36, v193 offset:6400
	;; [unrolled: 1-line block ×4, first 2 shown]
	s_wait_dscnt 0x9
	ds_load_u16_d16_hi v40, v193 offset:6544
	s_wait_dscnt 0x9
	ds_load_u16_d16_hi v31, v193 offset:6256
	;; [unrolled: 2-line block ×3, first 2 shown]
	ds_load_u16_d16_hi v42, v193 offset:5808
	ds_load_u16_d16_hi v38, v193 offset:5840
	;; [unrolled: 1-line block ×3, first 2 shown]
	ds_load_u16 v26, v193 offset:5760
	s_wait_dscnt 0x9
	ds_load_u16_d16_hi v36, v193 offset:6576
	s_wait_dscnt 0x8
	ds_load_u16_d16_hi v28, v193 offset:6640
	ds_load_u16 v85, v193 offset:8544
	ds_load_u16 v46, v193 offset:8576
	ds_load_u16_d16_hi v22, v193 offset:8624
	ds_load_u16 v137, v193 offset:8480
	s_wait_dscnt 0x6
	ds_load_u16_d16_hi v26, v193 offset:5936
	ds_load_u16_d16_hi v39, v193 offset:6192
	ds_load_u16 v140, v88 offset:8480
	ds_load_u16 v111, v88 offset:8512
	;; [unrolled: 1-line block ×3, first 2 shown]
	ds_load_u16_d16_hi v37, v108 offset:5696
	ds_load_u16_d16_hi v33, v108 offset:5728
	;; [unrolled: 1-line block ×4, first 2 shown]
	s_wait_dscnt 0x6
	ds_load_u16_d16_hi v140, v108 offset:8480
	s_wait_dscnt 0x6
	ds_load_u16_d16_hi v111, v108 offset:8512
	;; [unrolled: 2-line block ×3, first 2 shown]
	ds_load_u16_d16_hi v49, v108 offset:8576
	ds_load_u16 v35, v193 offset:6048
	ds_load_u16 v32, v193 offset:6432
	v_sub_f32_e32 v23, v98, v89
	s_wait_dscnt 0x7
	v_wmma_f16_16x16x16_f16 v[0:3], v[26:29], v[50:53], v[0:3]
	v_wmma_f16_16x16x16_f16 v[4:7], v[38:41], v[50:53], v[4:7]
	;; [unrolled: 1-line block ×3, first 2 shown]
	v_mul_f32_e32 v26, 0x3fb8aa3b, v23
	v_cmp_ngt_f32_e64 s5, 0xc2ce8ed0, v23
	s_delay_alu instid0(VALU_DEP_2) | instskip(SKIP_1) | instid1(VALU_DEP_1)
	v_fma_f32 v27, 0x3fb8aa3b, v23, -v26
	v_rndne_f32_e32 v28, v26
	v_dual_fmac_f32 v27, 0x32a5705f, v23 :: v_dual_sub_f32 v26, v26, v28
	v_cvt_i32_f32_e32 v28, v28
	s_wait_dscnt 0x1
	ds_load_u16_d16_hi v35, v193 offset:6224
	s_wait_dscnt 0x1
	ds_load_u16_d16_hi v32, v193 offset:6608
	v_dual_add_f32 v26, v26, v27 :: v_dual_sub_f32 v27, v97, v89
	s_delay_alu instid0(VALU_DEP_1) | instskip(NEXT) | instid1(VALU_DEP_1)
	v_exp_f32_e32 v26, v26
	v_mul_f32_e32 v29, 0x3fb8aa3b, v27
	v_cmp_ngt_f32_e32 vcc_lo, 0xc2ce8ed0, v27
	s_delay_alu instid0(TRANS32_DEP_1)
	v_ldexp_f32 v26, v26, v28
	s_wait_dscnt 0x1
	v_wmma_f16_16x16x16_f16 v[12:15], v[34:37], v[50:53], v[12:15]
	s_wait_dscnt 0x0
	v_wmma_f16_16x16x16_f16 v[8:11], v[30:33], v[50:53], v[8:11]
	v_fma_f32 v30, 0x3fb8aa3b, v27, -v29
	v_rndne_f32_e32 v31, v29
	s_wait_alu 0xf1ff
	v_cndmask_b32_e64 v26, 0, v26, s5
	v_cmp_nlt_f32_e64 s5, 0x42b17218, v23
	v_fmac_f32_e32 v30, 0x32a5705f, v27
	v_sub_f32_e32 v29, v29, v31
	s_delay_alu instid0(VALU_DEP_1) | instskip(NEXT) | instid1(VALU_DEP_1)
	v_add_f32_e32 v29, v29, v30
	v_exp_f32_e32 v28, v29
	v_cvt_i32_f32_e32 v29, v31
	s_delay_alu instid0(TRANS32_DEP_1) | instid1(VALU_DEP_1)
	v_ldexp_f32 v28, v28, v29
	s_wait_alu 0xfffd
	s_delay_alu instid0(VALU_DEP_1) | instskip(NEXT) | instid1(VALU_DEP_1)
	v_dual_sub_f32 v29, v96, v89 :: v_dual_cndmask_b32 v28, 0, v28
	v_mul_f32_e32 v30, 0x3fb8aa3b, v29
	v_cmp_nlt_f32_e32 vcc_lo, 0x42b17218, v27
	v_cmp_ngt_f32_e64 s3, 0xc2ce8ed0, v29
	s_delay_alu instid0(VALU_DEP_3) | instskip(SKIP_1) | instid1(VALU_DEP_1)
	v_fma_f32 v31, 0x3fb8aa3b, v29, -v30
	v_rndne_f32_e32 v32, v30
	v_dual_fmac_f32 v31, 0x32a5705f, v29 :: v_dual_sub_f32 v30, v30, v32
	s_delay_alu instid0(VALU_DEP_1) | instskip(NEXT) | instid1(VALU_DEP_1)
	v_dual_add_f32 v30, v30, v31 :: v_dual_sub_f32 v31, v95, v89
	v_exp_f32_e32 v27, v30
	s_delay_alu instid0(VALU_DEP_1) | instskip(SKIP_2) | instid1(VALU_DEP_3)
	v_mul_f32_e32 v33, 0x3fb8aa3b, v31
	v_cvt_i32_f32_e32 v30, v32
	v_cmp_ngt_f32_e64 s4, 0xc2ce8ed0, v31
	v_fma_f32 v34, 0x3fb8aa3b, v31, -v33
	v_rndne_f32_e32 v35, v33
	s_delay_alu instid0(TRANS32_DEP_1) | instid1(VALU_DEP_4)
	v_ldexp_f32 v27, v27, v30
	s_delay_alu instid0(VALU_DEP_3) | instskip(NEXT) | instid1(VALU_DEP_3)
	v_fmac_f32_e32 v34, 0x32a5705f, v31
	v_sub_f32_e32 v33, v33, v35
	v_cvt_i32_f32_e32 v32, v35
	s_wait_alu 0xf1ff
	v_cndmask_b32_e64 v27, 0, v27, s3
	v_cmp_nlt_f32_e64 s3, 0x42b17218, v29
	v_add_f32_e32 v33, v33, v34
	s_delay_alu instid0(VALU_DEP_1) | instskip(SKIP_2) | instid1(VALU_DEP_1)
	v_exp_f32_e32 v30, v33
	s_wait_alu 0xfffd
	v_cndmask_b32_e32 v33, 0x7f800000, v28, vcc_lo
	v_cvt_f16_f32_e32 v28, v33
	s_delay_alu instid0(TRANS32_DEP_1) | instskip(NEXT) | instid1(VALU_DEP_1)
	v_ldexp_f32 v30, v30, v32
	v_cndmask_b32_e64 v29, 0, v30, s4
	v_cmp_nlt_f32_e64 s4, 0x42b17218, v31
	v_cndmask_b32_e64 v30, 0x7f800000, v26, s5
	s_wait_alu 0xf1ff
	v_cndmask_b32_e64 v31, 0x7f800000, v27, s3
	s_delay_alu instid0(VALU_DEP_3) | instskip(NEXT) | instid1(VALU_DEP_3)
	v_cndmask_b32_e64 v32, 0x7f800000, v29, s4
	v_cvt_f16_f32_e32 v23, v30
	s_delay_alu instid0(VALU_DEP_3) | instskip(NEXT) | instid1(VALU_DEP_3)
	v_cvt_f16_f32_e32 v26, v31
	v_cvt_f16_f32_e32 v27, v32
	s_delay_alu instid0(VALU_DEP_3) | instskip(SKIP_1) | instid1(VALU_DEP_3)
	v_pack_b32_f16 v28, v23, v28
	v_sub_f32_e32 v23, v94, v89
	v_pack_b32_f16 v29, v26, v27
	s_delay_alu instid0(VALU_DEP_2) | instskip(SKIP_1) | instid1(VALU_DEP_2)
	v_mul_f32_e32 v26, 0x3fb8aa3b, v23
	v_cmp_ngt_f32_e32 vcc_lo, 0xc2ce8ed0, v23
	v_fma_f32 v27, 0x3fb8aa3b, v23, -v26
	v_rndne_f32_e32 v34, v26
	s_delay_alu instid0(VALU_DEP_1) | instskip(SKIP_1) | instid1(VALU_DEP_2)
	v_dual_fmac_f32 v27, 0x32a5705f, v23 :: v_dual_sub_f32 v26, v26, v34
	v_cvt_i32_f32_e32 v34, v34
	v_dual_add_f32 v26, v26, v27 :: v_dual_sub_f32 v27, v93, v89
	s_delay_alu instid0(VALU_DEP_1) | instskip(NEXT) | instid1(VALU_DEP_1)
	v_exp_f32_e32 v26, v26
	v_mul_f32_e32 v35, 0x3fb8aa3b, v27
	v_cmp_ngt_f32_e64 s3, 0xc2ce8ed0, v27
	s_delay_alu instid0(VALU_DEP_2) | instskip(SKIP_1) | instid1(TRANS32_DEP_1)
	v_fma_f32 v36, 0x3fb8aa3b, v27, -v35
	v_rndne_f32_e32 v37, v35
	v_ldexp_f32 v26, v26, v34
	s_delay_alu instid0(VALU_DEP_2) | instskip(SKIP_1) | instid1(VALU_DEP_2)
	v_dual_fmac_f32 v36, 0x32a5705f, v27 :: v_dual_sub_f32 v35, v35, v37
	s_wait_alu 0xfffd
	v_cndmask_b32_e32 v26, 0, v26, vcc_lo
	v_cmp_nlt_f32_e32 vcc_lo, 0x42b17218, v23
	s_delay_alu instid0(VALU_DEP_3) | instskip(NEXT) | instid1(VALU_DEP_1)
	v_add_f32_e32 v35, v35, v36
	v_exp_f32_e32 v34, v35
	v_cvt_i32_f32_e32 v35, v37
	s_delay_alu instid0(TRANS32_DEP_1) | instid1(VALU_DEP_1)
	v_ldexp_f32 v34, v34, v35
	s_wait_alu 0xfffd
	v_cndmask_b32_e32 v35, 0x7f800000, v26, vcc_lo
	s_wait_alu 0xf1ff
	s_delay_alu instid0(VALU_DEP_2) | instskip(SKIP_1) | instid1(VALU_DEP_3)
	v_cndmask_b32_e64 v23, 0, v34, s3
	v_cmp_nlt_f32_e64 s3, 0x42b17218, v27
	v_cvt_f16_f32_e32 v26, v35
	s_wait_alu 0xf1ff
	s_delay_alu instid0(VALU_DEP_2) | instskip(NEXT) | instid1(VALU_DEP_1)
	v_cndmask_b32_e64 v34, 0x7f800000, v23, s3
	v_cvt_f16_f32_e32 v23, v34
	s_delay_alu instid0(VALU_DEP_1) | instskip(SKIP_1) | instid1(VALU_DEP_1)
	v_pack_b32_f16 v27, v23, v26
	v_sub_f32_e32 v23, v91, v89
	v_mul_f32_e32 v26, 0x3fb8aa3b, v23
	v_cmp_ngt_f32_e32 vcc_lo, 0xc2ce8ed0, v23
	s_delay_alu instid0(VALU_DEP_2) | instskip(SKIP_1) | instid1(VALU_DEP_2)
	v_fma_f32 v36, 0x3fb8aa3b, v23, -v26
	v_rndne_f32_e32 v37, v26
	v_fmac_f32_e32 v36, 0x32a5705f, v23
	s_delay_alu instid0(VALU_DEP_2) | instskip(SKIP_1) | instid1(VALU_DEP_2)
	v_sub_f32_e32 v26, v26, v37
	v_cvt_i32_f32_e32 v37, v37
	v_add_f32_e32 v26, v26, v36
	v_sub_f32_e32 v36, v90, v89
	s_delay_alu instid0(VALU_DEP_2) | instskip(NEXT) | instid1(VALU_DEP_1)
	v_exp_f32_e32 v26, v26
	v_mul_f32_e32 v38, 0x3fb8aa3b, v36
	v_cmp_ngt_f32_e64 s3, 0xc2ce8ed0, v36
	s_delay_alu instid0(VALU_DEP_2) | instskip(SKIP_1) | instid1(TRANS32_DEP_1)
	v_fma_f32 v39, 0x3fb8aa3b, v36, -v38
	v_rndne_f32_e32 v40, v38
	v_ldexp_f32 v26, v26, v37
	s_delay_alu instid0(VALU_DEP_3) | instskip(NEXT) | instid1(VALU_DEP_3)
	v_fmac_f32_e32 v39, 0x32a5705f, v36
	v_sub_f32_e32 v38, v38, v40
	s_wait_alu 0xfffd
	s_delay_alu instid0(VALU_DEP_3) | instskip(SKIP_1) | instid1(VALU_DEP_3)
	v_cndmask_b32_e32 v26, 0, v26, vcc_lo
	v_cmp_nlt_f32_e32 vcc_lo, 0x42b17218, v23
	v_add_f32_e32 v38, v38, v39
	s_delay_alu instid0(VALU_DEP_1)
	v_exp_f32_e32 v37, v38
	v_cvt_i32_f32_e32 v38, v40
	s_delay_alu instid0(TRANS32_DEP_1) | instid1(VALU_DEP_1)
	v_ldexp_f32 v37, v37, v38
	s_wait_alu 0xf1ff
	s_delay_alu instid0(VALU_DEP_1) | instskip(SKIP_4) | instid1(VALU_DEP_2)
	v_cndmask_b32_e64 v23, 0, v37, s3
	v_cmp_nlt_f32_e64 s3, 0x42b17218, v36
	s_wait_alu 0xfffd
	v_cndmask_b32_e32 v37, 0x7f800000, v26, vcc_lo
	s_wait_alu 0xf1ff
	v_cndmask_b32_e64 v36, 0x7f800000, v23, s3
	s_delay_alu instid0(VALU_DEP_2) | instskip(NEXT) | instid1(VALU_DEP_2)
	v_cvt_f16_f32_e32 v26, v37
	v_cvt_f16_f32_e32 v23, v36
	s_delay_alu instid0(VALU_DEP_1)
	v_pack_b32_f16 v26, v23, v26
	ds_load_u16 v23, v193 offset:8800
	ds_load_u16 v138, v193 offset:8832
	ds_load_u16_d16_hi v46, v193 offset:8752
	s_wait_dscnt 0x2
	ds_load_u16_d16_hi v23, v193 offset:8976
	s_wait_dscnt 0x2
	ds_load_u16_d16_hi v138, v193 offset:9008
	ds_load_u16_d16_hi v109, v193 offset:9040
	ds_load_u16 v47, v193 offset:8928
	ds_load_u16 v108, v193 offset:8512
	s_wait_dscnt 0x1
	ds_load_u16_d16_hi v47, v193 offset:9104
	ds_load_u16_d16_hi v139, v193 offset:9360
	;; [unrolled: 1-line block ×3, first 2 shown]
	v_wmma_f16_16x16x16_f16 v[16:19], v[22:25], v[26:29], v[16:19]
	v_add_f32_e32 v22, v106, v107
	s_wait_dscnt 0x3
	ds_load_u16_d16_hi v108, v193 offset:8688
	ds_load_u16_d16_hi v85, v193 offset:8720
	v_add_f32_e32 v22, v104, v22
	ds_load_u16 v110, v193 offset:9216
	s_wait_dscnt 0x3
	v_wmma_f16_16x16x16_f16 v[4:7], v[137:140], v[26:29], v[4:7]
	v_wmma_f16_16x16x16_f16 v[0:3], v[46:49], v[26:29], v[0:3]
	v_add_f32_e32 v22, v105, v22
	s_delay_alu instid0(VALU_DEP_1) | instskip(NEXT) | instid1(VALU_DEP_1)
	v_add_f32_e32 v22, v102, v22
	v_add_f32_e32 v22, v103, v22
	s_wait_dscnt 0x1
	v_wmma_f16_16x16x16_f16 v[8:11], v[85:88], v[26:29], v[8:11]
	s_delay_alu instid0(VALU_DEP_2)
	v_add_f32_e32 v22, v100, v22
	s_wait_dscnt 0x0
	ds_load_u16_d16_hi v110, v193 offset:9392
	s_wait_loadcnt_dscnt 0x0
	s_barrier_signal -1
	s_barrier_wait -1
	v_add_f32_e32 v22, v101, v22
	global_inv scope:SCOPE_SE
	v_add_f32_e32 v22, v76, v22
	s_delay_alu instid0(VALU_DEP_1) | instskip(NEXT) | instid1(VALU_DEP_1)
	v_add_f32_e32 v22, v77, v22
	v_add_f32_e32 v22, v74, v22
	v_wmma_f16_16x16x16_f16 v[12:15], v[108:111], v[26:29], v[12:15]
	s_delay_alu instid0(VALU_DEP_2) | instskip(NEXT) | instid1(VALU_DEP_1)
	v_add_f32_e32 v22, v75, v22
	v_add_f32_e32 v22, v70, v22
	s_delay_alu instid0(VALU_DEP_1) | instskip(NEXT) | instid1(VALU_DEP_1)
	v_add_f32_e32 v22, v73, v22
	v_add_f32_e32 v22, v71, v22
	s_delay_alu instid0(VALU_DEP_1) | instskip(NEXT) | instid1(VALU_DEP_1)
	v_add_f32_e32 v22, v72, v22
	v_add_f32_e32 v22, v58, v22
	s_delay_alu instid0(VALU_DEP_1) | instskip(NEXT) | instid1(VALU_DEP_1)
	v_add_f32_e32 v22, v59, v22
	v_add_f32_e32 v22, v56, v22
	s_delay_alu instid0(VALU_DEP_1) | instskip(NEXT) | instid1(VALU_DEP_1)
	v_add_f32_e32 v22, v57, v22
	v_add_f32_e32 v20, v20, v22
	s_delay_alu instid0(VALU_DEP_1) | instskip(NEXT) | instid1(VALU_DEP_1)
	v_add_f32_e32 v20, v55, v20
	v_add_f32_e32 v20, v21, v20
	s_delay_alu instid0(VALU_DEP_1) | instskip(NEXT) | instid1(VALU_DEP_1)
	v_add_f32_e32 v20, v54, v20
	v_add_f32_e32 v20, v36, v20
	s_delay_alu instid0(VALU_DEP_1) | instskip(NEXT) | instid1(VALU_DEP_1)
	v_add_f32_e32 v20, v37, v20
	v_add_f32_e32 v20, v34, v20
	s_delay_alu instid0(VALU_DEP_1) | instskip(NEXT) | instid1(VALU_DEP_1)
	v_add_f32_e32 v20, v35, v20
	v_add_f32_e32 v20, v30, v20
	s_delay_alu instid0(VALU_DEP_1) | instskip(NEXT) | instid1(VALU_DEP_1)
	v_add_f32_e32 v20, v33, v20
	v_add_f32_e32 v20, v31, v20
	s_delay_alu instid0(VALU_DEP_1) | instskip(NEXT) | instid1(VALU_DEP_1)
	v_add_f32_e32 v20, v32, v20
	v_fmac_f32_e32 v20, v226, v99
	ds_bpermute_b32 v21, v92, v20
	s_wait_dscnt 0x0
	v_add_f32_e32 v90, v20, v21
	s_cbranch_scc1 .LBB9_102
; %bb.101:                              ;   in Loop: Header=BB9_9 Depth=1
	scratch_load_b32 v20, off, off offset:72 ; 4-byte Folded Reload
	s_wait_loadcnt 0x0
	v_dual_max_num_f32 v21, v89, v89 :: v_dual_lshlrev_b32 v20, 2, v20
	global_load_b32 v20, v20, s[74:75]
	s_wait_loadcnt 0x0
	v_max_num_f32_e32 v22, v20, v20
	s_delay_alu instid0(VALU_DEP_1) | instskip(NEXT) | instid1(VALU_DEP_1)
	v_max_num_f32_e32 v21, v21, v22
	v_sub_f32_e32 v22, v89, v21
	s_delay_alu instid0(VALU_DEP_1) | instskip(NEXT) | instid1(VALU_DEP_1)
	v_dual_sub_f32 v20, v20, v21 :: v_dual_mul_f32 v23, 0x3fb8aa3b, v22
	v_fma_f32 v24, 0x3fb8aa3b, v22, -v23
	v_rndne_f32_e32 v25, v23
	s_delay_alu instid0(VALU_DEP_1) | instskip(SKIP_1) | instid1(VALU_DEP_2)
	v_dual_fmac_f32 v24, 0x32a5705f, v22 :: v_dual_sub_f32 v23, v23, v25
	v_cvt_i32_f32_e32 v25, v25
	v_add_f32_e32 v23, v23, v24
	v_cmp_ngt_f32_e32 vcc_lo, 0xc2ce8ed0, v22
	v_dual_mul_f32 v24, 0x3fb8aa3b, v20 :: v_dual_mov_b32 v89, v21
	s_delay_alu instid0(VALU_DEP_3) | instskip(NEXT) | instid1(VALU_DEP_1)
	v_exp_f32_e32 v23, v23
	v_fma_f32 v26, 0x3fb8aa3b, v20, -v24
	v_rndne_f32_e32 v27, v24
	s_delay_alu instid0(VALU_DEP_1) | instskip(NEXT) | instid1(TRANS32_DEP_1)
	v_sub_f32_e32 v24, v24, v27
	v_ldexp_f32 v23, v23, v25
	v_cvt_i32_f32_e32 v25, v27
	s_wait_alu 0xfffd
	s_delay_alu instid0(VALU_DEP_2) | instskip(SKIP_2) | instid1(VALU_DEP_2)
	v_cndmask_b32_e32 v23, 0, v23, vcc_lo
	v_cmp_nlt_f32_e32 vcc_lo, 0x42b17218, v22
	s_wait_alu 0xfffd
	v_cndmask_b32_e32 v23, 0x7f800000, v23, vcc_lo
	v_cmp_le_f32_e32 vcc_lo, 0xc1a00000, v22
	s_wait_alu 0xfffd
	s_delay_alu instid0(VALU_DEP_2) | instskip(SKIP_2) | instid1(VALU_DEP_1)
	v_cndmask_b32_e32 v22, 0, v23, vcc_lo
	v_cmp_ngt_f32_e32 vcc_lo, 0xc2ce8ed0, v20
	v_fmac_f32_e32 v26, 0x32a5705f, v20
	v_add_f32_e32 v24, v24, v26
	s_delay_alu instid0(VALU_DEP_1) | instskip(NEXT) | instid1(TRANS32_DEP_1)
	v_exp_f32_e32 v24, v24
	v_ldexp_f32 v23, v24, v25
	v_cvt_f16_f32_e32 v24, v22
	s_wait_alu 0xfffd
	s_delay_alu instid0(VALU_DEP_2) | instskip(SKIP_1) | instid1(VALU_DEP_3)
	v_cndmask_b32_e32 v23, 0, v23, vcc_lo
	v_cmp_nlt_f32_e32 vcc_lo, 0x42b17218, v20
	v_and_b32_e32 v24, 0xffff, v24
	s_wait_alu 0xfffd
	s_delay_alu instid0(VALU_DEP_3) | instskip(NEXT) | instid1(VALU_DEP_2)
	v_cndmask_b32_e32 v20, 0x7f800000, v23, vcc_lo
	v_mul_u32_u24_e32 v23, 0x10001, v24
	s_delay_alu instid0(VALU_DEP_2) | instskip(NEXT) | instid1(VALU_DEP_2)
	v_fmac_f32_e32 v20, v90, v22
	v_pk_mul_f16 v16, v16, v23
	v_pk_mul_f16 v17, v17, v23
	;; [unrolled: 1-line block ×20, first 2 shown]
	v_mov_b32_e32 v90, v20
.LBB9_102:                              ;   in Loop: Header=BB9_9 Depth=1
	scratch_load_b64 v[22:23], off, off offset:20 ; 8-byte Folded Reload
	s_wait_loadcnt 0x0
	s_barrier_signal -1
	s_barrier_wait -1
	global_inv scope:SCOPE_SE
	s_mov_b32 s0, exec_lo
	scratch_load_b64 v[23:24], off, off offset:60 ; 8-byte Folded Reload
	s_wait_alu 0xfffe
	s_and_b32 s1, s0, s2
	s_wait_alu 0xfffe
	s_mov_b32 exec_lo, s1
	s_cbranch_execz .LBB9_104
; %bb.103:                              ;   in Loop: Header=BB9_9 Depth=1
	scratch_load_b64 v[20:21], off, off offset:168 ; 8-byte Folded Reload
	s_wait_loadcnt 0x0
	global_store_b64 v[20:21], v[89:90], off
.LBB9_104:                              ;   in Loop: Header=BB9_9 Depth=1
	s_or_b32 exec_lo, exec_lo, s0
	v_add_nc_u32_e32 v20, v163, v182
	v_cmp_gt_i32_e64 s3, s24, v218
	v_cmp_gt_i32_e64 s4, s33, v153
	v_cmp_le_i32_e32 vcc_lo, s33, v153
	ds_store_2addr_b32 v20, v16, v17 offset1:1
	ds_store_2addr_b32 v20, v18, v19 offset0:2 offset1:3
	ds_store_2addr_b32 v20, v4, v5 offset0:8 offset1:9
	;; [unrolled: 1-line block ×9, first 2 shown]
	v_mov_b32_e32 v0, 50
	s_and_b32 s1, s3, s4
	s_wait_storecnt 0x0
	s_wait_loadcnt_dscnt 0x0
	s_barrier_signal -1
	s_barrier_wait -1
	global_inv scope:SCOPE_SE
	s_wait_alu 0xfffe
	s_and_saveexec_b32 s0, s1
	s_cbranch_execz .LBB9_106
; %bb.105:                              ;   in Loop: Header=BB9_9 Depth=1
	v_add_nc_u32_e32 v0, v219, v198
	ds_load_b32 v2, v0
	v_mad_co_u64_u32 v[0:1], null, v218, s25, v[229:230]
	s_delay_alu instid0(VALU_DEP_1) | instskip(NEXT) | instid1(VALU_DEP_1)
	v_mad_co_u64_u32 v[0:1], null, v0, 40, v[246:247]
	v_ashrrev_i32_e32 v1, 31, v0
	s_wait_dscnt 0x0
	v_lshrrev_b32_e32 v3, 16, v2
	v_cvt_f32_f16_e32 v2, v2
	s_delay_alu instid0(VALU_DEP_3) | instskip(NEXT) | instid1(VALU_DEP_3)
	v_lshlrev_b64_e32 v[0:1], 3, v[0:1]
	v_cvt_f32_f16_e32 v3, v3
	s_delay_alu instid0(VALU_DEP_3) | instskip(NEXT) | instid1(VALU_DEP_3)
	v_add_f32_e32 v2, 0, v2
	v_add_co_u32 v4, s3, s72, v0
	s_delay_alu instid0(VALU_DEP_3)
	v_add_f32_e32 v3, 0, v3
	s_wait_alu 0xf1ff
	v_add_co_ci_u32_e64 v5, null, s73, v1, s3
	v_mov_b32_e32 v0, 0
	global_store_b64 v[4:5], v[2:3], off
.LBB9_106:                              ;   in Loop: Header=BB9_9 Depth=1
	s_wait_alu 0xfffe
	s_or_b32 exec_lo, exec_lo, s0
	s_mov_b32 s1, -1
	s_mov_b32 s0, exec_lo
	v_cmpx_gt_i32_e32 50, v0
; %bb.107:                              ;   in Loop: Header=BB9_9 Depth=1
	v_cmp_eq_u32_e64 s3, 0, v0
	s_or_not1_b32 s1, s3, exec_lo
; %bb.108:                              ;   in Loop: Header=BB9_9 Depth=1
	s_wait_alu 0xfffe
	s_or_b32 exec_lo, exec_lo, s0
	s_and_saveexec_b32 s0, s1
	s_cbranch_execz .LBB9_181
; %bb.109:                              ;   in Loop: Header=BB9_9 Depth=1
	v_cmp_gt_i32_e64 s3, s24, v217
	v_mov_b32_e32 v0, 50
	s_xor_b32 s1, vcc_lo, -1
	s_wait_alu 0xfffe
	s_and_b32 s4, s3, s1
	s_wait_alu 0xfffe
	s_and_saveexec_b32 s3, s4
	s_cbranch_execz .LBB9_111
; %bb.110:                              ;   in Loop: Header=BB9_9 Depth=1
	v_add_nc_u32_e32 v0, v219, v200
	ds_load_b32 v2, v0
	v_mad_co_u64_u32 v[0:1], null, v217, s25, v[229:230]
	s_delay_alu instid0(VALU_DEP_1) | instskip(NEXT) | instid1(VALU_DEP_1)
	v_mad_co_u64_u32 v[0:1], null, v0, 40, v[246:247]
	v_ashrrev_i32_e32 v1, 31, v0
	s_wait_dscnt 0x0
	v_lshrrev_b32_e32 v3, 16, v2
	v_cvt_f32_f16_e32 v2, v2
	s_delay_alu instid0(VALU_DEP_3) | instskip(NEXT) | instid1(VALU_DEP_3)
	v_lshlrev_b64_e32 v[0:1], 3, v[0:1]
	v_cvt_f32_f16_e32 v3, v3
	s_delay_alu instid0(VALU_DEP_3) | instskip(NEXT) | instid1(VALU_DEP_3)
	v_add_f32_e32 v2, 0, v2
	v_add_co_u32 v4, vcc_lo, s72, v0
	s_delay_alu instid0(VALU_DEP_3)
	v_add_f32_e32 v3, 0, v3
	s_wait_alu 0xfffd
	v_add_co_ci_u32_e64 v5, null, s73, v1, vcc_lo
	v_mov_b32_e32 v0, 0
	global_store_b64 v[4:5], v[2:3], off
.LBB9_111:                              ;   in Loop: Header=BB9_9 Depth=1
	s_wait_alu 0xfffe
	s_or_b32 exec_lo, exec_lo, s3
	s_mov_b32 s3, -1
	s_mov_b32 s4, exec_lo
	v_cmpx_gt_i32_e32 50, v0
; %bb.112:                              ;   in Loop: Header=BB9_9 Depth=1
	v_cmp_eq_u32_e32 vcc_lo, 0, v0
	s_or_not1_b32 s3, vcc_lo, exec_lo
; %bb.113:                              ;   in Loop: Header=BB9_9 Depth=1
	s_wait_alu 0xfffe
	s_or_b32 exec_lo, exec_lo, s4
	s_delay_alu instid0(SALU_CYCLE_1)
	s_and_b32 exec_lo, exec_lo, s3
	s_cbranch_execz .LBB9_181
; %bb.114:                              ;   in Loop: Header=BB9_9 Depth=1
	v_cmp_gt_i32_e32 vcc_lo, s24, v216
	v_mov_b32_e32 v0, 50
	s_and_b32 s4, vcc_lo, s1
	s_wait_alu 0xfffe
	s_and_saveexec_b32 s3, s4
	s_cbranch_execz .LBB9_116
; %bb.115:                              ;   in Loop: Header=BB9_9 Depth=1
	v_add_nc_u32_e32 v0, v219, v202
	ds_load_b32 v2, v0
	v_mad_co_u64_u32 v[0:1], null, v216, s25, v[229:230]
	s_delay_alu instid0(VALU_DEP_1) | instskip(NEXT) | instid1(VALU_DEP_1)
	v_mad_co_u64_u32 v[0:1], null, v0, 40, v[246:247]
	v_ashrrev_i32_e32 v1, 31, v0
	s_wait_dscnt 0x0
	v_lshrrev_b32_e32 v3, 16, v2
	v_cvt_f32_f16_e32 v2, v2
	s_delay_alu instid0(VALU_DEP_3) | instskip(NEXT) | instid1(VALU_DEP_3)
	v_lshlrev_b64_e32 v[0:1], 3, v[0:1]
	v_cvt_f32_f16_e32 v3, v3
	s_delay_alu instid0(VALU_DEP_3) | instskip(NEXT) | instid1(VALU_DEP_3)
	v_add_f32_e32 v2, 0, v2
	v_add_co_u32 v4, vcc_lo, s72, v0
	s_delay_alu instid0(VALU_DEP_3)
	v_add_f32_e32 v3, 0, v3
	s_wait_alu 0xfffd
	v_add_co_ci_u32_e64 v5, null, s73, v1, vcc_lo
	v_mov_b32_e32 v0, 0
	global_store_b64 v[4:5], v[2:3], off
.LBB9_116:                              ;   in Loop: Header=BB9_9 Depth=1
	s_wait_alu 0xfffe
	s_or_b32 exec_lo, exec_lo, s3
	s_mov_b32 s3, -1
	s_mov_b32 s4, exec_lo
	v_cmpx_gt_i32_e32 50, v0
; %bb.117:                              ;   in Loop: Header=BB9_9 Depth=1
	v_cmp_eq_u32_e32 vcc_lo, 0, v0
	s_or_not1_b32 s3, vcc_lo, exec_lo
; %bb.118:                              ;   in Loop: Header=BB9_9 Depth=1
	s_wait_alu 0xfffe
	s_or_b32 exec_lo, exec_lo, s4
	s_delay_alu instid0(SALU_CYCLE_1)
	s_and_b32 exec_lo, exec_lo, s3
	s_cbranch_execz .LBB9_181
; %bb.119:                              ;   in Loop: Header=BB9_9 Depth=1
	v_cmp_gt_i32_e32 vcc_lo, s24, v214
	v_mov_b32_e32 v0, 50
	s_and_b32 s4, vcc_lo, s1
	;; [unrolled: 44-line block ×3, first 2 shown]
	s_wait_alu 0xfffe
	s_and_saveexec_b32 s3, s4
	s_cbranch_execz .LBB9_126
; %bb.125:                              ;   in Loop: Header=BB9_9 Depth=1
	scratch_load_b32 v0, off, off offset:400 ; 4-byte Folded Reload
	s_wait_loadcnt 0x0
	ds_load_b32 v2, v0
	v_mad_co_u64_u32 v[0:1], null, v213, s25, v[229:230]
	s_delay_alu instid0(VALU_DEP_1) | instskip(NEXT) | instid1(VALU_DEP_1)
	v_mad_co_u64_u32 v[0:1], null, v0, 40, v[246:247]
	v_ashrrev_i32_e32 v1, 31, v0
	s_wait_dscnt 0x0
	v_lshrrev_b32_e32 v3, 16, v2
	v_cvt_f32_f16_e32 v2, v2
	s_delay_alu instid0(VALU_DEP_3) | instskip(NEXT) | instid1(VALU_DEP_3)
	v_lshlrev_b64_e32 v[0:1], 3, v[0:1]
	v_cvt_f32_f16_e32 v3, v3
	s_delay_alu instid0(VALU_DEP_3) | instskip(NEXT) | instid1(VALU_DEP_3)
	v_add_f32_e32 v2, 0, v2
	v_add_co_u32 v4, vcc_lo, s72, v0
	s_delay_alu instid0(VALU_DEP_3)
	v_add_f32_e32 v3, 0, v3
	s_wait_alu 0xfffd
	v_add_co_ci_u32_e64 v5, null, s73, v1, vcc_lo
	v_mov_b32_e32 v0, 0
	global_store_b64 v[4:5], v[2:3], off
.LBB9_126:                              ;   in Loop: Header=BB9_9 Depth=1
	s_wait_alu 0xfffe
	s_or_b32 exec_lo, exec_lo, s3
	s_mov_b32 s3, -1
	s_mov_b32 s4, exec_lo
	v_cmpx_gt_i32_e32 50, v0
; %bb.127:                              ;   in Loop: Header=BB9_9 Depth=1
	v_cmp_eq_u32_e32 vcc_lo, 0, v0
	s_or_not1_b32 s3, vcc_lo, exec_lo
; %bb.128:                              ;   in Loop: Header=BB9_9 Depth=1
	s_wait_alu 0xfffe
	s_or_b32 exec_lo, exec_lo, s4
	s_delay_alu instid0(SALU_CYCLE_1)
	s_and_b32 exec_lo, exec_lo, s3
	s_cbranch_execz .LBB9_181
; %bb.129:                              ;   in Loop: Header=BB9_9 Depth=1
	v_cmp_gt_i32_e32 vcc_lo, s24, v158
	v_mov_b32_e32 v0, 50
	s_and_b32 s4, vcc_lo, s1
	s_wait_alu 0xfffe
	s_and_saveexec_b32 s3, s4
	s_cbranch_execz .LBB9_131
; %bb.130:                              ;   in Loop: Header=BB9_9 Depth=1
	v_add_nc_u32_e32 v0, v219, v204
	ds_load_b32 v2, v0 offset:1408
	v_mad_co_u64_u32 v[0:1], null, v158, s25, v[229:230]
	s_delay_alu instid0(VALU_DEP_1) | instskip(NEXT) | instid1(VALU_DEP_1)
	v_mad_co_u64_u32 v[0:1], null, v0, 40, v[246:247]
	v_ashrrev_i32_e32 v1, 31, v0
	s_wait_dscnt 0x0
	v_lshrrev_b32_e32 v3, 16, v2
	v_cvt_f32_f16_e32 v2, v2
	s_delay_alu instid0(VALU_DEP_3) | instskip(NEXT) | instid1(VALU_DEP_3)
	v_lshlrev_b64_e32 v[0:1], 3, v[0:1]
	v_cvt_f32_f16_e32 v3, v3
	s_delay_alu instid0(VALU_DEP_3) | instskip(NEXT) | instid1(VALU_DEP_3)
	v_add_f32_e32 v2, 0, v2
	v_add_co_u32 v4, vcc_lo, s72, v0
	s_delay_alu instid0(VALU_DEP_3)
	v_add_f32_e32 v3, 0, v3
	s_wait_alu 0xfffd
	v_add_co_ci_u32_e64 v5, null, s73, v1, vcc_lo
	v_mov_b32_e32 v0, 0
	global_store_b64 v[4:5], v[2:3], off
.LBB9_131:                              ;   in Loop: Header=BB9_9 Depth=1
	s_wait_alu 0xfffe
	s_or_b32 exec_lo, exec_lo, s3
	s_mov_b32 s3, -1
	s_mov_b32 s4, exec_lo
	v_cmpx_gt_i32_e32 50, v0
; %bb.132:                              ;   in Loop: Header=BB9_9 Depth=1
	v_cmp_eq_u32_e32 vcc_lo, 0, v0
	s_or_not1_b32 s3, vcc_lo, exec_lo
; %bb.133:                              ;   in Loop: Header=BB9_9 Depth=1
	s_wait_alu 0xfffe
	s_or_b32 exec_lo, exec_lo, s4
	s_delay_alu instid0(SALU_CYCLE_1)
	s_and_b32 exec_lo, exec_lo, s3
	s_cbranch_execz .LBB9_181
; %bb.134:                              ;   in Loop: Header=BB9_9 Depth=1
	v_cmp_gt_i32_e32 vcc_lo, s24, v212
	v_mov_b32_e32 v0, 50
	s_and_b32 s4, vcc_lo, s1
	s_wait_alu 0xfffe
	s_and_saveexec_b32 s3, s4
	s_cbranch_execz .LBB9_136
; %bb.135:                              ;   in Loop: Header=BB9_9 Depth=1
	v_add_nc_u32_e32 v0, v219, v204
	ds_load_b32 v2, v0 offset:2112
	v_mad_co_u64_u32 v[0:1], null, v212, s25, v[229:230]
	s_delay_alu instid0(VALU_DEP_1) | instskip(NEXT) | instid1(VALU_DEP_1)
	v_mad_co_u64_u32 v[0:1], null, v0, 40, v[246:247]
	v_ashrrev_i32_e32 v1, 31, v0
	s_wait_dscnt 0x0
	v_lshrrev_b32_e32 v3, 16, v2
	v_cvt_f32_f16_e32 v2, v2
	s_delay_alu instid0(VALU_DEP_3) | instskip(NEXT) | instid1(VALU_DEP_3)
	v_lshlrev_b64_e32 v[0:1], 3, v[0:1]
	v_cvt_f32_f16_e32 v3, v3
	s_delay_alu instid0(VALU_DEP_3) | instskip(NEXT) | instid1(VALU_DEP_3)
	v_add_f32_e32 v2, 0, v2
	v_add_co_u32 v4, vcc_lo, s72, v0
	s_delay_alu instid0(VALU_DEP_3)
	v_add_f32_e32 v3, 0, v3
	s_wait_alu 0xfffd
	v_add_co_ci_u32_e64 v5, null, s73, v1, vcc_lo
	v_mov_b32_e32 v0, 0
	global_store_b64 v[4:5], v[2:3], off
.LBB9_136:                              ;   in Loop: Header=BB9_9 Depth=1
	;; [unrolled: 44-line block ×3, first 2 shown]
	s_wait_alu 0xfffe
	s_or_b32 exec_lo, exec_lo, s3
	s_mov_b32 s3, -1
	s_mov_b32 s4, exec_lo
	v_cmpx_gt_i32_e32 50, v0
; %bb.142:                              ;   in Loop: Header=BB9_9 Depth=1
	v_cmp_eq_u32_e32 vcc_lo, 0, v0
	s_or_not1_b32 s3, vcc_lo, exec_lo
; %bb.143:                              ;   in Loop: Header=BB9_9 Depth=1
	s_wait_alu 0xfffe
	s_or_b32 exec_lo, exec_lo, s4
	s_delay_alu instid0(SALU_CYCLE_1)
	s_and_b32 exec_lo, exec_lo, s3
	s_cbranch_execz .LBB9_181
; %bb.144:                              ;   in Loop: Header=BB9_9 Depth=1
	v_cmp_gt_i32_e32 vcc_lo, s24, v211
	v_mov_b32_e32 v0, 50
	s_and_b32 s4, vcc_lo, s1
	s_wait_alu 0xfffe
	s_and_saveexec_b32 s3, s4
	s_cbranch_execz .LBB9_146
; %bb.145:                              ;   in Loop: Header=BB9_9 Depth=1
	scratch_load_b32 v0, off, off offset:420 ; 4-byte Folded Reload
	s_wait_loadcnt 0x0
	ds_load_b32 v2, v0
	v_mad_co_u64_u32 v[0:1], null, v211, s25, v[229:230]
	s_delay_alu instid0(VALU_DEP_1) | instskip(NEXT) | instid1(VALU_DEP_1)
	v_mad_co_u64_u32 v[0:1], null, v0, 40, v[246:247]
	v_ashrrev_i32_e32 v1, 31, v0
	s_wait_dscnt 0x0
	v_lshrrev_b32_e32 v3, 16, v2
	v_cvt_f32_f16_e32 v2, v2
	s_delay_alu instid0(VALU_DEP_3) | instskip(NEXT) | instid1(VALU_DEP_3)
	v_lshlrev_b64_e32 v[0:1], 3, v[0:1]
	v_cvt_f32_f16_e32 v3, v3
	s_delay_alu instid0(VALU_DEP_3) | instskip(NEXT) | instid1(VALU_DEP_3)
	v_add_f32_e32 v2, 0, v2
	v_add_co_u32 v4, vcc_lo, s72, v0
	s_delay_alu instid0(VALU_DEP_3)
	v_add_f32_e32 v3, 0, v3
	s_wait_alu 0xfffd
	v_add_co_ci_u32_e64 v5, null, s73, v1, vcc_lo
	v_mov_b32_e32 v0, 0
	global_store_b64 v[4:5], v[2:3], off
.LBB9_146:                              ;   in Loop: Header=BB9_9 Depth=1
	s_wait_alu 0xfffe
	s_or_b32 exec_lo, exec_lo, s3
	s_mov_b32 s3, -1
	s_mov_b32 s4, exec_lo
	v_cmpx_gt_i32_e32 50, v0
; %bb.147:                              ;   in Loop: Header=BB9_9 Depth=1
	v_cmp_eq_u32_e32 vcc_lo, 0, v0
	s_or_not1_b32 s3, vcc_lo, exec_lo
; %bb.148:                              ;   in Loop: Header=BB9_9 Depth=1
	s_wait_alu 0xfffe
	s_or_b32 exec_lo, exec_lo, s4
	s_delay_alu instid0(SALU_CYCLE_1)
	s_and_b32 exec_lo, exec_lo, s3
	s_cbranch_execz .LBB9_181
; %bb.149:                              ;   in Loop: Header=BB9_9 Depth=1
	v_cmp_gt_i32_e32 vcc_lo, s24, v210
	v_mov_b32_e32 v0, 50
	s_and_b32 s4, vcc_lo, s1
	s_wait_alu 0xfffe
	s_and_saveexec_b32 s3, s4
	s_cbranch_execz .LBB9_151
; %bb.150:                              ;   in Loop: Header=BB9_9 Depth=1
	v_add_nc_u32_e32 v0, v219, v204
	ds_load_b32 v2, v0 offset:4224
	v_mad_co_u64_u32 v[0:1], null, v210, s25, v[229:230]
	s_delay_alu instid0(VALU_DEP_1) | instskip(NEXT) | instid1(VALU_DEP_1)
	v_mad_co_u64_u32 v[0:1], null, v0, 40, v[246:247]
	v_ashrrev_i32_e32 v1, 31, v0
	s_wait_dscnt 0x0
	v_lshrrev_b32_e32 v3, 16, v2
	v_cvt_f32_f16_e32 v2, v2
	s_delay_alu instid0(VALU_DEP_3) | instskip(NEXT) | instid1(VALU_DEP_3)
	v_lshlrev_b64_e32 v[0:1], 3, v[0:1]
	v_cvt_f32_f16_e32 v3, v3
	s_delay_alu instid0(VALU_DEP_3) | instskip(NEXT) | instid1(VALU_DEP_3)
	v_add_f32_e32 v2, 0, v2
	v_add_co_u32 v4, vcc_lo, s72, v0
	s_delay_alu instid0(VALU_DEP_3)
	v_add_f32_e32 v3, 0, v3
	s_wait_alu 0xfffd
	v_add_co_ci_u32_e64 v5, null, s73, v1, vcc_lo
	v_mov_b32_e32 v0, 0
	global_store_b64 v[4:5], v[2:3], off
.LBB9_151:                              ;   in Loop: Header=BB9_9 Depth=1
	s_wait_alu 0xfffe
	s_or_b32 exec_lo, exec_lo, s3
	s_mov_b32 s3, -1
	s_mov_b32 s4, exec_lo
	v_cmpx_gt_i32_e32 50, v0
; %bb.152:                              ;   in Loop: Header=BB9_9 Depth=1
	v_cmp_eq_u32_e32 vcc_lo, 0, v0
	s_or_not1_b32 s3, vcc_lo, exec_lo
; %bb.153:                              ;   in Loop: Header=BB9_9 Depth=1
	s_wait_alu 0xfffe
	s_or_b32 exec_lo, exec_lo, s4
	s_delay_alu instid0(SALU_CYCLE_1)
	s_and_b32 exec_lo, exec_lo, s3
	s_cbranch_execz .LBB9_181
; %bb.154:                              ;   in Loop: Header=BB9_9 Depth=1
	v_cmp_gt_i32_e32 vcc_lo, s24, v173
	v_mov_b32_e32 v0, 50
	s_and_b32 s4, vcc_lo, s1
	s_wait_alu 0xfffe
	s_and_saveexec_b32 s3, s4
	s_cbranch_execz .LBB9_156
; %bb.155:                              ;   in Loop: Header=BB9_9 Depth=1
	v_add_nc_u32_e32 v0, v219, v204
	ds_load_b32 v2, v0 offset:4928
	v_mad_co_u64_u32 v[0:1], null, v173, s25, v[229:230]
	s_delay_alu instid0(VALU_DEP_1) | instskip(NEXT) | instid1(VALU_DEP_1)
	v_mad_co_u64_u32 v[0:1], null, v0, 40, v[246:247]
	v_ashrrev_i32_e32 v1, 31, v0
	s_wait_dscnt 0x0
	v_lshrrev_b32_e32 v3, 16, v2
	v_cvt_f32_f16_e32 v2, v2
	s_delay_alu instid0(VALU_DEP_3) | instskip(NEXT) | instid1(VALU_DEP_3)
	v_lshlrev_b64_e32 v[0:1], 3, v[0:1]
	v_cvt_f32_f16_e32 v3, v3
	s_delay_alu instid0(VALU_DEP_3) | instskip(NEXT) | instid1(VALU_DEP_3)
	v_add_f32_e32 v2, 0, v2
	v_add_co_u32 v4, vcc_lo, s72, v0
	s_delay_alu instid0(VALU_DEP_3)
	v_add_f32_e32 v3, 0, v3
	s_wait_alu 0xfffd
	v_add_co_ci_u32_e64 v5, null, s73, v1, vcc_lo
	v_mov_b32_e32 v0, 0
	global_store_b64 v[4:5], v[2:3], off
.LBB9_156:                              ;   in Loop: Header=BB9_9 Depth=1
	;; [unrolled: 44-line block ×3, first 2 shown]
	s_wait_alu 0xfffe
	s_or_b32 exec_lo, exec_lo, s3
	s_mov_b32 s3, -1
	s_mov_b32 s4, exec_lo
	v_cmpx_gt_i32_e32 50, v0
; %bb.162:                              ;   in Loop: Header=BB9_9 Depth=1
	v_cmp_eq_u32_e32 vcc_lo, 0, v0
	s_or_not1_b32 s3, vcc_lo, exec_lo
; %bb.163:                              ;   in Loop: Header=BB9_9 Depth=1
	s_wait_alu 0xfffe
	s_or_b32 exec_lo, exec_lo, s4
	s_delay_alu instid0(SALU_CYCLE_1)
	s_and_b32 exec_lo, exec_lo, s3
	s_cbranch_execz .LBB9_181
; %bb.164:                              ;   in Loop: Header=BB9_9 Depth=1
	v_cmp_gt_i32_e32 vcc_lo, s24, v172
	v_mov_b32_e32 v0, 50
	s_and_b32 s4, vcc_lo, s1
	s_wait_alu 0xfffe
	s_and_saveexec_b32 s3, s4
	s_cbranch_execz .LBB9_166
; %bb.165:                              ;   in Loop: Header=BB9_9 Depth=1
	scratch_load_b32 v0, off, off offset:440 ; 4-byte Folded Reload
	s_wait_loadcnt 0x0
	ds_load_b32 v2, v0
	v_mad_co_u64_u32 v[0:1], null, v172, s25, v[229:230]
	s_delay_alu instid0(VALU_DEP_1) | instskip(NEXT) | instid1(VALU_DEP_1)
	v_mad_co_u64_u32 v[0:1], null, v0, 40, v[246:247]
	v_ashrrev_i32_e32 v1, 31, v0
	s_wait_dscnt 0x0
	v_lshrrev_b32_e32 v3, 16, v2
	v_cvt_f32_f16_e32 v2, v2
	s_delay_alu instid0(VALU_DEP_3) | instskip(NEXT) | instid1(VALU_DEP_3)
	v_lshlrev_b64_e32 v[0:1], 3, v[0:1]
	v_cvt_f32_f16_e32 v3, v3
	s_delay_alu instid0(VALU_DEP_3) | instskip(NEXT) | instid1(VALU_DEP_3)
	v_add_f32_e32 v2, 0, v2
	v_add_co_u32 v4, vcc_lo, s72, v0
	s_delay_alu instid0(VALU_DEP_3)
	v_add_f32_e32 v3, 0, v3
	s_wait_alu 0xfffd
	v_add_co_ci_u32_e64 v5, null, s73, v1, vcc_lo
	v_mov_b32_e32 v0, 0
	global_store_b64 v[4:5], v[2:3], off
.LBB9_166:                              ;   in Loop: Header=BB9_9 Depth=1
	s_wait_alu 0xfffe
	s_or_b32 exec_lo, exec_lo, s3
	s_mov_b32 s3, -1
	s_mov_b32 s4, exec_lo
	v_cmpx_gt_i32_e32 50, v0
; %bb.167:                              ;   in Loop: Header=BB9_9 Depth=1
	v_cmp_eq_u32_e32 vcc_lo, 0, v0
	s_or_not1_b32 s3, vcc_lo, exec_lo
; %bb.168:                              ;   in Loop: Header=BB9_9 Depth=1
	s_wait_alu 0xfffe
	s_or_b32 exec_lo, exec_lo, s4
	s_delay_alu instid0(SALU_CYCLE_1)
	s_and_b32 exec_lo, exec_lo, s3
	s_cbranch_execz .LBB9_181
; %bb.169:                              ;   in Loop: Header=BB9_9 Depth=1
	v_cmp_gt_i32_e32 vcc_lo, s24, v171
	v_mov_b32_e32 v0, 50
	s_and_b32 s4, vcc_lo, s1
	s_wait_alu 0xfffe
	s_and_saveexec_b32 s3, s4
	s_cbranch_execz .LBB9_171
; %bb.170:                              ;   in Loop: Header=BB9_9 Depth=1
	v_add_nc_u32_e32 v0, v219, v204
	ds_load_b32 v2, v0 offset:7040
	v_mad_co_u64_u32 v[0:1], null, v171, s25, v[229:230]
	s_delay_alu instid0(VALU_DEP_1) | instskip(NEXT) | instid1(VALU_DEP_1)
	v_mad_co_u64_u32 v[0:1], null, v0, 40, v[246:247]
	v_ashrrev_i32_e32 v1, 31, v0
	s_wait_dscnt 0x0
	v_lshrrev_b32_e32 v3, 16, v2
	v_cvt_f32_f16_e32 v2, v2
	s_delay_alu instid0(VALU_DEP_3) | instskip(NEXT) | instid1(VALU_DEP_3)
	v_lshlrev_b64_e32 v[0:1], 3, v[0:1]
	v_cvt_f32_f16_e32 v3, v3
	s_delay_alu instid0(VALU_DEP_3) | instskip(NEXT) | instid1(VALU_DEP_3)
	v_add_f32_e32 v2, 0, v2
	v_add_co_u32 v4, vcc_lo, s72, v0
	s_delay_alu instid0(VALU_DEP_3)
	v_add_f32_e32 v3, 0, v3
	s_wait_alu 0xfffd
	v_add_co_ci_u32_e64 v5, null, s73, v1, vcc_lo
	v_mov_b32_e32 v0, 0
	global_store_b64 v[4:5], v[2:3], off
.LBB9_171:                              ;   in Loop: Header=BB9_9 Depth=1
	s_wait_alu 0xfffe
	s_or_b32 exec_lo, exec_lo, s3
	s_mov_b32 s3, -1
	s_mov_b32 s4, exec_lo
	v_cmpx_gt_i32_e32 50, v0
; %bb.172:                              ;   in Loop: Header=BB9_9 Depth=1
	v_cmp_eq_u32_e32 vcc_lo, 0, v0
	s_or_not1_b32 s3, vcc_lo, exec_lo
; %bb.173:                              ;   in Loop: Header=BB9_9 Depth=1
	s_wait_alu 0xfffe
	s_or_b32 exec_lo, exec_lo, s4
	s_delay_alu instid0(SALU_CYCLE_1)
	s_and_b32 exec_lo, exec_lo, s3
	s_cbranch_execz .LBB9_181
; %bb.174:                              ;   in Loop: Header=BB9_9 Depth=1
	v_cmp_gt_i32_e32 vcc_lo, s24, v170
	v_mov_b32_e32 v0, 50
	s_and_b32 s4, vcc_lo, s1
	s_wait_alu 0xfffe
	s_and_saveexec_b32 s3, s4
	s_cbranch_execz .LBB9_176
; %bb.175:                              ;   in Loop: Header=BB9_9 Depth=1
	v_add_nc_u32_e32 v0, v219, v204
	ds_load_b32 v2, v0 offset:7744
	v_mad_co_u64_u32 v[0:1], null, v170, s25, v[229:230]
	s_delay_alu instid0(VALU_DEP_1) | instskip(NEXT) | instid1(VALU_DEP_1)
	v_mad_co_u64_u32 v[0:1], null, v0, 40, v[246:247]
	v_ashrrev_i32_e32 v1, 31, v0
	s_wait_dscnt 0x0
	v_lshrrev_b32_e32 v3, 16, v2
	v_cvt_f32_f16_e32 v2, v2
	s_delay_alu instid0(VALU_DEP_3) | instskip(NEXT) | instid1(VALU_DEP_3)
	v_lshlrev_b64_e32 v[0:1], 3, v[0:1]
	v_cvt_f32_f16_e32 v3, v3
	s_delay_alu instid0(VALU_DEP_3) | instskip(NEXT) | instid1(VALU_DEP_3)
	v_add_f32_e32 v2, 0, v2
	v_add_co_u32 v4, vcc_lo, s72, v0
	s_delay_alu instid0(VALU_DEP_3)
	v_add_f32_e32 v3, 0, v3
	s_wait_alu 0xfffd
	v_add_co_ci_u32_e64 v5, null, s73, v1, vcc_lo
	v_mov_b32_e32 v0, 0
	global_store_b64 v[4:5], v[2:3], off
.LBB9_176:                              ;   in Loop: Header=BB9_9 Depth=1
	s_wait_alu 0xfffe
	s_or_b32 exec_lo, exec_lo, s3
	s_mov_b32 s3, -1
	s_mov_b32 s4, exec_lo
	v_cmpx_gt_i32_e32 50, v0
; %bb.177:                              ;   in Loop: Header=BB9_9 Depth=1
	v_cmp_eq_u32_e32 vcc_lo, 0, v0
	s_or_not1_b32 s3, vcc_lo, exec_lo
; %bb.178:                              ;   in Loop: Header=BB9_9 Depth=1
	s_wait_alu 0xfffe
	s_or_b32 exec_lo, exec_lo, s4
	s_delay_alu instid0(SALU_CYCLE_1)
	s_and_b32 exec_lo, exec_lo, s3
	s_cbranch_execz .LBB9_181
; %bb.179:                              ;   in Loop: Header=BB9_9 Depth=1
	v_cmp_gt_i32_e32 vcc_lo, s24, v168
	s_and_b32 s1, vcc_lo, s1
	s_wait_alu 0xfffe
	s_and_b32 exec_lo, exec_lo, s1
	s_cbranch_execz .LBB9_181
; %bb.180:                              ;   in Loop: Header=BB9_9 Depth=1
	v_add_nc_u32_e32 v0, v219, v204
	ds_load_b32 v2, v0 offset:8448
	v_mad_co_u64_u32 v[0:1], null, v168, s25, v[229:230]
	s_delay_alu instid0(VALU_DEP_1) | instskip(NEXT) | instid1(VALU_DEP_1)
	v_mad_co_u64_u32 v[0:1], null, v0, 40, v[246:247]
	v_ashrrev_i32_e32 v1, 31, v0
	s_wait_dscnt 0x0
	v_lshrrev_b32_e32 v3, 16, v2
	v_cvt_f32_f16_e32 v2, v2
	s_delay_alu instid0(VALU_DEP_3) | instskip(NEXT) | instid1(VALU_DEP_3)
	v_lshlrev_b64_e32 v[0:1], 3, v[0:1]
	v_cvt_f32_f16_e32 v3, v3
	s_delay_alu instid0(VALU_DEP_3) | instskip(NEXT) | instid1(VALU_DEP_3)
	v_add_f32_e32 v2, 0, v2
	v_add_co_u32 v0, vcc_lo, s72, v0
	s_delay_alu instid0(VALU_DEP_3)
	v_add_f32_e32 v3, 0, v3
	s_wait_alu 0xfffd
	v_add_co_ci_u32_e64 v1, null, s73, v1, vcc_lo
	global_store_b64 v[0:1], v[2:3], off
.LBB9_181:                              ;   in Loop: Header=BB9_9 Depth=1
	s_wait_alu 0xfffe
	s_or_b32 exec_lo, exec_lo, s0
	v_cmp_gt_i32_e64 s3, s24, v156
	v_cmp_gt_i32_e64 s4, s33, v169
	v_mov_b32_e32 v0, 50
	v_cmp_le_i32_e32 vcc_lo, s33, v169
	s_and_b32 s1, s3, s4
	s_wait_alu 0xfffe
	s_and_saveexec_b32 s0, s1
	s_cbranch_execz .LBB9_183
; %bb.182:                              ;   in Loop: Header=BB9_9 Depth=1
	v_add_nc_u32_e32 v0, v177, v160
	ds_load_b32 v2, v0 offset:128
	v_mad_co_u64_u32 v[0:1], null, v156, s25, v[22:23]
	s_delay_alu instid0(VALU_DEP_1) | instskip(NEXT) | instid1(VALU_DEP_1)
	v_mul_lo_u32 v0, v0, 40
	v_ashrrev_i32_e32 v1, 31, v0
	v_or_b32_e32 v0, v0, v254
	s_wait_dscnt 0x0
	v_lshrrev_b32_e32 v3, 16, v2
	v_cvt_f32_f16_e32 v2, v2
	s_delay_alu instid0(VALU_DEP_3) | instskip(NEXT) | instid1(VALU_DEP_3)
	v_lshlrev_b64_e32 v[0:1], 3, v[0:1]
	v_cvt_f32_f16_e32 v3, v3
	s_delay_alu instid0(VALU_DEP_3) | instskip(NEXT) | instid1(VALU_DEP_3)
	v_add_f32_e32 v2, 0, v2
	v_add_co_u32 v4, s3, s72, v0
	s_delay_alu instid0(VALU_DEP_3)
	v_add_f32_e32 v3, 0, v3
	s_wait_alu 0xf1ff
	v_add_co_ci_u32_e64 v5, null, s73, v1, s3
	v_mov_b32_e32 v0, 0
	global_store_b64 v[4:5], v[2:3], off offset:256
.LBB9_183:                              ;   in Loop: Header=BB9_9 Depth=1
	s_wait_alu 0xfffe
	s_or_b32 exec_lo, exec_lo, s0
	s_mov_b32 s4, -1
	s_mov_b32 s0, exec_lo
	v_cmpx_gt_i32_e32 50, v0
; %bb.184:                              ;   in Loop: Header=BB9_9 Depth=1
	v_cmp_eq_u32_e64 s3, 0, v0
	s_or_not1_b32 s4, s3, exec_lo
; %bb.185:                              ;   in Loop: Header=BB9_9 Depth=1
	s_wait_alu 0xfffe
	s_or_b32 exec_lo, exec_lo, s0
	s_mov_b32 s0, 0
	s_mov_b32 s39, 0
                                        ; implicit-def: $vgpr1
	s_and_saveexec_b32 s1, s4
	s_cbranch_execz .LBB9_201
; %bb.186:                              ;   in Loop: Header=BB9_9 Depth=1
	v_cmp_gt_i32_e64 s3, s24, v155
	v_mov_b32_e32 v0, 50
	s_xor_b32 s4, vcc_lo, -1
	s_wait_alu 0xfffe
	s_and_b32 s5, s3, s4
	s_wait_alu 0xfffe
	s_and_saveexec_b32 s3, s5
	s_cbranch_execz .LBB9_188
; %bb.187:                              ;   in Loop: Header=BB9_9 Depth=1
	scratch_load_b32 v0, off, off offset:352 ; 4-byte Folded Reload
	s_wait_loadcnt 0x0
	ds_load_b32 v2, v0 offset:128
	v_mad_co_u64_u32 v[0:1], null, v155, s25, v[22:23]
	s_delay_alu instid0(VALU_DEP_1) | instskip(NEXT) | instid1(VALU_DEP_1)
	v_mul_lo_u32 v0, v0, 40
	v_ashrrev_i32_e32 v1, 31, v0
	v_or_b32_e32 v0, v0, v254
	s_wait_dscnt 0x0
	v_lshrrev_b32_e32 v3, 16, v2
	v_cvt_f32_f16_e32 v2, v2
	s_delay_alu instid0(VALU_DEP_3) | instskip(NEXT) | instid1(VALU_DEP_3)
	v_lshlrev_b64_e32 v[0:1], 3, v[0:1]
	v_cvt_f32_f16_e32 v3, v3
	s_delay_alu instid0(VALU_DEP_3) | instskip(NEXT) | instid1(VALU_DEP_3)
	v_add_f32_e32 v2, 0, v2
	v_add_co_u32 v4, vcc_lo, s72, v0
	s_delay_alu instid0(VALU_DEP_3)
	v_add_f32_e32 v3, 0, v3
	s_wait_alu 0xfffd
	v_add_co_ci_u32_e64 v5, null, s73, v1, vcc_lo
	v_mov_b32_e32 v0, 0
	global_store_b64 v[4:5], v[2:3], off offset:256
.LBB9_188:                              ;   in Loop: Header=BB9_9 Depth=1
	s_wait_alu 0xfffe
	s_or_b32 exec_lo, exec_lo, s3
	s_mov_b32 s30, -1
	s_mov_b32 s3, exec_lo
	v_cmpx_gt_i32_e32 50, v0
; %bb.189:                              ;   in Loop: Header=BB9_9 Depth=1
	v_cmp_eq_u32_e32 vcc_lo, 0, v0
	s_or_not1_b32 s30, vcc_lo, exec_lo
; %bb.190:                              ;   in Loop: Header=BB9_9 Depth=1
	s_wait_alu 0xfffe
	s_or_b32 exec_lo, exec_lo, s3
	s_mov_b32 s5, 0
                                        ; implicit-def: $vgpr1
	s_and_saveexec_b32 s3, s30
	s_cbranch_execz .LBB9_200
; %bb.191:                              ;   in Loop: Header=BB9_9 Depth=1
	v_cmp_gt_i32_e32 vcc_lo, s24, v154
	v_mov_b32_e32 v0, 50
	s_and_b32 s30, vcc_lo, s4
	s_wait_alu 0xfffe
	s_and_saveexec_b32 s5, s30
	s_cbranch_execz .LBB9_193
; %bb.192:                              ;   in Loop: Header=BB9_9 Depth=1
	scratch_load_b32 v0, off, off offset:368 ; 4-byte Folded Reload
	s_wait_loadcnt 0x0
	ds_load_b32 v2, v0 offset:128
	v_mad_co_u64_u32 v[0:1], null, v154, s25, v[22:23]
	s_delay_alu instid0(VALU_DEP_1) | instskip(NEXT) | instid1(VALU_DEP_1)
	v_mul_lo_u32 v0, v0, 40
	v_ashrrev_i32_e32 v1, 31, v0
	v_or_b32_e32 v0, v0, v254
	s_wait_dscnt 0x0
	v_lshrrev_b32_e32 v3, 16, v2
	v_cvt_f32_f16_e32 v2, v2
	s_delay_alu instid0(VALU_DEP_3) | instskip(NEXT) | instid1(VALU_DEP_3)
	v_lshlrev_b64_e32 v[0:1], 3, v[0:1]
	v_cvt_f32_f16_e32 v3, v3
	s_delay_alu instid0(VALU_DEP_3) | instskip(NEXT) | instid1(VALU_DEP_3)
	v_add_f32_e32 v2, 0, v2
	v_add_co_u32 v4, vcc_lo, s72, v0
	s_delay_alu instid0(VALU_DEP_3)
	v_add_f32_e32 v3, 0, v3
	s_wait_alu 0xfffd
	v_add_co_ci_u32_e64 v5, null, s73, v1, vcc_lo
	v_mov_b32_e32 v0, 0
	global_store_b64 v[4:5], v[2:3], off offset:256
.LBB9_193:                              ;   in Loop: Header=BB9_9 Depth=1
	s_wait_alu 0xfffe
	s_or_b32 exec_lo, exec_lo, s5
	s_mov_b32 s39, -1
	s_mov_b32 s5, exec_lo
	v_cmpx_gt_i32_e32 50, v0
; %bb.194:                              ;   in Loop: Header=BB9_9 Depth=1
	v_cmp_eq_u32_e32 vcc_lo, 0, v0
	s_or_not1_b32 s39, vcc_lo, exec_lo
; %bb.195:                              ;   in Loop: Header=BB9_9 Depth=1
	s_wait_alu 0xfffe
	s_or_b32 exec_lo, exec_lo, s5
	s_mov_b32 s30, 0
                                        ; implicit-def: $vgpr1
	s_and_saveexec_b32 s5, s39
	s_cbranch_execz .LBB9_199
; %bb.196:                              ;   in Loop: Header=BB9_9 Depth=1
	v_cmp_gt_i32_e32 vcc_lo, s24, v215
                                        ; implicit-def: $vgpr1
	s_and_b32 s30, vcc_lo, s4
	s_mov_b32 s4, 0
	s_wait_alu 0xfffe
	s_and_saveexec_b32 s39, s30
	s_wait_alu 0xfffe
	s_xor_b32 s30, exec_lo, s39
	s_cbranch_execz .LBB9_198
; %bb.197:                              ;   in Loop: Header=BB9_9 Depth=1
	scratch_load_b32 v0, off, off offset:384 ; 4-byte Folded Reload
	s_mov_b32 s4, exec_lo
	s_wait_loadcnt 0x0
	ds_load_b32 v0, v0 offset:128
	s_wait_dscnt 0x0
	v_lshrrev_b32_e32 v1, 16, v0
	v_cvt_f32_f16_e32 v0, v0
	s_delay_alu instid0(VALU_DEP_2) | instskip(NEXT) | instid1(VALU_DEP_1)
	v_cvt_f32_f16_e32 v1, v1
	v_dual_add_f32 v0, 0, v0 :: v_dual_add_f32 v1, 0, v1
.LBB9_198:                              ;   in Loop: Header=BB9_9 Depth=1
	s_wait_alu 0xfffe
	s_or_b32 exec_lo, exec_lo, s30
	s_delay_alu instid0(SALU_CYCLE_1)
	s_and_b32 s30, s4, exec_lo
.LBB9_199:                              ;   in Loop: Header=BB9_9 Depth=1
	s_wait_alu 0xfffe
	s_or_b32 exec_lo, exec_lo, s5
	s_delay_alu instid0(SALU_CYCLE_1)
	s_and_b32 s5, s30, exec_lo
.LBB9_200:                              ;   in Loop: Header=BB9_9 Depth=1
	s_wait_alu 0xfffe
	s_or_b32 exec_lo, exec_lo, s3
	s_delay_alu instid0(SALU_CYCLE_1)
	s_and_b32 s39, s5, exec_lo
.LBB9_201:                              ;   in Loop: Header=BB9_9 Depth=1
	s_wait_alu 0xfffe
	s_or_b32 exec_lo, exec_lo, s1
	s_delay_alu instid0(SALU_CYCLE_1)
	s_and_b32 vcc_lo, exec_lo, s0
	s_wait_alu 0xfffe
	s_cbranch_vccz .LBB9_391
.LBB9_202:                              ;   in Loop: Header=BB9_9 Depth=1
	s_lshl_b32 s4, s6, 5
	v_cmp_gt_i32_e32 vcc_lo, s33, v153
	s_wait_alu 0xfffe
	v_add_nc_u32_e32 v158, s4, v197
	s_delay_alu instid0(VALU_DEP_1) | instskip(SKIP_1) | instid1(SALU_CYCLE_1)
	v_cmp_gt_i32_e64 s3, s24, v158
	s_and_b32 s59, s3, vcc_lo
	s_xor_b32 s0, s59, -1
	s_wait_alu 0xfffe
	s_and_saveexec_b32 s1, s0
	s_wait_alu 0xfffe
	s_xor_b32 s0, exec_lo, s1
; %bb.203:                              ;   in Loop: Header=BB9_9 Depth=1
	v_add_nc_u32_e32 v0, v219, v198
	ds_store_b32 v0, v230
; %bb.204:                              ;   in Loop: Header=BB9_9 Depth=1
	s_wait_alu 0xfffe
	s_and_not1_saveexec_b32 s0, s0
	s_cbranch_execz .LBB9_206
; %bb.205:                              ;   in Loop: Header=BB9_9 Depth=1
	v_mad_co_u64_u32 v[0:1], null, v158, s7, v[136:137]
	s_delay_alu instid0(VALU_DEP_1) | instskip(NEXT) | instid1(VALU_DEP_1)
	v_ashrrev_i32_e32 v1, 31, v0
	v_lshlrev_b64_e32 v[0:1], 3, v[0:1]
	s_delay_alu instid0(VALU_DEP_1) | instskip(SKIP_1) | instid1(VALU_DEP_2)
	v_add_co_u32 v0, s3, s90, v0
	s_wait_alu 0xf1ff
	v_add_co_ci_u32_e64 v1, null, s91, v1, s3
	global_load_b64 v[0:1], v[0:1], off
	s_wait_loadcnt 0x0
	v_cvt_f16_f32_e32 v0, v0
	v_cvt_f16_f32_e32 v1, v1
	s_delay_alu instid0(VALU_DEP_1) | instskip(SKIP_1) | instid1(VALU_DEP_2)
	v_pack_b32_f16 v0, v0, v1
	v_add_nc_u32_e32 v1, v219, v198
	v_pk_mul_f16 v0, v0, s100
	ds_store_b32 v1, v0
.LBB9_206:                              ;   in Loop: Header=BB9_9 Depth=1
	s_wait_alu 0xfffe
	s_or_b32 exec_lo, exec_lo, s0
	v_add_nc_u32_e32 v157, s4, v199
	s_delay_alu instid0(VALU_DEP_1) | instskip(SKIP_1) | instid1(SALU_CYCLE_1)
	v_cmp_gt_i32_e64 s3, s24, v157
	s_and_b32 s58, s3, vcc_lo
	s_xor_b32 s0, s58, -1
	s_wait_alu 0xfffe
	s_and_saveexec_b32 s1, s0
	s_wait_alu 0xfffe
	s_xor_b32 s0, exec_lo, s1
; %bb.207:                              ;   in Loop: Header=BB9_9 Depth=1
	v_add_nc_u32_e32 v0, v219, v200
	ds_store_b32 v0, v230
; %bb.208:                              ;   in Loop: Header=BB9_9 Depth=1
	s_wait_alu 0xfffe
	s_and_not1_saveexec_b32 s0, s0
	s_cbranch_execz .LBB9_210
; %bb.209:                              ;   in Loop: Header=BB9_9 Depth=1
	v_mad_co_u64_u32 v[0:1], null, v157, s7, v[136:137]
	s_delay_alu instid0(VALU_DEP_1) | instskip(NEXT) | instid1(VALU_DEP_1)
	v_ashrrev_i32_e32 v1, 31, v0
	v_lshlrev_b64_e32 v[0:1], 3, v[0:1]
	s_delay_alu instid0(VALU_DEP_1) | instskip(SKIP_1) | instid1(VALU_DEP_2)
	v_add_co_u32 v0, s3, s90, v0
	s_wait_alu 0xf1ff
	v_add_co_ci_u32_e64 v1, null, s91, v1, s3
	global_load_b64 v[0:1], v[0:1], off
	s_wait_loadcnt 0x0
	v_cvt_f16_f32_e32 v0, v0
	v_cvt_f16_f32_e32 v1, v1
	s_delay_alu instid0(VALU_DEP_1) | instskip(SKIP_1) | instid1(VALU_DEP_2)
	v_pack_b32_f16 v0, v0, v1
	v_add_nc_u32_e32 v1, v219, v200
	v_pk_mul_f16 v0, v0, s100
	ds_store_b32 v1, v0
.LBB9_210:                              ;   in Loop: Header=BB9_9 Depth=1
	s_wait_alu 0xfffe
	s_or_b32 exec_lo, exec_lo, s0
	v_add_nc_u32_e32 v179, s4, v201
	s_delay_alu instid0(VALU_DEP_1)
	v_cmp_gt_i32_e64 s3, s24, v179
	s_and_b32 s45, s3, vcc_lo
	s_wait_alu 0xfffe
	s_xor_b32 s0, s45, -1
	s_wait_alu 0xfffe
	s_and_saveexec_b32 s1, s0
	s_wait_alu 0xfffe
	s_xor_b32 s0, exec_lo, s1
; %bb.211:                              ;   in Loop: Header=BB9_9 Depth=1
	v_add_nc_u32_e32 v0, v219, v202
	ds_store_b32 v0, v230
; %bb.212:                              ;   in Loop: Header=BB9_9 Depth=1
	s_wait_alu 0xfffe
	s_and_not1_saveexec_b32 s0, s0
	s_cbranch_execz .LBB9_214
; %bb.213:                              ;   in Loop: Header=BB9_9 Depth=1
	v_mad_co_u64_u32 v[0:1], null, v179, s7, v[136:137]
	s_delay_alu instid0(VALU_DEP_1) | instskip(NEXT) | instid1(VALU_DEP_1)
	v_ashrrev_i32_e32 v1, 31, v0
	v_lshlrev_b64_e32 v[0:1], 3, v[0:1]
	s_delay_alu instid0(VALU_DEP_1) | instskip(SKIP_1) | instid1(VALU_DEP_2)
	v_add_co_u32 v0, s3, s90, v0
	s_wait_alu 0xf1ff
	v_add_co_ci_u32_e64 v1, null, s91, v1, s3
	global_load_b64 v[0:1], v[0:1], off
	s_wait_loadcnt 0x0
	v_cvt_f16_f32_e32 v0, v0
	v_cvt_f16_f32_e32 v1, v1
	s_delay_alu instid0(VALU_DEP_1) | instskip(SKIP_1) | instid1(VALU_DEP_2)
	v_pack_b32_f16 v0, v0, v1
	v_add_nc_u32_e32 v1, v219, v202
	v_pk_mul_f16 v0, v0, s100
	ds_store_b32 v1, v0
.LBB9_214:                              ;   in Loop: Header=BB9_9 Depth=1
	s_wait_alu 0xfffe
	s_or_b32 exec_lo, exec_lo, s0
	v_add_nc_u32_e32 v135, s4, v203
	s_delay_alu instid0(VALU_DEP_1) | instskip(SKIP_1) | instid1(SALU_CYCLE_1)
	v_cmp_gt_i32_e64 s3, s24, v135
	s_and_b32 s99, s3, vcc_lo
	s_xor_b32 s0, s99, -1
	s_wait_alu 0xfffe
	s_and_saveexec_b32 s1, s0
	s_wait_alu 0xfffe
	s_xor_b32 s0, exec_lo, s1
; %bb.215:                              ;   in Loop: Header=BB9_9 Depth=1
	v_add_nc_u32_e32 v0, v219, v204
	ds_store_b32 v0, v230
; %bb.216:                              ;   in Loop: Header=BB9_9 Depth=1
	s_wait_alu 0xfffe
	s_and_not1_saveexec_b32 s0, s0
	s_cbranch_execz .LBB9_218
; %bb.217:                              ;   in Loop: Header=BB9_9 Depth=1
	v_mad_co_u64_u32 v[0:1], null, v135, s7, v[136:137]
	s_delay_alu instid0(VALU_DEP_1) | instskip(NEXT) | instid1(VALU_DEP_1)
	v_ashrrev_i32_e32 v1, 31, v0
	v_lshlrev_b64_e32 v[0:1], 3, v[0:1]
	s_delay_alu instid0(VALU_DEP_1) | instskip(SKIP_1) | instid1(VALU_DEP_2)
	v_add_co_u32 v0, s3, s90, v0
	s_wait_alu 0xf1ff
	v_add_co_ci_u32_e64 v1, null, s91, v1, s3
	global_load_b64 v[0:1], v[0:1], off
	s_wait_loadcnt 0x0
	v_cvt_f16_f32_e32 v0, v0
	v_cvt_f16_f32_e32 v1, v1
	s_delay_alu instid0(VALU_DEP_1) | instskip(SKIP_1) | instid1(VALU_DEP_2)
	v_pack_b32_f16 v0, v0, v1
	v_add_nc_u32_e32 v1, v219, v204
	v_pk_mul_f16 v0, v0, s100
	ds_store_b32 v1, v0
.LBB9_218:                              ;   in Loop: Header=BB9_9 Depth=1
	s_wait_alu 0xfffe
	s_or_b32 exec_lo, exec_lo, s0
	v_add_nc_u32_e32 v159, s4, v223
	s_delay_alu instid0(VALU_DEP_1)
	v_cmp_gt_i32_e64 s3, s24, v159
	s_and_b32 s50, s3, vcc_lo
	s_wait_alu 0xfffe
	s_xor_b32 s0, s50, -1
	s_wait_alu 0xfffe
	s_and_saveexec_b32 s1, s0
	s_wait_alu 0xfffe
	s_xor_b32 s0, exec_lo, s1
	s_cbranch_execz .LBB9_220
; %bb.219:                              ;   in Loop: Header=BB9_9 Depth=1
	scratch_load_b32 v0, off, off           ; 4-byte Folded Reload
	s_wait_loadcnt 0x0
	v_add_nc_u32_e32 v0, v219, v0
	ds_store_b32 v0, v230
.LBB9_220:                              ;   in Loop: Header=BB9_9 Depth=1
	s_wait_alu 0xfffe
	s_and_not1_saveexec_b32 s0, s0
	s_cbranch_execz .LBB9_222
; %bb.221:                              ;   in Loop: Header=BB9_9 Depth=1
	v_mad_co_u64_u32 v[0:1], null, v159, s7, v[136:137]
	s_delay_alu instid0(VALU_DEP_1) | instskip(NEXT) | instid1(VALU_DEP_1)
	v_ashrrev_i32_e32 v1, 31, v0
	v_lshlrev_b64_e32 v[0:1], 3, v[0:1]
	s_delay_alu instid0(VALU_DEP_1) | instskip(SKIP_1) | instid1(VALU_DEP_2)
	v_add_co_u32 v0, s3, s90, v0
	s_wait_alu 0xf1ff
	v_add_co_ci_u32_e64 v1, null, s91, v1, s3
	global_load_b64 v[0:1], v[0:1], off
	s_wait_loadcnt 0x0
	v_cvt_f16_f32_e32 v0, v0
	v_cvt_f16_f32_e32 v1, v1
	s_delay_alu instid0(VALU_DEP_1)
	v_pack_b32_f16 v0, v0, v1
	scratch_load_b32 v1, off, off           ; 4-byte Folded Reload
	v_pk_mul_f16 v0, v0, s100
	s_wait_loadcnt 0x0
	v_add_nc_u32_e32 v1, v219, v1
	ds_store_b32 v1, v0
.LBB9_222:                              ;   in Loop: Header=BB9_9 Depth=1
	s_wait_alu 0xfffe
	s_or_b32 exec_lo, exec_lo, s0
	scratch_load_b32 v0, off, off offset:4  ; 4-byte Folded Reload
	s_wait_loadcnt 0x0
	v_add_nc_u32_e32 v241, s4, v0
	s_delay_alu instid0(VALU_DEP_1)
	v_cmp_gt_i32_e64 s3, s24, v241
	s_and_b32 s30, s3, vcc_lo
	s_wait_alu 0xfffe
	s_xor_b32 s0, s30, -1
	s_wait_alu 0xfffe
	s_and_saveexec_b32 s1, s0
	s_wait_alu 0xfffe
	s_xor_b32 s0, exec_lo, s1
	s_cbranch_execz .LBB9_224
; %bb.223:                              ;   in Loop: Header=BB9_9 Depth=1
	scratch_load_b32 v0, off, off offset:8  ; 4-byte Folded Reload
	s_wait_loadcnt 0x0
	v_add_nc_u32_e32 v0, v219, v0
	ds_store_b32 v0, v230
.LBB9_224:                              ;   in Loop: Header=BB9_9 Depth=1
	s_wait_alu 0xfffe
	s_and_not1_saveexec_b32 s0, s0
	s_cbranch_execz .LBB9_226
; %bb.225:                              ;   in Loop: Header=BB9_9 Depth=1
	v_mad_co_u64_u32 v[0:1], null, v241, s7, v[136:137]
	s_delay_alu instid0(VALU_DEP_1) | instskip(NEXT) | instid1(VALU_DEP_1)
	v_ashrrev_i32_e32 v1, 31, v0
	v_lshlrev_b64_e32 v[0:1], 3, v[0:1]
	s_delay_alu instid0(VALU_DEP_1) | instskip(SKIP_1) | instid1(VALU_DEP_2)
	v_add_co_u32 v0, s3, s90, v0
	s_wait_alu 0xf1ff
	v_add_co_ci_u32_e64 v1, null, s91, v1, s3
	global_load_b64 v[0:1], v[0:1], off
	s_wait_loadcnt 0x0
	v_cvt_f16_f32_e32 v0, v0
	v_cvt_f16_f32_e32 v1, v1
	s_delay_alu instid0(VALU_DEP_1)
	v_pack_b32_f16 v0, v0, v1
	scratch_load_b32 v1, off, off offset:8  ; 4-byte Folded Reload
	v_pk_mul_f16 v0, v0, s100
	s_wait_loadcnt 0x0
	v_add_nc_u32_e32 v1, v219, v1
	ds_store_b32 v1, v0
.LBB9_226:                              ;   in Loop: Header=BB9_9 Depth=1
	s_wait_alu 0xfffe
	s_or_b32 exec_lo, exec_lo, s0
	scratch_load_b32 v0, off, off offset:12 ; 4-byte Folded Reload
	s_wait_loadcnt 0x0
	v_add_nc_u32_e32 v243, s4, v0
	s_delay_alu instid0(VALU_DEP_1)
	v_cmp_gt_i32_e64 s3, s24, v243
	s_and_b32 vcc_hi, s3, vcc_lo
	s_wait_alu 0xfffe
	s_xor_b32 s0, vcc_hi, -1
	s_wait_alu 0xfffe
	s_and_saveexec_b32 s1, s0
	s_wait_alu 0xfffe
	s_xor_b32 s0, exec_lo, s1
; %bb.227:                              ;   in Loop: Header=BB9_9 Depth=1
	v_add_nc_u32_e32 v0, v219, v251
	ds_store_b32 v0, v230
; %bb.228:                              ;   in Loop: Header=BB9_9 Depth=1
	s_wait_alu 0xfffe
	s_and_not1_saveexec_b32 s0, s0
	s_cbranch_execz .LBB9_230
; %bb.229:                              ;   in Loop: Header=BB9_9 Depth=1
	v_mad_co_u64_u32 v[0:1], null, v243, s7, v[136:137]
	s_delay_alu instid0(VALU_DEP_1) | instskip(NEXT) | instid1(VALU_DEP_1)
	v_ashrrev_i32_e32 v1, 31, v0
	v_lshlrev_b64_e32 v[0:1], 3, v[0:1]
	s_delay_alu instid0(VALU_DEP_1) | instskip(SKIP_1) | instid1(VALU_DEP_2)
	v_add_co_u32 v0, s3, s90, v0
	s_wait_alu 0xf1ff
	v_add_co_ci_u32_e64 v1, null, s91, v1, s3
	global_load_b64 v[0:1], v[0:1], off
	s_wait_loadcnt 0x0
	v_cvt_f16_f32_e32 v0, v0
	v_cvt_f16_f32_e32 v1, v1
	s_delay_alu instid0(VALU_DEP_1) | instskip(SKIP_1) | instid1(VALU_DEP_2)
	v_pack_b32_f16 v0, v0, v1
	v_add_nc_u32_e32 v1, v219, v251
	v_pk_mul_f16 v0, v0, s100
	ds_store_b32 v1, v0
.LBB9_230:                              ;   in Loop: Header=BB9_9 Depth=1
	s_wait_alu 0xfffe
	s_or_b32 exec_lo, exec_lo, s0
	scratch_load_b32 v0, off, off offset:16 ; 4-byte Folded Reload
	s_wait_loadcnt 0x0
	v_add_nc_u32_e32 v245, s4, v0
	s_delay_alu instid0(VALU_DEP_1)
	v_cmp_gt_i32_e64 s3, s24, v245
	s_and_b32 s43, s3, vcc_lo
	s_wait_alu 0xfffe
	s_xor_b32 s0, s43, -1
	s_wait_alu 0xfffe
	s_and_saveexec_b32 s1, s0
	s_wait_alu 0xfffe
	s_xor_b32 s0, exec_lo, s1
; %bb.231:                              ;   in Loop: Header=BB9_9 Depth=1
	v_add_nc_u32_e32 v0, v219, v251
	ds_store_b32 v0, v230 offset:704
; %bb.232:                              ;   in Loop: Header=BB9_9 Depth=1
	s_wait_alu 0xfffe
	s_and_not1_saveexec_b32 s0, s0
	s_cbranch_execz .LBB9_234
; %bb.233:                              ;   in Loop: Header=BB9_9 Depth=1
	v_mad_co_u64_u32 v[0:1], null, v245, s7, v[136:137]
	s_delay_alu instid0(VALU_DEP_1) | instskip(NEXT) | instid1(VALU_DEP_1)
	v_ashrrev_i32_e32 v1, 31, v0
	v_lshlrev_b64_e32 v[0:1], 3, v[0:1]
	s_delay_alu instid0(VALU_DEP_1) | instskip(SKIP_1) | instid1(VALU_DEP_2)
	v_add_co_u32 v0, s3, s90, v0
	s_wait_alu 0xf1ff
	v_add_co_ci_u32_e64 v1, null, s91, v1, s3
	global_load_b64 v[0:1], v[0:1], off
	s_wait_loadcnt 0x0
	v_cvt_f16_f32_e32 v0, v0
	v_cvt_f16_f32_e32 v1, v1
	s_delay_alu instid0(VALU_DEP_1) | instskip(SKIP_1) | instid1(VALU_DEP_2)
	v_pack_b32_f16 v0, v0, v1
	v_add_nc_u32_e32 v1, v219, v251
	v_pk_mul_f16 v0, v0, s100
	ds_store_b32 v1, v0 offset:704
.LBB9_234:                              ;   in Loop: Header=BB9_9 Depth=1
	s_wait_alu 0xfffe
	s_or_b32 exec_lo, exec_lo, s0
	scratch_load_b32 v0, off, off offset:28 ; 4-byte Folded Reload
	s_wait_loadcnt 0x0
	v_add_nc_u32_e32 v187, s4, v0
	s_delay_alu instid0(VALU_DEP_1)
	v_cmp_gt_i32_e64 s3, s24, v187
	s_and_b32 s42, s3, vcc_lo
	s_wait_alu 0xfffe
	s_xor_b32 s0, s42, -1
	s_wait_alu 0xfffe
	s_and_saveexec_b32 s1, s0
	s_wait_alu 0xfffe
	s_xor_b32 s0, exec_lo, s1
; %bb.235:                              ;   in Loop: Header=BB9_9 Depth=1
	v_add_nc_u32_e32 v0, v219, v251
	ds_store_b32 v0, v230 offset:1408
; %bb.236:                              ;   in Loop: Header=BB9_9 Depth=1
	s_wait_alu 0xfffe
	s_and_not1_saveexec_b32 s0, s0
	s_cbranch_execz .LBB9_238
; %bb.237:                              ;   in Loop: Header=BB9_9 Depth=1
	v_mad_co_u64_u32 v[0:1], null, v187, s7, v[136:137]
	s_delay_alu instid0(VALU_DEP_1) | instskip(NEXT) | instid1(VALU_DEP_1)
	v_ashrrev_i32_e32 v1, 31, v0
	v_lshlrev_b64_e32 v[0:1], 3, v[0:1]
	s_delay_alu instid0(VALU_DEP_1) | instskip(SKIP_1) | instid1(VALU_DEP_2)
	v_add_co_u32 v0, s3, s90, v0
	s_wait_alu 0xf1ff
	v_add_co_ci_u32_e64 v1, null, s91, v1, s3
	global_load_b64 v[0:1], v[0:1], off
	s_wait_loadcnt 0x0
	v_cvt_f16_f32_e32 v0, v0
	v_cvt_f16_f32_e32 v1, v1
	s_delay_alu instid0(VALU_DEP_1) | instskip(SKIP_1) | instid1(VALU_DEP_2)
	v_pack_b32_f16 v0, v0, v1
	v_add_nc_u32_e32 v1, v219, v251
	v_pk_mul_f16 v0, v0, s100
	ds_store_b32 v1, v0 offset:1408
.LBB9_238:                              ;   in Loop: Header=BB9_9 Depth=1
	;; [unrolled: 40-line block ×8, first 2 shown]
	s_wait_alu 0xfffe
	s_or_b32 exec_lo, exec_lo, s5
	scratch_load_b32 v0, off, off offset:56 ; 4-byte Folded Reload
	s_wait_loadcnt 0x0
	v_add_nc_u32_e32 v228, s4, v0
	s_delay_alu instid0(VALU_DEP_1) | instskip(SKIP_1) | instid1(SALU_CYCLE_1)
	v_cmp_gt_i32_e64 s3, s24, v228
	s_and_b32 s94, s3, vcc_lo
	s_xor_b32 s3, s94, -1
	s_wait_alu 0xfffe
	s_and_saveexec_b32 s5, s3
	s_wait_alu 0xfffe
	s_xor_b32 s3, exec_lo, s5
; %bb.263:                              ;   in Loop: Header=BB9_9 Depth=1
	v_add_nc_u32_e32 v0, v219, v251
	ds_store_b32 v0, v230 offset:6336
; %bb.264:                              ;   in Loop: Header=BB9_9 Depth=1
	s_wait_alu 0xfffe
	s_and_not1_saveexec_b32 s3, s3
	s_cbranch_execz .LBB9_266
; %bb.265:                              ;   in Loop: Header=BB9_9 Depth=1
	v_mad_co_u64_u32 v[0:1], null, v228, s7, v[136:137]
	s_delay_alu instid0(VALU_DEP_1) | instskip(NEXT) | instid1(VALU_DEP_1)
	v_ashrrev_i32_e32 v1, 31, v0
	v_lshlrev_b64_e32 v[0:1], 3, v[0:1]
	s_delay_alu instid0(VALU_DEP_1) | instskip(SKIP_1) | instid1(VALU_DEP_2)
	v_add_co_u32 v0, vcc_lo, s90, v0
	s_wait_alu 0xfffd
	v_add_co_ci_u32_e64 v1, null, s91, v1, vcc_lo
	global_load_b64 v[0:1], v[0:1], off
	s_wait_loadcnt 0x0
	v_cvt_f16_f32_e32 v0, v0
	v_cvt_f16_f32_e32 v1, v1
	s_delay_alu instid0(VALU_DEP_1) | instskip(SKIP_1) | instid1(VALU_DEP_2)
	v_pack_b32_f16 v0, v0, v1
	v_add_nc_u32_e32 v1, v219, v251
	v_pk_mul_f16 v0, v0, s100
	ds_store_b32 v1, v0 offset:6336
.LBB9_266:                              ;   in Loop: Header=BB9_9 Depth=1
	s_wait_alu 0xfffe
	s_or_b32 exec_lo, exec_lo, s3
	v_add_nc_u32_e32 v218, s4, v165
	v_or_b32_e32 v0, s67, v22
	s_delay_alu instid0(VALU_DEP_2) | instskip(NEXT) | instid1(VALU_DEP_2)
	v_cmp_gt_i32_e64 s3, s24, v218
	v_cmp_gt_i32_e32 vcc_lo, s33, v0
	s_and_b32 s93, s3, vcc_lo
	s_delay_alu instid0(SALU_CYCLE_1)
	s_xor_b32 s3, s93, -1
	s_wait_alu 0xfffe
	s_and_saveexec_b32 s5, s3
	s_wait_alu 0xfffe
	s_xor_b32 s3, exec_lo, s5
	s_cbranch_execz .LBB9_268
; %bb.267:                              ;   in Loop: Header=BB9_9 Depth=1
	scratch_load_b32 v0, off, off offset:68 ; 4-byte Folded Reload
	s_wait_loadcnt 0x0
	ds_store_b32 v0, v230 offset:128
.LBB9_268:                              ;   in Loop: Header=BB9_9 Depth=1
	s_wait_alu 0xfffe
	s_and_not1_saveexec_b32 s5, s3
	s_cbranch_execz .LBB9_270
; %bb.269:                              ;   in Loop: Header=BB9_9 Depth=1
	v_mad_co_u64_u32 v[0:1], null, v218, s7, v[23:24]
	s_delay_alu instid0(VALU_DEP_1) | instskip(NEXT) | instid1(VALU_DEP_1)
	v_ashrrev_i32_e32 v1, 31, v0
	v_lshlrev_b64_e32 v[0:1], 3, v[0:1]
	s_delay_alu instid0(VALU_DEP_1) | instskip(SKIP_1) | instid1(VALU_DEP_2)
	v_add_co_u32 v0, s3, s90, v0
	s_wait_alu 0xf1ff
	v_add_co_ci_u32_e64 v1, null, s91, v1, s3
	global_load_b64 v[0:1], v[0:1], off
	s_wait_loadcnt 0x0
	v_cvt_f16_f32_e32 v0, v0
	v_cvt_f16_f32_e32 v1, v1
	s_delay_alu instid0(VALU_DEP_1) | instskip(SKIP_1) | instid1(VALU_DEP_2)
	v_pack_b32_f16 v0, v0, v1
	v_add_nc_u32_e32 v1, v177, v160
	v_pk_mul_f16 v0, v0, s100
	ds_store_b32 v1, v0 offset:128
.LBB9_270:                              ;   in Loop: Header=BB9_9 Depth=1
	s_wait_alu 0xfffe
	s_or_b32 exec_lo, exec_lo, s5
	v_add_nc_u32_e32 v217, s4, v166
	s_delay_alu instid0(VALU_DEP_1) | instskip(SKIP_1) | instid1(SALU_CYCLE_1)
	v_cmp_gt_i32_e64 s3, s24, v217
	s_and_b32 s92, s3, vcc_lo
	s_xor_b32 s3, s92, -1
	s_wait_alu 0xfffe
	s_and_saveexec_b32 s5, s3
	s_wait_alu 0xfffe
	s_xor_b32 s3, exec_lo, s5
	s_cbranch_execz .LBB9_272
; %bb.271:                              ;   in Loop: Header=BB9_9 Depth=1
	scratch_load_b32 v0, off, off offset:104 ; 4-byte Folded Reload
	s_wait_loadcnt 0x0
	ds_store_b32 v0, v230 offset:128
.LBB9_272:                              ;   in Loop: Header=BB9_9 Depth=1
	s_wait_alu 0xfffe
	s_and_not1_saveexec_b32 s5, s3
	s_cbranch_execz .LBB9_274
; %bb.273:                              ;   in Loop: Header=BB9_9 Depth=1
	v_mad_co_u64_u32 v[0:1], null, v217, s7, v[23:24]
	s_delay_alu instid0(VALU_DEP_1) | instskip(NEXT) | instid1(VALU_DEP_1)
	v_ashrrev_i32_e32 v1, 31, v0
	v_lshlrev_b64_e32 v[0:1], 3, v[0:1]
	s_delay_alu instid0(VALU_DEP_1) | instskip(SKIP_1) | instid1(VALU_DEP_2)
	v_add_co_u32 v0, s3, s90, v0
	s_wait_alu 0xf1ff
	v_add_co_ci_u32_e64 v1, null, s91, v1, s3
	global_load_b64 v[0:1], v[0:1], off
	s_wait_loadcnt 0x0
	v_cvt_f16_f32_e32 v0, v0
	v_cvt_f16_f32_e32 v1, v1
	s_delay_alu instid0(VALU_DEP_1) | instskip(SKIP_1) | instid1(VALU_DEP_2)
	v_pack_b32_f16 v0, v0, v1
	v_add_nc_u32_e32 v1, v177, v160
	v_pk_mul_f16 v0, v0, s100
	ds_store_b32 v1, v0 offset:2944
.LBB9_274:                              ;   in Loop: Header=BB9_9 Depth=1
	s_wait_alu 0xfffe
	s_or_b32 exec_lo, exec_lo, s5
	v_add_nc_u32_e32 v216, s4, v167
	s_delay_alu instid0(VALU_DEP_1)
	v_cmp_gt_i32_e64 s3, s24, v216
	s_and_b32 s67, s3, vcc_lo
	s_wait_alu 0xfffe
	s_xor_b32 s3, s67, -1
	s_wait_alu 0xfffe
	s_and_saveexec_b32 s5, s3
	s_wait_alu 0xfffe
	s_xor_b32 s3, exec_lo, s5
	s_cbranch_execz .LBB9_276
; %bb.275:                              ;   in Loop: Header=BB9_9 Depth=1
	scratch_load_b32 v0, off, off offset:112 ; 4-byte Folded Reload
	s_wait_loadcnt 0x0
	ds_store_b32 v0, v230 offset:128
.LBB9_276:                              ;   in Loop: Header=BB9_9 Depth=1
	s_wait_alu 0xfffe
	s_and_not1_saveexec_b32 s5, s3
	s_cbranch_execz .LBB9_278
; %bb.277:                              ;   in Loop: Header=BB9_9 Depth=1
	v_mad_co_u64_u32 v[0:1], null, v216, s7, v[23:24]
	s_delay_alu instid0(VALU_DEP_1) | instskip(NEXT) | instid1(VALU_DEP_1)
	v_ashrrev_i32_e32 v1, 31, v0
	v_lshlrev_b64_e32 v[0:1], 3, v[0:1]
	s_delay_alu instid0(VALU_DEP_1) | instskip(SKIP_1) | instid1(VALU_DEP_2)
	v_add_co_u32 v0, s3, s90, v0
	s_wait_alu 0xf1ff
	v_add_co_ci_u32_e64 v1, null, s91, v1, s3
	global_load_b64 v[0:1], v[0:1], off
	s_wait_loadcnt 0x0
	v_cvt_f16_f32_e32 v0, v0
	v_cvt_f16_f32_e32 v1, v1
	s_delay_alu instid0(VALU_DEP_1) | instskip(SKIP_1) | instid1(VALU_DEP_2)
	v_pack_b32_f16 v0, v0, v1
	v_add_nc_u32_e32 v1, v177, v160
	v_pk_mul_f16 v0, v0, s100
	ds_store_b32 v1, v0 offset:5760
.LBB9_278:                              ;   in Loop: Header=BB9_9 Depth=1
	s_wait_alu 0xfffe
	s_or_b32 exec_lo, exec_lo, s5
	v_add_nc_u32_e32 v215, s4, v180
	s_delay_alu instid0(VALU_DEP_1)
	v_cmp_gt_i32_e64 s3, s24, v215
	s_and_b32 s6, s3, vcc_lo
	s_wait_alu 0xfffe
	s_xor_b32 s3, s6, -1
	s_wait_alu 0xfffe
	s_and_saveexec_b32 s5, s3
	s_wait_alu 0xfffe
	s_xor_b32 s3, exec_lo, s5
	s_cbranch_execz .LBB9_280
; %bb.279:                              ;   in Loop: Header=BB9_9 Depth=1
	scratch_load_b32 v0, off, off offset:120 ; 4-byte Folded Reload
	s_wait_loadcnt 0x0
	ds_store_b32 v0, v230 offset:128
.LBB9_280:                              ;   in Loop: Header=BB9_9 Depth=1
	s_wait_alu 0xfffe
	s_and_not1_saveexec_b32 s3, s3
	s_cbranch_execz .LBB9_282
; %bb.281:                              ;   in Loop: Header=BB9_9 Depth=1
	v_mad_co_u64_u32 v[0:1], null, v215, s7, v[23:24]
	s_delay_alu instid0(VALU_DEP_1) | instskip(NEXT) | instid1(VALU_DEP_1)
	v_ashrrev_i32_e32 v1, 31, v0
	v_lshlrev_b64_e32 v[0:1], 3, v[0:1]
	s_delay_alu instid0(VALU_DEP_1) | instskip(SKIP_1) | instid1(VALU_DEP_2)
	v_add_co_u32 v0, vcc_lo, s90, v0
	s_wait_alu 0xfffd
	v_add_co_ci_u32_e64 v1, null, s91, v1, vcc_lo
	global_load_b64 v[0:1], v[0:1], off
	s_wait_loadcnt 0x0
	v_cvt_f16_f32_e32 v0, v0
	v_cvt_f16_f32_e32 v1, v1
	s_delay_alu instid0(VALU_DEP_1) | instskip(SKIP_1) | instid1(VALU_DEP_2)
	v_pack_b32_f16 v0, v0, v1
	v_add_nc_u32_e32 v1, v177, v160
	v_pk_mul_f16 v0, v0, s100
	ds_store_b32 v1, v0 offset:8576
.LBB9_282:                              ;   in Loop: Header=BB9_9 Depth=1
	s_wait_alu 0xfffe
	s_or_b32 exec_lo, exec_lo, s3
	s_wait_storecnt_dscnt 0x0
	s_barrier_signal -1
	s_barrier_wait -1
	global_inv scope:SCOPE_SE
	ds_load_b128 v[36:39], v178
	ds_load_b128 v[32:35], v178 offset:32
	ds_load_b128 v[28:31], v178 offset:64
	;; [unrolled: 1-line block ×4, first 2 shown]
	s_cmp_gt_i32 s49, 1
	s_mov_b32 s3, -1
	s_wait_loadcnt_dscnt 0x0
	s_barrier_signal -1
	s_barrier_wait -1
	global_inv scope:SCOPE_SE
                                        ; implicit-def: $vgpr113
                                        ; implicit-def: $vgpr181
                                        ; implicit-def: $vgpr52_vgpr53
                                        ; implicit-def: $vgpr42_vgpr43
                                        ; implicit-def: $vgpr40_vgpr41
                                        ; implicit-def: $vgpr54_vgpr55
                                        ; implicit-def: $vgpr44_vgpr45
                                        ; implicit-def: $vgpr46_vgpr47
                                        ; implicit-def: $vgpr48_vgpr49
                                        ; implicit-def: $vgpr50_vgpr51
	s_cbranch_scc1 .LBB9_284
; %bb.283:                              ;   in Loop: Header=BB9_9 Depth=1
	v_dual_mov_b32 v181, 32 :: v_dual_add_nc_u32 v0, s4, v248
	v_add_nc_u32_e32 v2, s4, v222
	v_add_nc_u32_e32 v1, s4, v224
	v_add_nc_u32_e32 v4, s4, v208
	s_delay_alu instid0(VALU_DEP_4)
	v_mul_hi_u32 v3, s36, v0
	v_add_nc_u32_e32 v5, s4, v247
	v_mul_hi_u32 v7, s36, v2
	v_mul_hi_u32 v6, s36, v1
	;; [unrolled: 1-line block ×3, first 2 shown]
	v_add_nc_u32_e32 v10, s4, v207
	v_mul_hi_u32 v9, s36, v5
	v_xor_b32_e32 v113, 16, v225
	v_add_nc_u32_e32 v3, v0, v3
	s_mov_b32 s3, 0
	v_add_nc_u32_e32 v7, v2, v7
	v_add_nc_u32_e32 v6, v1, v6
	;; [unrolled: 1-line block ×3, first 2 shown]
	v_lshrrev_b32_e32 v3, s37, v3
	v_add_nc_u32_e32 v9, v5, v9
	v_lshrrev_b32_e32 v7, s37, v7
	v_lshrrev_b32_e32 v6, s37, v6
	v_lshrrev_b32_e32 v8, s37, v8
	v_mul_lo_u32 v3, v3, s24
	v_lshrrev_b32_e32 v9, s37, v9
	v_mul_lo_u32 v7, v7, s24
	v_mul_lo_u32 v6, v6, s24
	;; [unrolled: 1-line block ×3, first 2 shown]
	s_delay_alu instid0(VALU_DEP_4)
	v_mul_lo_u32 v9, v9, s24
	v_sub_nc_u32_e32 v0, v0, v3
	v_add_nc_u32_e32 v3, s4, v206
	v_sub_nc_u32_e32 v2, v2, v7
	v_add_nc_u32_e32 v7, s4, v205
	v_sub_nc_u32_e32 v1, v1, v6
	v_mul_hi_u32 v6, s36, v10
	v_sub_nc_u32_e32 v4, v4, v8
	v_mul_hi_u32 v8, s36, v3
	;; [unrolled: 2-line block ×3, first 2 shown]
	v_mad_co_i64_i32 v[52:53], null, v0, s38, 0
	v_mad_co_i64_i32 v[42:43], null, v1, s38, 0
	v_add_nc_u32_e32 v6, v10, v6
	v_add_nc_u32_e32 v8, v3, v8
	v_mad_co_i64_i32 v[40:41], null, v2, s38, 0
	v_add_nc_u32_e32 v9, v7, v9
	s_delay_alu instid0(VALU_DEP_4) | instskip(NEXT) | instid1(VALU_DEP_4)
	v_lshrrev_b32_e32 v6, s37, v6
	v_lshrrev_b32_e32 v8, s37, v8
	v_mad_co_i64_i32 v[54:55], null, v4, s38, 0
	s_delay_alu instid0(VALU_DEP_4) | instskip(NEXT) | instid1(VALU_DEP_4)
	v_lshrrev_b32_e32 v9, s37, v9
	v_mul_lo_u32 v6, v6, s24
	s_delay_alu instid0(VALU_DEP_4) | instskip(SKIP_1) | instid1(VALU_DEP_4)
	v_mul_lo_u32 v8, v8, s24
	v_mad_co_i64_i32 v[44:45], null, v5, s38, 0
	v_mul_lo_u32 v9, v9, s24
	s_delay_alu instid0(VALU_DEP_4) | instskip(NEXT) | instid1(VALU_DEP_4)
	v_sub_nc_u32_e32 v6, v10, v6
	v_sub_nc_u32_e32 v0, v3, v8
	s_delay_alu instid0(VALU_DEP_3) | instskip(NEXT) | instid1(VALU_DEP_3)
	v_sub_nc_u32_e32 v1, v7, v9
	v_mad_co_i64_i32 v[46:47], null, v6, s38, 0
	s_delay_alu instid0(VALU_DEP_3) | instskip(NEXT) | instid1(VALU_DEP_3)
	v_mad_co_i64_i32 v[48:49], null, v0, s38, 0
	v_mad_co_i64_i32 v[50:51], null, v1, s38, 0
.LBB9_284:                              ;   in Loop: Header=BB9_9 Depth=1
	s_wait_alu 0xfffe
	s_and_not1_b32 vcc_lo, exec_lo, s3
	s_wait_alu 0xfffe
	s_cbranch_vccnz .LBB9_288
; %bb.285:                              ;   in Loop: Header=BB9_9 Depth=1
	v_add_nc_u32_e32 v3, s4, v222
	v_xor_b32_e32 v113, 16, v225
	v_add_nc_u32_e32 v11, s4, v205
	v_add_nc_u32_e32 v2, s4, v224
	;; [unrolled: 1-line block ×3, first 2 shown]
	v_mul_hi_u32 v9, s36, v3
	v_cmp_gt_i32_e32 vcc_lo, 32, v113
	v_add_nc_u32_e32 v0, s4, v248
	v_add_nc_u32_e32 v5, s4, v247
	;; [unrolled: 1-line block ×4, first 2 shown]
	s_add_nc_u64 s[4:5], s[86:87], s[88:89]
	s_add_nc_u64 s[82:83], s[84:85], s[82:83]
	v_add_nc_u32_e32 v9, v3, v9
	v_mul_hi_u32 v12, s36, v5
	s_add_co_i32 s49, s49, -1
	v_mov_b32_e32 v112, 0xfeffffff
	s_mov_b32 s56, s49
	v_lshrrev_b32_e32 v9, s37, v9
	v_mov_b32_e32 v209, 0
	scratch_load_b32 v40, off, off offset:288 ; 4-byte Folded Reload
	v_mov_b32_e32 v181, 32
	v_mul_lo_u32 v9, v9, s24
	s_delay_alu instid0(VALU_DEP_1) | instskip(SKIP_3) | instid1(VALU_DEP_3)
	v_sub_nc_u32_e32 v250, v3, v9
	s_wait_alu 0xfffd
	v_cndmask_b32_e32 v3, v225, v113, vcc_lo
	v_mul_hi_u32 v1, s36, v0
	v_mad_co_i64_i32 v[145:146], null, s66, v250, s[80:81]
	s_delay_alu instid0(VALU_DEP_2) | instskip(NEXT) | instid1(VALU_DEP_1)
	v_add_nc_u32_e32 v1, v0, v1
	v_lshrrev_b32_e32 v1, s37, v1
	s_delay_alu instid0(VALU_DEP_1) | instskip(NEXT) | instid1(VALU_DEP_1)
	v_mul_lo_u32 v1, v1, s24
	v_sub_nc_u32_e32 v223, v0, v1
	v_mul_hi_u32 v0, s36, v11
	s_delay_alu instid0(VALU_DEP_2) | instskip(NEXT) | instid1(VALU_DEP_2)
	v_mad_co_i64_i32 v[141:142], null, s66, v223, s[80:81]
	v_add_nc_u32_e32 v0, v11, v0
	s_delay_alu instid0(VALU_DEP_1) | instskip(NEXT) | instid1(VALU_DEP_1)
	v_lshrrev_b32_e32 v0, s37, v0
	v_mul_lo_u32 v0, v0, s24
	s_delay_alu instid0(VALU_DEP_1)
	v_sub_nc_u32_e32 v238, v11, v0
	scratch_load_b32 v0, off, off offset:264 ; 4-byte Folded Reload
	v_mad_co_i64_i32 v[155:156], null, s66, v238, s[80:81]
	s_wait_loadcnt 0x0
	s_wait_alu 0xfffe
	v_add_co_u32 v137, vcc_lo, v0, s4
	scratch_load_b32 v0, off, off offset:268 ; 4-byte Folded Reload
	s_wait_loadcnt 0x0
	s_wait_alu 0xfffd
	v_add_co_ci_u32_e64 v138, null, s5, v0, vcc_lo
	scratch_load_b32 v0, off, off offset:272 ; 4-byte Folded Reload
	s_wait_loadcnt 0x0
	v_add_co_u32 v139, vcc_lo, v0, s82
	scratch_load_b32 v0, off, off offset:276 ; 4-byte Folded Reload
	s_wait_loadcnt 0x0
	s_wait_alu 0xfffd
	v_add_co_ci_u32_e64 v140, null, s83, v0, vcc_lo
	v_add_co_u32 v253, vcc_lo, v40, s4
	scratch_load_b32 v40, off, off offset:292 ; 4-byte Folded Reload
	v_dual_mov_b32 v0, 0 :: v_dual_add_nc_u32 v1, v5, v12
	s_delay_alu instid0(VALU_DEP_1)
	v_dual_mov_b32 v15, v0 :: v_dual_lshlrev_b32 v252, 2, v3
	v_mov_b32_e32 v17, v0
	v_mul_hi_u32 v13, s36, v6
	v_mov_b32_e32 v19, v0
	v_mul_hi_u32 v14, s36, v8
	;; [unrolled: 2-line block ×3, first 2 shown]
	v_dual_mov_b32 v16, v0 :: v_dual_mov_b32 v11, v0
	v_mov_b32_e32 v18, v0
	v_dual_mov_b32 v9, v0 :: v_dual_add_nc_u32 v12, v6, v13
	v_add_nc_u32_e32 v13, v8, v14
	v_mov_b32_e32 v14, v0
	v_lshrrev_b32_e32 v1, s37, v1
	v_add_nc_u32_e32 v10, v4, v10
	s_delay_alu instid0(VALU_DEP_2) | instskip(NEXT) | instid1(VALU_DEP_2)
	v_mul_lo_u32 v1, v1, s24
	v_lshrrev_b32_e32 v10, s37, v10
	s_delay_alu instid0(VALU_DEP_1) | instskip(NEXT) | instid1(VALU_DEP_3)
	v_mul_lo_u32 v10, v10, s24
	v_sub_nc_u32_e32 v246, v5, v1
	v_mov_b32_e32 v1, v0
	v_mul_hi_u32 v7, s36, v2
	v_mov_b32_e32 v5, v0
	s_delay_alu instid0(VALU_DEP_4) | instskip(SKIP_3) | instid1(VALU_DEP_3)
	v_mad_co_i64_i32 v[149:150], null, s66, v246, s[80:81]
	v_sub_nc_u32_e32 v248, v4, v10
	v_mov_b32_e32 v10, v0
	v_dual_mov_b32 v4, v0 :: v_dual_add_nc_u32 v7, v2, v7
	v_mad_co_i64_i32 v[147:148], null, s66, v248, s[80:81]
	s_delay_alu instid0(VALU_DEP_2) | instskip(NEXT) | instid1(VALU_DEP_1)
	v_lshrrev_b32_e32 v7, s37, v7
	v_mul_lo_u32 v7, v7, s24
	s_delay_alu instid0(VALU_DEP_1) | instskip(SKIP_3) | instid1(VALU_DEP_4)
	v_sub_nc_u32_e32 v244, v2, v7
	v_lshrrev_b32_e32 v2, s37, v13
	v_mov_b32_e32 v13, v0
	v_lshrrev_b32_e32 v12, s37, v12
	v_mad_co_i64_i32 v[143:144], null, s66, v244, s[80:81]
	s_delay_alu instid0(VALU_DEP_4) | instskip(NEXT) | instid1(VALU_DEP_3)
	v_mul_lo_u32 v2, v2, s24
	v_mul_lo_u32 v7, v12, s24
	v_mov_b32_e32 v12, v0
	s_delay_alu instid0(VALU_DEP_3) | instskip(NEXT) | instid1(VALU_DEP_3)
	v_sub_nc_u32_e32 v240, v8, v2
	v_sub_nc_u32_e32 v242, v6, v7
	v_mov_b32_e32 v2, v0
	v_mov_b32_e32 v8, v0
	v_dual_mov_b32 v6, v0 :: v_dual_mov_b32 v7, v0
	s_delay_alu instid0(VALU_DEP_4)
	v_mad_co_i64_i32 v[151:152], null, s66, v242, s[80:81]
	v_mad_co_i64_i32 v[153:154], null, s66, v240, s[80:81]
	s_wait_loadcnt 0x0
	s_wait_alu 0xfffd
	v_add_co_ci_u32_e64 v254, null, s5, v40, vcc_lo
	scratch_load_b32 v40, off, off offset:296 ; 4-byte Folded Reload
	s_wait_loadcnt 0x0
	v_add_co_u32 v208, vcc_lo, v40, s4
	scratch_load_b32 v40, off, off offset:300 ; 4-byte Folded Reload
	s_wait_loadcnt 0x0
	s_wait_alu 0xfffd
	v_add_co_ci_u32_e64 v224, null, s5, v40, vcc_lo
	scratch_load_b32 v40, off, off offset:304 ; 4-byte Folded Reload
	s_wait_loadcnt 0x0
	v_add_co_u32 v207, vcc_lo, v40, s4
	scratch_load_b32 v40, off, off offset:308 ; 4-byte Folded Reload
	;; [unrolled: 7-line block ×7, first 2 shown]
	s_wait_loadcnt 0x0
	s_wait_alu 0xfffd
	v_add_co_ci_u32_e64 v165, null, s83, v40, vcc_lo
.LBB9_286:                              ;   Parent Loop BB9_9 Depth=1
                                        ; =>  This Inner Loop Header: Depth=2
	v_add_co_u32 v40, vcc_lo, v141, v176
	s_wait_alu 0xfffd
	v_add_co_ci_u32_e64 v41, null, 0, v142, vcc_lo
	v_add_nc_u32_e32 v43, v219, v231
	s_add_co_i32 s56, s56, -1
	s_delay_alu instid0(SALU_CYCLE_1)
	s_cmp_lg_u32 s56, 0
	global_load_b32 v42, v[40:41], off
	v_add_co_u32 v40, vcc_lo, v143, v176
	s_wait_alu 0xfffd
	v_add_co_ci_u32_e64 v41, null, 0, v144, vcc_lo
	global_load_b32 v40, v[40:41], off
	v_add_nc_u32_e32 v41, 0x2c00, v43
	s_wait_loadcnt 0x0
	ds_store_2addr_b32 v41, v42, v40 offset1:144
	v_add_co_u32 v40, vcc_lo, v145, v176
	s_wait_alu 0xfffd
	v_add_co_ci_u32_e64 v41, null, 0, v146, vcc_lo
	global_load_b32 v42, v[40:41], off
	v_add_co_u32 v40, vcc_lo, v147, v176
	s_wait_alu 0xfffd
	v_add_co_ci_u32_e64 v41, null, 0, v148, vcc_lo
	global_load_b32 v40, v[40:41], off
	v_add_nc_u32_e32 v41, 0x3000, v43
	s_wait_loadcnt 0x0
	ds_store_2addr_b32 v41, v42, v40 offset0:32 offset1:176
	v_add_co_u32 v40, vcc_lo, v149, v176
	s_wait_alu 0xfffd
	v_add_co_ci_u32_e64 v41, null, 0, v150, vcc_lo
	global_load_b32 v42, v[40:41], off
	v_add_co_u32 v40, vcc_lo, v151, v176
	s_wait_alu 0xfffd
	v_add_co_ci_u32_e64 v41, null, 0, v152, vcc_lo
	global_load_b32 v40, v[40:41], off
	v_add_nc_u32_e32 v41, 0x3400, v43
	s_wait_loadcnt 0x0
	ds_store_2addr_b32 v41, v42, v40 offset0:64 offset1:208
	;; [unrolled: 11-line block ×3, first 2 shown]
	global_load_b128 v[40:43], v[139:140], off
	s_wait_loadcnt 0x0
	ds_store_b128 v183, v[40:43]
	v_add_co_u32 v40, vcc_lo, v200, v227
	s_wait_alu 0xfffd
	v_add_co_ci_u32_e64 v41, null, 0, v202, vcc_lo
	v_add_co_u32 v44, vcc_lo, v204, v227
	s_wait_alu 0xfffd
	v_add_co_ci_u32_e64 v45, null, 0, v161, vcc_lo
	global_load_b128 v[40:43], v[40:41], off
	global_load_b128 v[44:47], v[44:45], off
	s_wait_loadcnt 0x1
	ds_store_b128 v184, v[40:43]
	s_wait_loadcnt 0x0
	ds_store_b128 v185, v[44:47]
	v_add_co_u32 v40, vcc_lo, v162, v227
	s_wait_alu 0xfffd
	v_add_co_ci_u32_e64 v41, null, 0, v163, vcc_lo
	v_add_co_u32 v44, vcc_lo, v164, v227
	s_wait_alu 0xfffd
	v_add_co_ci_u32_e64 v45, null, 0, v165, vcc_lo
	global_load_b128 v[40:43], v[40:41], off
	global_load_b128 v[44:47], v[44:45], off
	s_wait_loadcnt 0x1
	ds_store_b128 v186, v[40:43]
	s_wait_loadcnt 0x0
	ds_store_b128 v189, v[44:47]
	s_wait_dscnt 0x0
	s_barrier_signal -1
	s_barrier_wait -1
	global_inv scope:SCOPE_SE
	ds_load_b128 v[51:54], v190
	ds_load_b128 v[55:58], v190 offset:32
	s_wait_dscnt 0x1
	v_wmma_f32_16x16x16_f16 v[43:50], v[51:54], v[36:39], 0
	s_wait_dscnt 0x0
	s_delay_alu instid0(VALU_DEP_1)
	v_wmma_f32_16x16x16_f16 v[43:50], v[55:58], v[32:35], v[43:50]
	ds_load_b128 v[51:54], v190 offset:64
	ds_load_b128 v[55:58], v190 offset:96
	s_wait_dscnt 0x1
	v_wmma_f32_16x16x16_f16 v[43:50], v[51:54], v[28:31], v[43:50]
	ds_load_b128 v[51:54], v190 offset:128
	ds_load_b128 v[65:68], v190 offset:2816
	s_wait_dscnt 0x2
	v_wmma_f32_16x16x16_f16 v[43:50], v[55:58], v[24:27], v[43:50]
	s_wait_dscnt 0x1
	s_delay_alu instid0(VALU_DEP_1)
	v_wmma_f32_16x16x16_f16 v[43:50], v[51:54], v[20:23], v[43:50]
	v_add_nc_u32_e32 v40, 0x2c00, v191
	v_add_nc_u32_e32 v42, 0x2c00, v232
	ds_load_b128 v[51:54], v190 offset:2848
	ds_load_b128 v[69:72], v190 offset:2880
	;; [unrolled: 1-line block ×14, first 2 shown]
	s_wait_loadcnt_dscnt 0x0
	s_barrier_signal -1
	s_barrier_wait -1
	global_inv scope:SCOPE_SE
	ds_load_2addr_b32 v[40:41], v40 offset1:1
	ds_load_2addr_b32 v[55:56], v42 offset1:1
	ds_load_b32 v42, v192 offset:11264
	ds_load_b32 v59, v191 offset:11272
	s_wait_dscnt 0x3
	v_cvt_f32_f16_e32 v57, v40
	v_lshrrev_b32_e32 v40, 16, v40
	v_cvt_f32_f16_e32 v58, v41
	v_lshrrev_b32_e32 v41, 16, v41
	s_wait_dscnt 0x0
	v_cvt_f32_f16_e32 v60, v59
	v_lshrrev_b32_e32 v59, 16, v59
	v_lshrrev_b32_e32 v61, 16, v42
	v_cvt_f32_f16_e32 v42, v42
	v_cvt_f32_f16_e32 v62, v40
	;; [unrolled: 1-line block ×5, first 2 shown]
	v_add_f32_e32 v40, v43, v57
	v_add_f32_e32 v44, v44, v62
	;; [unrolled: 1-line block ×4, first 2 shown]
	v_dual_add_f32 v47, v47, v60 :: v_dual_add_f32 v46, v48, v59
	v_dual_add_f32 v43, v49, v42 :: v_dual_add_nc_u32 v48, 0x2c00, v233
	v_add_f32_e32 v42, v50, v61
	v_wmma_f32_16x16x16_f16 v[57:64], v[65:68], v[36:39], 0
	v_cvt_f32_f16_e32 v50, v55
	s_delay_alu instid0(VALU_DEP_2) | instskip(SKIP_3) | instid1(VALU_DEP_4)
	v_wmma_f32_16x16x16_f16 v[57:64], v[51:54], v[32:35], v[57:64]
	v_lshrrev_b32_e32 v51, 16, v55
	v_lshrrev_b32_e32 v55, 16, v56
	v_cvt_f32_f16_e32 v54, v56
	v_wmma_f32_16x16x16_f16 v[57:64], v[69:72], v[28:31], v[57:64]
	s_delay_alu instid0(VALU_DEP_4) | instskip(NEXT) | instid1(VALU_DEP_4)
	v_cvt_f32_f16_e32 v66, v51
	v_cvt_f32_f16_e32 v67, v55
	s_delay_alu instid0(VALU_DEP_3) | instskip(NEXT) | instid1(VALU_DEP_1)
	v_wmma_f32_16x16x16_f16 v[57:64], v[73:76], v[24:27], v[57:64]
	v_wmma_f32_16x16x16_f16 v[57:64], v[77:80], v[20:23], v[57:64]
	;; [unrolled: 1-line block ×3, first 2 shown]
	v_add_nc_u32_e32 v52, 0x2c00, v234
	s_delay_alu instid0(VALU_DEP_3) | instskip(NEXT) | instid1(VALU_DEP_3)
	v_dual_add_f32 v51, v57, v50 :: v_dual_add_nc_u32 v56, 0x2c00, v235
	v_wmma_f32_16x16x16_f16 v[78:85], v[90:93], v[32:35], v[78:85]
	v_add_f32_e32 v55, v58, v66
	v_add_f32_e32 v59, v59, v54
	s_delay_alu instid0(VALU_DEP_3) | instskip(NEXT) | instid1(VALU_DEP_1)
	v_wmma_f32_16x16x16_f16 v[78:85], v[94:97], v[28:31], v[78:85]
	v_wmma_f32_16x16x16_f16 v[78:85], v[98:101], v[24:27], v[78:85]
	s_delay_alu instid0(VALU_DEP_1)
	v_wmma_f32_16x16x16_f16 v[78:85], v[102:105], v[20:23], v[78:85]
	v_add_nc_u32_e32 v65, 0x2c00, v236
	ds_load_2addr_b32 v[48:49], v48 offset1:1
	ds_load_2addr_b32 v[52:53], v52 offset1:1
	;; [unrolled: 1-line block ×4, first 2 shown]
	s_wait_dscnt 0x3
	v_cvt_f32_f16_e32 v56, v48
	v_lshrrev_b32_e32 v48, 16, v48
	v_lshrrev_b32_e32 v65, 16, v49
	v_cvt_f32_f16_e32 v49, v49
	s_wait_dscnt 0x2
	v_cvt_f32_f16_e32 v50, v53
	s_wait_dscnt 0x1
	v_cvt_f32_f16_e32 v54, v68
	v_cvt_f32_f16_e32 v48, v48
	v_dual_add_f32 v77, v61, v56 :: v_dual_add_f32 v72, v63, v49
	v_lshrrev_b32_e32 v49, 16, v52
	v_lshrrev_b32_e32 v56, 16, v69
	s_delay_alu instid0(VALU_DEP_4)
	v_add_f32_e32 v73, v62, v48
	v_cvt_f32_f16_e32 v48, v52
	v_lshrrev_b32_e32 v52, 16, v53
	v_lshrrev_b32_e32 v53, 16, v68
	v_cvt_f32_f16_e32 v49, v49
	v_cvt_f32_f16_e32 v74, v65
	v_add_f32_e32 v65, v60, v67
	v_cvt_f32_f16_e32 v57, v52
	v_add_f32_e32 v52, v78, v48
	v_add_nc_u32_e32 v48, 0x2c00, v237
	v_cvt_f32_f16_e32 v60, v53
	v_cvt_f32_f16_e32 v62, v56
	v_add_f32_e32 v56, v80, v50
	s_wait_dscnt 0x0
	v_cvt_f32_f16_e32 v50, v70
	v_add_f32_e32 v53, v79, v49
	ds_load_2addr_b32 v[48:49], v48 offset1:1
	v_cvt_f32_f16_e32 v58, v69
	s_delay_alu instid0(VALU_DEP_1) | instskip(SKIP_3) | instid1(VALU_DEP_1)
	v_add_f32_e32 v61, v84, v58
	v_cvt_f32_f16_e32 v58, v71
	v_dual_add_f32 v63, v83, v60 :: v_dual_add_f32 v60, v85, v62
	v_lshrrev_b32_e32 v62, 16, v71
	v_cvt_f32_f16_e32 v62, v62
	s_wait_dscnt 0x0
	v_cvt_f32_f16_e32 v66, v48
	v_lshrrev_b32_e32 v48, 16, v48
	v_lshrrev_b32_e32 v68, 16, v49
	v_cvt_f32_f16_e32 v49, v49
	s_delay_alu instid0(VALU_DEP_3) | instskip(SKIP_4) | instid1(VALU_DEP_2)
	v_cvt_f32_f16_e32 v48, v48
	v_add_f32_e32 v67, v64, v74
	v_add_f32_e32 v64, v82, v54
	v_lshrrev_b32_e32 v54, 16, v70
	v_cvt_f32_f16_e32 v69, v68
	v_cvt_f32_f16_e32 v54, v54
	v_add_f32_e32 v57, v81, v57
	v_wmma_f32_16x16x16_f16 v[78:85], v[106:109], v[36:39], 0
	s_delay_alu instid0(VALU_DEP_1) | instskip(NEXT) | instid1(VALU_DEP_1)
	v_wmma_f32_16x16x16_f16 v[78:85], v[196:199], v[32:35], v[78:85]
	v_wmma_f32_16x16x16_f16 v[78:85], v[168:171], v[28:31], v[78:85]
	s_delay_alu instid0(VALU_DEP_1) | instskip(NEXT) | instid1(VALU_DEP_1)
	v_wmma_f32_16x16x16_f16 v[78:85], v[172:175], v[24:27], v[78:85]
	v_wmma_f32_16x16x16_f16 v[78:85], v[210:213], v[20:23], v[78:85]
	s_delay_alu instid0(VALU_DEP_1) | instskip(NEXT) | instid1(VALU_DEP_2)
	v_add_f32_e32 v68, v78, v50
	v_add_f32_e32 v108, v79, v54
	s_delay_alu instid0(VALU_DEP_3) | instskip(NEXT) | instid1(VALU_DEP_4)
	v_add_f32_e32 v166, v80, v58
	v_add_f32_e32 v229, v81, v62
	global_load_b128 v[78:81], v[137:138], off
	v_add_f32_e32 v198, v83, v48
	v_add_co_u32 v48, vcc_lo, v253, v227
	v_dual_add_f32 v160, v82, v66 :: v_dual_add_f32 v239, v85, v69
	v_add_f32_e32 v196, v84, v49
	s_wait_alu 0xfffd
	v_add_co_ci_u32_e64 v49, null, 0, v254, vcc_lo
	v_add_co_u32 v69, vcc_lo, v208, v227
	s_wait_alu 0xfffd
	v_add_co_ci_u32_e64 v70, null, 0, v224, vcc_lo
	v_add_f32_e32 v50, 0x40051340, v44
	v_add_f32_e32 v54, 0x40051340, v45
	s_wait_loadcnt 0x0
	ds_store_b128 v183, v[78:81]
	global_load_b128 v[78:81], v[48:49], off
	global_load_b128 v[82:85], v[69:70], off
	v_add_co_u32 v48, vcc_lo, v207, v227
	s_wait_alu 0xfffd
	v_add_co_ci_u32_e64 v49, null, 0, v222, vcc_lo
	v_add_co_u32 v69, vcc_lo, v167, v227
	s_wait_alu 0xfffd
	v_add_co_ci_u32_e64 v70, null, 0, v206, vcc_lo
	s_wait_loadcnt 0x1
	ds_store_b128 v184, v[78:81]
	s_wait_loadcnt 0x0
	ds_store_b128 v185, v[82:85]
	global_load_b128 v[78:81], v[48:49], off
	global_load_b128 v[82:85], v[69:70], off
	v_dual_mov_b32 v48, v112 :: v_dual_add_f32 v49, 0x40051340, v40
	s_wait_loadcnt 0x1
	ds_store_b128 v186, v[78:81]
	s_wait_loadcnt 0x0
	ds_store_b128 v189, v[82:85]
	v_max3_num_f32 v49, v48, v49, v50
	v_add_f32_e32 v50, 0x40051340, v41
	s_wait_dscnt 0x0
	s_barrier_signal -1
	s_barrier_wait -1
	global_inv scope:SCOPE_SE
	v_max3_num_f32 v49, v49, v50, v54
	v_add_f32_e32 v50, 0x40051340, v47
	v_add_f32_e32 v54, 0x40051340, v46
	s_delay_alu instid0(VALU_DEP_1) | instskip(SKIP_2) | instid1(VALU_DEP_1)
	v_max3_num_f32 v49, v49, v50, v54
	v_add_f32_e32 v50, 0x40051340, v43
	v_add_f32_e32 v54, 0x40051340, v42
	v_max3_num_f32 v49, v49, v50, v54
	v_add_f32_e32 v50, 0x40051340, v51
	v_add_f32_e32 v54, 0x40051340, v55
	s_delay_alu instid0(VALU_DEP_1) | instskip(SKIP_2) | instid1(VALU_DEP_1)
	v_max3_num_f32 v49, v49, v50, v54
	v_add_f32_e32 v50, 0x40051340, v59
	v_add_f32_e32 v54, 0x40051340, v65
	;; [unrolled: 7-line block ×7, first 2 shown]
	v_max3_num_f32 v49, v49, v50, v54
	ds_bpermute_b32 v50, v252, v49
	s_wait_dscnt 0x0
	v_max_num_f32_e32 v50, v50, v50
	s_delay_alu instid0(VALU_DEP_1) | instskip(NEXT) | instid1(VALU_DEP_1)
	v_max_num_f32_e32 v112, v49, v50
	v_sub_f32_e32 v47, v47, v112
	v_sub_f32_e32 v46, v46, v112
	;; [unrolled: 1-line block ×5, first 2 shown]
	v_mul_f32_e32 v49, 0x3fb8aa3b, v47
	v_cmp_ngt_f32_e32 vcc_lo, 0xc2ce8ed0, v46
	v_cmp_ngt_f32_e64 s3, 0xc2ce8ed0, v43
	v_cmp_ngt_f32_e64 s4, 0xc2ce8ed0, v42
	;; [unrolled: 1-line block ×3, first 2 shown]
	v_fma_f32 v50, 0x3fb8aa3b, v47, -v49
	v_rndne_f32_e32 v54, v49
	s_delay_alu instid0(VALU_DEP_1) | instskip(SKIP_1) | instid1(VALU_DEP_2)
	v_dual_fmac_f32 v50, 0x32a5705f, v47 :: v_dual_sub_f32 v49, v49, v54
	v_cvt_i32_f32_e32 v54, v54
	v_add_f32_e32 v49, v49, v50
	v_mul_f32_e32 v50, 0x3fb8aa3b, v46
	s_delay_alu instid0(VALU_DEP_2) | instskip(NEXT) | instid1(VALU_DEP_1)
	v_exp_f32_e32 v49, v49
	v_fma_f32 v58, 0x3fb8aa3b, v46, -v50
	v_rndne_f32_e32 v62, v50
	s_delay_alu instid0(VALU_DEP_2) | instskip(NEXT) | instid1(VALU_DEP_2)
	v_fmac_f32_e32 v58, 0x32a5705f, v46
	v_sub_f32_e32 v50, v50, v62
	s_delay_alu instid0(TRANS32_DEP_1) | instskip(NEXT) | instid1(VALU_DEP_2)
	v_ldexp_f32 v49, v49, v54
	v_add_f32_e32 v50, v50, v58
	v_mul_f32_e32 v58, 0x3fb8aa3b, v43
	s_delay_alu instid0(VALU_DEP_2) | instskip(NEXT) | instid1(VALU_DEP_1)
	v_exp_f32_e32 v50, v50
	v_fma_f32 v66, 0x3fb8aa3b, v43, -v58
	v_rndne_f32_e32 v69, v58
	s_delay_alu instid0(VALU_DEP_2) | instskip(NEXT) | instid1(VALU_DEP_2)
	v_fmac_f32_e32 v66, 0x32a5705f, v43
	v_sub_f32_e32 v58, v58, v69
	v_cvt_i32_f32_e32 v54, v69
	s_delay_alu instid0(VALU_DEP_2) | instskip(SKIP_1) | instid1(VALU_DEP_2)
	v_add_f32_e32 v58, v58, v66
	v_mul_f32_e32 v66, 0x3fb8aa3b, v42
	v_exp_f32_e32 v58, v58
	s_delay_alu instid0(VALU_DEP_1) | instskip(SKIP_1) | instid1(VALU_DEP_2)
	v_fma_f32 v70, 0x3fb8aa3b, v42, -v66
	v_rndne_f32_e32 v71, v66
	v_fmac_f32_e32 v70, 0x32a5705f, v42
	s_delay_alu instid0(VALU_DEP_2) | instskip(NEXT) | instid1(TRANS32_DEP_1)
	v_sub_f32_e32 v66, v66, v71
	v_ldexp_f32 v54, v58, v54
	v_cvt_i32_f32_e32 v58, v62
	s_delay_alu instid0(VALU_DEP_3) | instskip(NEXT) | instid1(VALU_DEP_2)
	v_add_f32_e32 v66, v66, v70
	v_ldexp_f32 v50, v50, v58
	s_delay_alu instid0(VALU_DEP_2) | instskip(SKIP_2) | instid1(VALU_DEP_2)
	v_exp_f32_e32 v62, v66
	v_cvt_i32_f32_e32 v58, v71
	s_wait_alu 0xfffd
	v_cndmask_b32_e32 v50, 0, v50, vcc_lo
	v_cmp_nlt_f32_e32 vcc_lo, 0x42b17218, v46
	s_wait_alu 0xf1ff
	v_cndmask_b32_e64 v46, 0, v54, s3
	v_cmp_nlt_f32_e64 s3, 0x42b17218, v43
	s_delay_alu instid0(TRANS32_DEP_1)
	v_ldexp_f32 v58, v62, v58
	s_wait_alu 0xfffd
	v_cndmask_b32_e32 v199, 0x7f800000, v50, vcc_lo
	s_wait_alu 0xf1ff
	v_cndmask_b32_e64 v180, 0x7f800000, v46, s3
	v_cmp_ngt_f32_e32 vcc_lo, 0xc2ce8ed0, v45
	v_cndmask_b32_e64 v43, 0, v58, s4
	v_cmp_nlt_f32_e64 s4, 0x42b17218, v42
	v_cndmask_b32_e64 v42, 0, v49, s5
	v_cmp_nlt_f32_e64 s5, 0x42b17218, v47
	v_cvt_f16_f32_e64 v47, v199
	s_wait_alu 0xf1ff
	v_cndmask_b32_e64 v182, 0x7f800000, v43, s4
	v_cvt_f16_f32_e64 v43, v180
	v_cndmask_b32_e64 v197, 0x7f800000, v42, s5
	s_delay_alu instid0(VALU_DEP_3) | instskip(NEXT) | instid1(VALU_DEP_2)
	v_cvt_f16_f32_e64 v46, v182
	v_cvt_f16_f32_e64 v42, v197
	s_delay_alu instid0(VALU_DEP_2) | instskip(SKIP_1) | instid1(VALU_DEP_3)
	v_pack_b32_f16 v43, v43, v46
	v_mul_f32_e32 v46, 0x3fb8aa3b, v45
	v_pack_b32_f16 v42, v42, v47
	s_delay_alu instid0(VALU_DEP_2) | instskip(SKIP_1) | instid1(VALU_DEP_2)
	v_fma_f32 v47, 0x3fb8aa3b, v45, -v46
	v_rndne_f32_e32 v49, v46
	v_fmac_f32_e32 v47, 0x32a5705f, v45
	s_delay_alu instid0(VALU_DEP_2) | instskip(SKIP_3) | instid1(VALU_DEP_4)
	v_dual_sub_f32 v46, v46, v49 :: v_dual_sub_f32 v41, v41, v112
	v_cvt_i32_f32_e32 v49, v49
	v_sub_f32_e32 v44, v44, v112
	v_sub_f32_e32 v40, v40, v112
	v_dual_add_f32 v46, v46, v47 :: v_dual_mul_f32 v47, 0x3fb8aa3b, v41
	v_cmp_ngt_f32_e64 s3, 0xc2ce8ed0, v41
	v_sub_f32_e32 v60, v60, v112
	v_sub_f32_e32 v67, v67, v112
	s_delay_alu instid0(VALU_DEP_4) | instskip(SKIP_2) | instid1(VALU_DEP_3)
	v_exp_f32_e32 v46, v46
	v_fma_f32 v50, 0x3fb8aa3b, v41, -v47
	v_rndne_f32_e32 v54, v47
	v_cmp_ngt_f32_e64 s4, 0xc2ce8ed0, v67
	s_delay_alu instid0(VALU_DEP_2) | instskip(NEXT) | instid1(TRANS32_DEP_1)
	v_dual_fmac_f32 v50, 0x32a5705f, v41 :: v_dual_sub_f32 v47, v47, v54
	v_ldexp_f32 v46, v46, v49
	v_cvt_i32_f32_e32 v49, v54
	s_delay_alu instid0(VALU_DEP_3) | instskip(SKIP_1) | instid1(VALU_DEP_3)
	v_add_f32_e32 v47, v47, v50
	s_wait_alu 0xfffd
	v_cndmask_b32_e32 v46, 0, v46, vcc_lo
	v_cmp_nlt_f32_e32 vcc_lo, 0x42b17218, v45
	s_delay_alu instid0(VALU_DEP_3) | instskip(SKIP_1) | instid1(VALU_DEP_2)
	v_exp_f32_e32 v47, v47
	s_wait_alu 0xfffd
	v_cndmask_b32_e32 v203, 0x7f800000, v46, vcc_lo
	v_cmp_ngt_f32_e32 vcc_lo, 0xc2ce8ed0, v44
	s_delay_alu instid0(TRANS32_DEP_1) | instskip(SKIP_1) | instid1(VALU_DEP_1)
	v_ldexp_f32 v47, v47, v49
	s_wait_alu 0xf1ff
	v_cndmask_b32_e64 v45, 0, v47, s3
	v_cmp_nlt_f32_e64 s3, 0x42b17218, v41
	s_wait_alu 0xf1ff
	s_delay_alu instid0(VALU_DEP_1) | instskip(SKIP_2) | instid1(VALU_DEP_3)
	v_cndmask_b32_e64 v201, 0x7f800000, v45, s3
	v_cvt_f16_f32_e64 v45, v203
	v_cmp_ngt_f32_e64 s3, 0xc2ce8ed0, v40
	v_cvt_f16_f32_e64 v41, v201
	s_delay_alu instid0(VALU_DEP_1) | instskip(SKIP_1) | instid1(VALU_DEP_1)
	v_pack_b32_f16 v41, v41, v45
	v_mul_f32_e32 v45, 0x3fb8aa3b, v44
	v_fma_f32 v46, 0x3fb8aa3b, v44, -v45
	v_rndne_f32_e32 v47, v45
	s_delay_alu instid0(VALU_DEP_1) | instskip(SKIP_1) | instid1(VALU_DEP_2)
	v_dual_fmac_f32 v46, 0x32a5705f, v44 :: v_dual_sub_f32 v45, v45, v47
	v_cvt_i32_f32_e32 v47, v47
	v_dual_add_f32 v45, v45, v46 :: v_dual_mul_f32 v46, 0x3fb8aa3b, v40
	s_delay_alu instid0(VALU_DEP_1) | instskip(NEXT) | instid1(VALU_DEP_1)
	v_exp_f32_e32 v45, v45
	v_fma_f32 v49, 0x3fb8aa3b, v40, -v46
	v_rndne_f32_e32 v50, v46
	s_delay_alu instid0(VALU_DEP_1) | instskip(NEXT) | instid1(TRANS32_DEP_1)
	v_dual_fmac_f32 v49, 0x32a5705f, v40 :: v_dual_sub_f32 v46, v46, v50
	v_ldexp_f32 v45, v45, v47
	v_cvt_i32_f32_e32 v47, v50
	s_delay_alu instid0(VALU_DEP_3) | instskip(SKIP_1) | instid1(VALU_DEP_3)
	v_add_f32_e32 v46, v46, v49
	s_wait_alu 0xfffd
	v_cndmask_b32_e32 v45, 0, v45, vcc_lo
	v_cmp_nlt_f32_e32 vcc_lo, 0x42b17218, v44
	s_delay_alu instid0(VALU_DEP_3) | instskip(SKIP_1) | instid1(VALU_DEP_2)
	v_exp_f32_e32 v46, v46
	s_wait_alu 0xfffd
	v_cndmask_b32_e32 v249, 0x7f800000, v45, vcc_lo
	s_delay_alu instid0(TRANS32_DEP_1) | instskip(SKIP_1) | instid1(VALU_DEP_1)
	v_ldexp_f32 v46, v46, v47
	s_wait_alu 0xf1ff
	v_cndmask_b32_e64 v44, 0, v46, s3
	v_cmp_nlt_f32_e64 s3, 0x42b17218, v40
	s_wait_alu 0xf1ff
	s_delay_alu instid0(VALU_DEP_1) | instskip(SKIP_1) | instid1(VALU_DEP_2)
	v_cndmask_b32_e64 v247, 0x7f800000, v44, s3
	v_cvt_f16_f32_e64 v44, v249
	v_cvt_f16_f32_e64 v40, v247
	s_delay_alu instid0(VALU_DEP_1) | instskip(SKIP_1) | instid1(VALU_DEP_1)
	v_pack_b32_f16 v40, v40, v44
	v_sub_f32_e32 v44, v48, v112
	v_mul_f32_e32 v45, 0x3fb8aa3b, v44
	v_cmp_ngt_f32_e32 vcc_lo, 0xc2ce8ed0, v44
	s_delay_alu instid0(VALU_DEP_2) | instskip(SKIP_1) | instid1(VALU_DEP_1)
	v_fma_f32 v46, 0x3fb8aa3b, v44, -v45
	v_rndne_f32_e32 v47, v45
	v_dual_fmac_f32 v46, 0x32a5705f, v44 :: v_dual_sub_f32 v45, v45, v47
	s_delay_alu instid0(VALU_DEP_1) | instskip(SKIP_1) | instid1(VALU_DEP_2)
	v_add_f32_e32 v45, v45, v46
	v_cvt_i32_f32_e32 v46, v47
	v_exp_f32_e32 v45, v45
	s_delay_alu instid0(TRANS32_DEP_1)
	v_ldexp_f32 v45, v45, v46
	ds_load_u16 v48, v193 offset:800
	ds_load_u16 v47, v193 offset:448
	;; [unrolled: 1-line block ×13, first 2 shown]
	s_wait_alu 0xfffd
	v_cndmask_b32_e32 v45, 0, v45, vcc_lo
	v_cmp_nlt_f32_e32 vcc_lo, 0x42b17218, v44
	s_wait_alu 0xfffd
	s_delay_alu instid0(VALU_DEP_2) | instskip(SKIP_2) | instid1(VALU_DEP_2)
	v_cndmask_b32_e32 v45, 0x7f800000, v45, vcc_lo
	v_cmp_le_f32_e32 vcc_lo, 0xc1a00000, v44
	s_wait_alu 0xfffd
	v_cndmask_b32_e32 v205, 0, v45, vcc_lo
	s_wait_dscnt 0x5
	ds_load_u16_d16_hi v105, v195 offset:128
	s_wait_dscnt 0x5
	ds_load_u16_d16_hi v82, v195 offset:2816
	;; [unrolled: 2-line block ×4, first 2 shown]
	ds_load_u16 v97, v193 offset:704
	ds_load_u16 v86, v194 offset:2912
	;; [unrolled: 1-line block ×9, first 2 shown]
	s_wait_dscnt 0x7
	ds_load_u16_d16_hi v86, v195 offset:2912
	s_wait_dscnt 0x7
	ds_load_u16_d16_hi v90, v195 offset:2944
	;; [unrolled: 2-line block ×4, first 2 shown]
	ds_load_u16_d16_hi v102, v193 offset:304
	ds_load_u16_d16_hi v96, v193 offset:528
	;; [unrolled: 1-line block ×3, first 2 shown]
	ds_load_u16 v101, v193 offset:736
	ds_load_u16 v100, v193 offset:384
	ds_load_u16_d16_hi v46, v193 offset:272
	ds_load_u16_d16_hi v93, v193 offset:944
	ds_load_u16_d16_hi v48, v193 offset:976
	ds_load_u16 v87, v193 offset:2944
	ds_load_u16 v79, v193 offset:2816
	ds_load_u16 v71, v193 offset:2880
	ds_load_u16_d16_hi v97, v193 offset:880
	ds_load_u16_d16_hi v104, v193 offset:1008
	;; [unrolled: 1-line block ×3, first 2 shown]
	ds_load_u16 v75, v193 offset:2848
	v_cvt_f16_f32_e64 v44, v205
	s_wait_dscnt 0x6
	ds_load_u16_d16_hi v87, v193 offset:3120
	ds_load_u16 v83, v193 offset:2912
	ds_load_u16 v76, v193 offset:3200
	s_wait_dscnt 0x8
	ds_load_u16_d16_hi v79, v193 offset:2992
	v_and_b32_e32 v44, 0xffff, v44
	s_delay_alu instid0(VALU_DEP_1) | instskip(NEXT) | instid1(VALU_DEP_1)
	v_mul_u32_u24_e32 v80, 0x10001, v44
	v_pk_mul_f16 v4, v4, v80
	v_pk_mul_f16 v5, v5, v80
	;; [unrolled: 1-line block ×8, first 2 shown]
	s_wait_dscnt 0x6
	v_wmma_f16_16x16x16_f16 v[4:7], v[102:105], v[40:43], v[4:7]
	ds_load_u16 v69, v193 offset:9280
	ds_load_u16 v44, v193 offset:9152
	;; [unrolled: 1-line block ×4, first 2 shown]
	ds_load_u16 v98, v194
	ds_load_u16 v95, v193
	ds_load_u16 v99, v193 offset:32
	ds_load_u16 v91, v193 offset:64
	;; [unrolled: 1-line block ×5, first 2 shown]
	s_wait_dscnt 0x8
	ds_load_u16_d16_hi v103, v193 offset:9072
	ds_load_u16_d16_hi v69, v193 offset:9456
	;; [unrolled: 1-line block ×3, first 2 shown]
	ds_load_u16 v170, v193 offset:9184
	s_wait_dscnt 0xb
	ds_load_u16_d16_hi v104, v193 offset:9424
	s_wait_dscnt 0xb
	ds_load_u16_d16_hi v98, v195
	s_wait_dscnt 0xb
	ds_load_u16_d16_hi v95, v193 offset:176
	s_wait_dscnt 0xb
	ds_load_u16_d16_hi v99, v193 offset:208
	;; [unrolled: 2-line block ×4, first 2 shown]
	ds_load_u16_d16_hi v94, v195 offset:64
	s_wait_dscnt 0xc
	ds_load_u16_d16_hi v49, v195 offset:96
	ds_load_u16 v70, v194 offset:8576
	ds_load_u16 v92, v193 offset:416
	ds_load_u16_d16_hi v101, v193 offset:912
	ds_load_u16_d16_hi v100, v193 offset:560
	v_pk_mul_f16 v0, v0, v80
	v_pk_mul_f16 v1, v1, v80
	v_pk_mul_f16 v2, v2, v80
	v_pk_mul_f16 v3, v3, v80
	v_pk_mul_f16 v12, v12, v80
	v_pk_mul_f16 v13, v13, v80
	v_pk_mul_f16 v14, v14, v80
	v_pk_mul_f16 v15, v15, v80
	v_pk_mul_f16 v8, v8, v80
	v_pk_mul_f16 v9, v9, v80
	v_pk_mul_f16 v10, v10, v80
	v_pk_mul_f16 v11, v11, v80
	s_wait_dscnt 0x9
	v_wmma_f16_16x16x16_f16 v[16:19], v[95:98], v[40:43], v[16:19]
	s_wait_dscnt 0x2
	ds_load_u16_d16_hi v92, v193 offset:592
	v_wmma_f16_16x16x16_f16 v[8:11], v[46:49], v[40:43], v[8:11]
	s_wait_dscnt 0x1
	v_wmma_f16_16x16x16_f16 v[0:3], v[99:102], v[40:43], v[0:3]
	s_wait_dscnt 0x0
	v_wmma_f16_16x16x16_f16 v[12:15], v[91:94], v[40:43], v[12:15]
	v_sub_f32_e32 v40, v77, v112
	s_delay_alu instid0(VALU_DEP_1) | instskip(SKIP_1) | instid1(VALU_DEP_2)
	v_mul_f32_e32 v41, 0x3fb8aa3b, v40
	v_cmp_ngt_f32_e64 s5, 0xc2ce8ed0, v40
	v_fma_f32 v42, 0x3fb8aa3b, v40, -v41
	v_rndne_f32_e32 v43, v41
	s_delay_alu instid0(VALU_DEP_1) | instskip(SKIP_1) | instid1(VALU_DEP_2)
	v_dual_fmac_f32 v42, 0x32a5705f, v40 :: v_dual_sub_f32 v41, v41, v43
	v_cvt_i32_f32_e32 v43, v43
	v_add_f32_e32 v41, v41, v42
	v_sub_f32_e32 v42, v73, v112
	s_delay_alu instid0(VALU_DEP_2) | instskip(NEXT) | instid1(VALU_DEP_1)
	v_exp_f32_e32 v41, v41
	v_mul_f32_e32 v46, 0x3fb8aa3b, v42
	v_cmp_ngt_f32_e32 vcc_lo, 0xc2ce8ed0, v42
	s_delay_alu instid0(VALU_DEP_2) | instskip(SKIP_1) | instid1(TRANS32_DEP_1)
	v_fma_f32 v47, 0x3fb8aa3b, v42, -v46
	v_rndne_f32_e32 v48, v46
	v_ldexp_f32 v41, v41, v43
	s_delay_alu instid0(VALU_DEP_2) | instskip(SKIP_2) | instid1(VALU_DEP_3)
	v_dual_fmac_f32 v47, 0x32a5705f, v42 :: v_dual_sub_f32 v46, v46, v48
	v_cvt_i32_f32_e32 v48, v48
	s_wait_alu 0xf1ff
	v_cndmask_b32_e64 v41, 0, v41, s5
	v_cmp_nlt_f32_e64 s5, 0x42b17218, v40
	v_dual_add_f32 v46, v46, v47 :: v_dual_sub_f32 v47, v72, v112
	s_wait_alu 0xf1ff
	s_delay_alu instid0(VALU_DEP_2) | instskip(NEXT) | instid1(VALU_DEP_2)
	v_cndmask_b32_e64 v91, 0x7f800000, v41, s5
	v_exp_f32_e32 v46, v46
	s_delay_alu instid0(VALU_DEP_2) | instskip(SKIP_1) | instid1(VALU_DEP_3)
	v_mul_f32_e32 v49, 0x3fb8aa3b, v47
	v_cmp_ngt_f32_e64 s3, 0xc2ce8ed0, v47
	v_cvt_f16_f32_e32 v40, v91
	s_delay_alu instid0(VALU_DEP_3) | instskip(SKIP_1) | instid1(TRANS32_DEP_1)
	v_fma_f32 v72, 0x3fb8aa3b, v47, -v49
	v_rndne_f32_e32 v73, v49
	v_ldexp_f32 v46, v46, v48
	s_delay_alu instid0(VALU_DEP_2) | instskip(SKIP_2) | instid1(VALU_DEP_3)
	v_dual_fmac_f32 v72, 0x32a5705f, v47 :: v_dual_sub_f32 v49, v49, v73
	v_cvt_i32_f32_e32 v43, v73
	s_wait_alu 0xfffd
	v_cndmask_b32_e32 v46, 0, v46, vcc_lo
	v_cmp_nlt_f32_e32 vcc_lo, 0x42b17218, v42
	v_dual_add_f32 v49, v49, v72 :: v_dual_mul_f32 v72, 0x3fb8aa3b, v67
	s_wait_alu 0xfffd
	s_delay_alu instid0(VALU_DEP_3) | instskip(NEXT) | instid1(VALU_DEP_2)
	v_cndmask_b32_e32 v94, 0x7f800000, v46, vcc_lo
	v_exp_f32_e32 v49, v49
	s_delay_alu instid0(VALU_DEP_2) | instskip(SKIP_1) | instid1(VALU_DEP_3)
	v_fma_f32 v77, 0x3fb8aa3b, v67, -v72
	v_rndne_f32_e32 v80, v72
	v_cvt_f16_f32_e32 v46, v94
	s_delay_alu instid0(VALU_DEP_2) | instskip(SKIP_1) | instid1(TRANS32_DEP_1)
	v_dual_fmac_f32 v77, 0x32a5705f, v67 :: v_dual_sub_f32 v72, v72, v80
	v_cvt_i32_f32_e32 v48, v80
	v_ldexp_f32 v43, v49, v43
	s_delay_alu instid0(VALU_DEP_3) | instskip(SKIP_1) | instid1(VALU_DEP_2)
	v_add_f32_e32 v72, v72, v77
	s_wait_alu 0xf1ff
	v_cndmask_b32_e64 v42, 0, v43, s3
	v_cmp_nlt_f32_e64 s3, 0x42b17218, v47
	s_delay_alu instid0(VALU_DEP_3)
	v_exp_f32_e32 v49, v72
	ds_load_u16 v85, v193 offset:3616
	ds_load_u16 v89, v193 offset:3648
	;; [unrolled: 1-line block ×4, first 2 shown]
	ds_load_u16_d16_hi v76, v193 offset:3376
	ds_load_u16 v72, v193 offset:3232
	s_wait_alu 0xf1ff
	v_cndmask_b32_e64 v92, 0x7f800000, v42, s3
	s_delay_alu instid0(VALU_DEP_1) | instskip(SKIP_1) | instid1(VALU_DEP_1)
	v_cvt_f16_f32_e32 v41, v92
	v_ldexp_f32 v48, v49, v48
	v_cndmask_b32_e64 v43, 0, v48, s4
	v_cmp_nlt_f32_e64 s4, 0x42b17218, v67
	s_wait_alu 0xf1ff
	s_delay_alu instid0(VALU_DEP_1) | instskip(SKIP_1) | instid1(VALU_DEP_2)
	v_cndmask_b32_e64 v93, 0x7f800000, v43, s4
	v_cmp_ngt_f32_e64 s4, 0xc2ce8ed0, v60
	v_cvt_f16_f32_e32 v42, v93
	s_delay_alu instid0(VALU_DEP_1) | instskip(SKIP_2) | instid1(VALU_DEP_1)
	v_pack_b32_f16 v43, v41, v42
	v_pack_b32_f16 v42, v40, v46
	v_sub_f32_e32 v40, v65, v112
	v_mul_f32_e32 v41, 0x3fb8aa3b, v40
	v_cmp_ngt_f32_e32 vcc_lo, 0xc2ce8ed0, v40
	s_delay_alu instid0(VALU_DEP_2) | instskip(SKIP_1) | instid1(VALU_DEP_1)
	v_fma_f32 v46, 0x3fb8aa3b, v40, -v41
	v_rndne_f32_e32 v47, v41
	v_dual_fmac_f32 v46, 0x32a5705f, v40 :: v_dual_sub_f32 v41, v41, v47
	v_cvt_i32_f32_e32 v47, v47
	s_delay_alu instid0(VALU_DEP_2) | instskip(NEXT) | instid1(VALU_DEP_1)
	v_dual_add_f32 v41, v41, v46 :: v_dual_sub_f32 v46, v59, v112
	v_exp_f32_e32 v41, v41
	s_delay_alu instid0(VALU_DEP_1) | instskip(SKIP_1) | instid1(VALU_DEP_2)
	v_mul_f32_e32 v48, 0x3fb8aa3b, v46
	v_cmp_ngt_f32_e64 s3, 0xc2ce8ed0, v46
	v_fma_f32 v49, 0x3fb8aa3b, v46, -v48
	v_rndne_f32_e32 v59, v48
	s_delay_alu instid0(TRANS32_DEP_1) | instskip(NEXT) | instid1(VALU_DEP_2)
	v_ldexp_f32 v41, v41, v47
	v_dual_fmac_f32 v49, 0x32a5705f, v46 :: v_dual_sub_f32 v48, v48, v59
	v_cvt_i32_f32_e32 v47, v59
	s_wait_alu 0xfffd
	s_delay_alu instid0(VALU_DEP_3) | instskip(SKIP_3) | instid1(VALU_DEP_3)
	v_cndmask_b32_e32 v41, 0, v41, vcc_lo
	v_cmp_nlt_f32_e32 vcc_lo, 0x42b17218, v40
	v_add_f32_e32 v48, v48, v49
	s_wait_alu 0xfffd
	v_cndmask_b32_e32 v96, 0x7f800000, v41, vcc_lo
	s_delay_alu instid0(VALU_DEP_2) | instskip(NEXT) | instid1(VALU_DEP_1)
	v_exp_f32_e32 v48, v48
	v_cvt_f16_f32_e32 v41, v96
	s_delay_alu instid0(TRANS32_DEP_1) | instskip(SKIP_1) | instid1(VALU_DEP_1)
	v_ldexp_f32 v47, v48, v47
	s_wait_alu 0xf1ff
	v_cndmask_b32_e64 v40, 0, v47, s3
	v_cmp_nlt_f32_e64 s3, 0x42b17218, v46
	s_wait_alu 0xf1ff
	s_delay_alu instid0(VALU_DEP_1) | instskip(NEXT) | instid1(VALU_DEP_1)
	v_cndmask_b32_e64 v95, 0x7f800000, v40, s3
	v_cvt_f16_f32_e32 v40, v95
	s_delay_alu instid0(VALU_DEP_1) | instskip(SKIP_1) | instid1(VALU_DEP_1)
	v_pack_b32_f16 v41, v40, v41
	v_sub_f32_e32 v40, v55, v112
	v_mul_f32_e32 v46, 0x3fb8aa3b, v40
	v_cmp_ngt_f32_e32 vcc_lo, 0xc2ce8ed0, v40
	s_delay_alu instid0(VALU_DEP_2) | instskip(SKIP_1) | instid1(VALU_DEP_2)
	v_fma_f32 v47, 0x3fb8aa3b, v40, -v46
	v_rndne_f32_e32 v48, v46
	v_fmac_f32_e32 v47, 0x32a5705f, v40
	s_delay_alu instid0(VALU_DEP_2) | instskip(SKIP_1) | instid1(VALU_DEP_2)
	v_sub_f32_e32 v46, v46, v48
	v_cvt_i32_f32_e32 v48, v48
	v_dual_add_f32 v46, v46, v47 :: v_dual_sub_f32 v47, v51, v112
	s_delay_alu instid0(VALU_DEP_1) | instskip(NEXT) | instid1(VALU_DEP_1)
	v_exp_f32_e32 v46, v46
	v_mul_f32_e32 v49, 0x3fb8aa3b, v47
	v_cmp_ngt_f32_e64 s3, 0xc2ce8ed0, v47
	s_delay_alu instid0(VALU_DEP_2) | instskip(SKIP_1) | instid1(TRANS32_DEP_1)
	v_fma_f32 v51, 0x3fb8aa3b, v47, -v49
	v_rndne_f32_e32 v55, v49
	v_ldexp_f32 v46, v46, v48
	s_delay_alu instid0(VALU_DEP_3) | instskip(NEXT) | instid1(VALU_DEP_3)
	v_fmac_f32_e32 v51, 0x32a5705f, v47
	v_sub_f32_e32 v49, v49, v55
	v_cvt_i32_f32_e32 v48, v55
	s_wait_alu 0xfffd
	v_cndmask_b32_e32 v46, 0, v46, vcc_lo
	v_cmp_nlt_f32_e32 vcc_lo, 0x42b17218, v40
	s_wait_alu 0xfffd
	s_delay_alu instid0(VALU_DEP_2) | instskip(NEXT) | instid1(VALU_DEP_1)
	v_dual_add_f32 v49, v49, v51 :: v_dual_cndmask_b32 v98, 0x7f800000, v46
	v_exp_f32_e32 v49, v49
	s_delay_alu instid0(VALU_DEP_1) | instskip(NEXT) | instid1(TRANS32_DEP_1)
	v_cvt_f16_f32_e32 v46, v98
	v_ldexp_f32 v48, v49, v48
	s_wait_alu 0xf1ff
	s_delay_alu instid0(VALU_DEP_1)
	v_cndmask_b32_e64 v40, 0, v48, s3
	v_cmp_nlt_f32_e64 s3, 0x42b17218, v47
	s_wait_dscnt 0x3
	ds_load_u16_d16_hi v88, v193 offset:3472
	s_wait_dscnt 0x3
	ds_load_u16_d16_hi v81, v193 offset:3696
	ds_load_u16_d16_hi v89, v193 offset:3824
	ds_load_u16 v59, v193 offset:5632
	ds_load_u16 v51, v193 offset:5664
	ds_load_u16 v47, v193 offset:5696
	ds_load_u16 v55, v193 offset:5728
	ds_load_u16 v77, v193 offset:3552
	s_wait_dscnt 0x8
	ds_load_u16_d16_hi v72, v193 offset:3408
	ds_load_u16_d16_hi v85, v193 offset:3792
	ds_load_u16 v80, v193 offset:3168
	ds_load_u16_d16_hi v83, v193 offset:3088
	s_wait_alu 0xf1ff
	v_cndmask_b32_e64 v97, 0x7f800000, v40, s3
	s_delay_alu instid0(VALU_DEP_1) | instskip(NEXT) | instid1(VALU_DEP_1)
	v_cvt_f16_f32_e32 v40, v97
	v_pack_b32_f16 v40, v40, v46
	s_wait_dscnt 0x9
	s_delay_alu instid0(VALU_DEP_1)
	v_wmma_f16_16x16x16_f16 v[4:7], v[87:90], v[40:43], v[4:7]
	s_wait_dscnt 0x1
	ds_load_u16_d16_hi v80, v193 offset:3344
	ds_load_u16 v73, v193 offset:3584
	ds_load_u16_d16_hi v75, v193 offset:3024
	ds_load_u16_d16_hi v77, v193 offset:3728
	;; [unrolled: 1-line block ×3, first 2 shown]
	ds_load_u16 v84, v193 offset:3264
	s_wait_dscnt 0x4
	ds_load_u16_d16_hi v73, v193 offset:3760
	v_wmma_f16_16x16x16_f16 v[16:19], v[79:82], v[40:43], v[16:19]
	s_wait_dscnt 0x3
	v_wmma_f16_16x16x16_f16 v[0:3], v[75:78], v[40:43], v[0:3]
	s_wait_dscnt 0x1
	ds_load_u16_d16_hi v84, v193 offset:3440
	s_wait_dscnt 0x1
	v_wmma_f16_16x16x16_f16 v[12:15], v[71:74], v[40:43], v[12:15]
	s_wait_dscnt 0x0
	v_wmma_f16_16x16x16_f16 v[8:11], v[83:86], v[40:43], v[8:11]
	v_sub_f32_e32 v40, v64, v112
	s_delay_alu instid0(VALU_DEP_1) | instskip(SKIP_1) | instid1(VALU_DEP_2)
	v_mul_f32_e32 v41, 0x3fb8aa3b, v40
	v_cmp_ngt_f32_e64 s5, 0xc2ce8ed0, v40
	v_fma_f32 v42, 0x3fb8aa3b, v40, -v41
	v_rndne_f32_e32 v43, v41
	s_delay_alu instid0(VALU_DEP_1) | instskip(SKIP_1) | instid1(VALU_DEP_2)
	v_dual_fmac_f32 v42, 0x32a5705f, v40 :: v_dual_sub_f32 v41, v41, v43
	v_cvt_i32_f32_e32 v43, v43
	v_dual_add_f32 v41, v41, v42 :: v_dual_sub_f32 v42, v63, v112
	s_delay_alu instid0(VALU_DEP_1) | instskip(NEXT) | instid1(VALU_DEP_1)
	v_exp_f32_e32 v41, v41
	v_mul_f32_e32 v46, 0x3fb8aa3b, v42
	v_cmp_ngt_f32_e32 vcc_lo, 0xc2ce8ed0, v42
	s_delay_alu instid0(VALU_DEP_2) | instskip(SKIP_1) | instid1(TRANS32_DEP_1)
	v_fma_f32 v48, 0x3fb8aa3b, v42, -v46
	v_rndne_f32_e32 v49, v46
	v_ldexp_f32 v41, v41, v43
	s_delay_alu instid0(VALU_DEP_3) | instskip(NEXT) | instid1(VALU_DEP_3)
	v_fmac_f32_e32 v48, 0x32a5705f, v42
	v_sub_f32_e32 v46, v46, v49
	v_cvt_i32_f32_e32 v49, v49
	s_wait_alu 0xf1ff
	v_cndmask_b32_e64 v41, 0, v41, s5
	v_cmp_nlt_f32_e64 s5, 0x42b17218, v40
	v_add_f32_e32 v46, v46, v48
	v_sub_f32_e32 v48, v61, v112
	s_wait_alu 0xf1ff
	s_delay_alu instid0(VALU_DEP_3) | instskip(NEXT) | instid1(VALU_DEP_3)
	v_cndmask_b32_e64 v40, 0x7f800000, v41, s5
	v_exp_f32_e32 v46, v46
	s_delay_alu instid0(VALU_DEP_2) | instskip(SKIP_1) | instid1(VALU_DEP_2)
	v_mul_f32_e32 v61, 0x3fb8aa3b, v48
	v_cmp_ngt_f32_e64 s3, 0xc2ce8ed0, v48
	v_fma_f32 v63, 0x3fb8aa3b, v48, -v61
	v_rndne_f32_e32 v64, v61
	s_delay_alu instid0(TRANS32_DEP_1) | instskip(NEXT) | instid1(VALU_DEP_3)
	v_ldexp_f32 v46, v46, v49
	v_fmac_f32_e32 v63, 0x32a5705f, v48
	s_delay_alu instid0(VALU_DEP_3)
	v_sub_f32_e32 v61, v61, v64
	v_cvt_i32_f32_e32 v43, v64
	s_wait_alu 0xfffd
	v_cndmask_b32_e32 v46, 0, v46, vcc_lo
	v_cmp_nlt_f32_e32 vcc_lo, 0x42b17218, v42
	v_add_f32_e32 v61, v61, v63
	v_mul_f32_e32 v63, 0x3fb8aa3b, v60
	s_wait_alu 0xfffd
	v_cndmask_b32_e32 v76, 0x7f800000, v46, vcc_lo
	s_delay_alu instid0(VALU_DEP_3) | instskip(NEXT) | instid1(VALU_DEP_2)
	v_exp_f32_e32 v61, v61
	v_fma_f32 v65, 0x3fb8aa3b, v60, -v63
	v_rndne_f32_e32 v67, v63
	s_delay_alu instid0(VALU_DEP_2) | instskip(NEXT) | instid1(VALU_DEP_2)
	v_fmac_f32_e32 v65, 0x32a5705f, v60
	v_sub_f32_e32 v63, v63, v67
	v_cvt_i32_f32_e32 v49, v67
	s_delay_alu instid0(TRANS32_DEP_1) | instskip(NEXT) | instid1(VALU_DEP_3)
	v_ldexp_f32 v43, v61, v43
	v_add_f32_e32 v63, v63, v65
	s_wait_alu 0xf1ff
	s_delay_alu instid0(VALU_DEP_2) | instskip(SKIP_1) | instid1(VALU_DEP_3)
	v_cndmask_b32_e64 v42, 0, v43, s3
	v_cmp_nlt_f32_e64 s3, 0x42b17218, v48
	v_exp_f32_e32 v61, v63
	v_cvt_f16_f32_e32 v48, v76
	ds_load_u16 v64, v193 offset:6112
	ds_load_u16 v63, v193 offset:5760
	;; [unrolled: 1-line block ×6, first 2 shown]
	ds_load_u16_d16_hi v66, v195 offset:5760
	ds_load_u16_d16_hi v45, v195 offset:8448
	s_wait_alu 0xf1ff
	v_cndmask_b32_e64 v41, 0x7f800000, v42, s3
	v_cvt_f16_f32_e32 v42, v40
	v_ldexp_f32 v49, v61, v49
	s_delay_alu instid0(VALU_DEP_2) | instskip(SKIP_1) | instid1(VALU_DEP_3)
	v_pack_b32_f16 v73, v42, v48
	v_sub_f32_e32 v42, v57, v112
	v_cndmask_b32_e64 v43, 0, v49, s4
	v_cmp_nlt_f32_e64 s4, 0x42b17218, v60
	s_delay_alu instid0(VALU_DEP_3) | instskip(SKIP_1) | instid1(VALU_DEP_2)
	v_cmp_ngt_f32_e32 vcc_lo, 0xc2ce8ed0, v42
	s_wait_alu 0xf1ff
	v_cndmask_b32_e64 v75, 0x7f800000, v43, s4
	v_cvt_f16_f32_e32 v43, v41
	s_delay_alu instid0(VALU_DEP_2) | instskip(NEXT) | instid1(VALU_DEP_1)
	v_cvt_f16_f32_e32 v46, v75
	v_pack_b32_f16 v74, v43, v46
	v_mul_f32_e32 v43, 0x3fb8aa3b, v42
	s_delay_alu instid0(VALU_DEP_1) | instskip(SKIP_1) | instid1(VALU_DEP_1)
	v_fma_f32 v46, 0x3fb8aa3b, v42, -v43
	v_rndne_f32_e32 v48, v43
	v_dual_fmac_f32 v46, 0x32a5705f, v42 :: v_dual_sub_f32 v43, v43, v48
	v_cvt_i32_f32_e32 v48, v48
	s_delay_alu instid0(VALU_DEP_2) | instskip(NEXT) | instid1(VALU_DEP_1)
	v_dual_add_f32 v43, v43, v46 :: v_dual_sub_f32 v46, v56, v112
	v_exp_f32_e32 v43, v43
	s_delay_alu instid0(VALU_DEP_1) | instskip(SKIP_1) | instid1(VALU_DEP_2)
	v_mul_f32_e32 v49, 0x3fb8aa3b, v46
	v_cmp_ngt_f32_e64 s3, 0xc2ce8ed0, v46
	v_fma_f32 v56, 0x3fb8aa3b, v46, -v49
	v_rndne_f32_e32 v57, v49
	s_delay_alu instid0(TRANS32_DEP_1) | instskip(NEXT) | instid1(VALU_DEP_2)
	v_ldexp_f32 v43, v43, v48
	v_dual_fmac_f32 v56, 0x32a5705f, v46 :: v_dual_sub_f32 v49, v49, v57
	v_cvt_i32_f32_e32 v48, v57
	s_wait_alu 0xfffd
	s_delay_alu instid0(VALU_DEP_3) | instskip(SKIP_2) | instid1(VALU_DEP_2)
	v_cndmask_b32_e32 v43, 0, v43, vcc_lo
	v_cmp_nlt_f32_e32 vcc_lo, 0x42b17218, v42
	s_wait_alu 0xfffd
	v_dual_add_f32 v49, v49, v56 :: v_dual_cndmask_b32 v78, 0x7f800000, v43
	s_delay_alu instid0(VALU_DEP_1) | instskip(NEXT) | instid1(VALU_DEP_1)
	v_exp_f32_e32 v49, v49
	v_cvt_f16_f32_e32 v43, v78
	s_delay_alu instid0(TRANS32_DEP_1) | instskip(SKIP_1) | instid1(VALU_DEP_1)
	v_ldexp_f32 v48, v49, v48
	s_wait_alu 0xf1ff
	v_cndmask_b32_e64 v42, 0, v48, s3
	v_cmp_nlt_f32_e64 s3, 0x42b17218, v46
	s_wait_alu 0xf1ff
	s_delay_alu instid0(VALU_DEP_1) | instskip(NEXT) | instid1(VALU_DEP_1)
	v_cndmask_b32_e64 v77, 0x7f800000, v42, s3
	v_cvt_f16_f32_e32 v42, v77
	s_delay_alu instid0(VALU_DEP_1) | instskip(SKIP_1) | instid1(VALU_DEP_1)
	v_pack_b32_f16 v72, v42, v43
	v_sub_f32_e32 v42, v53, v112
	v_mul_f32_e32 v43, 0x3fb8aa3b, v42
	v_cmp_ngt_f32_e32 vcc_lo, 0xc2ce8ed0, v42
	s_delay_alu instid0(VALU_DEP_2) | instskip(SKIP_1) | instid1(VALU_DEP_1)
	v_fma_f32 v46, 0x3fb8aa3b, v42, -v43
	v_rndne_f32_e32 v48, v43
	v_dual_fmac_f32 v46, 0x32a5705f, v42 :: v_dual_sub_f32 v43, v43, v48
	v_cvt_i32_f32_e32 v48, v48
	s_delay_alu instid0(VALU_DEP_2) | instskip(NEXT) | instid1(VALU_DEP_1)
	v_dual_add_f32 v43, v43, v46 :: v_dual_sub_f32 v46, v52, v112
	v_exp_f32_e32 v43, v43
	s_delay_alu instid0(VALU_DEP_1) | instskip(SKIP_1) | instid1(VALU_DEP_2)
	v_mul_f32_e32 v49, 0x3fb8aa3b, v46
	v_cmp_ngt_f32_e64 s3, 0xc2ce8ed0, v46
	v_fma_f32 v52, 0x3fb8aa3b, v46, -v49
	v_rndne_f32_e32 v53, v49
	s_delay_alu instid0(TRANS32_DEP_1) | instskip(NEXT) | instid1(VALU_DEP_2)
	v_ldexp_f32 v43, v43, v48
	v_dual_fmac_f32 v52, 0x32a5705f, v46 :: v_dual_sub_f32 v49, v49, v53
	v_cvt_i32_f32_e32 v48, v53
	s_wait_alu 0xfffd
	s_delay_alu instid0(VALU_DEP_3) | instskip(SKIP_2) | instid1(VALU_DEP_2)
	v_cndmask_b32_e32 v43, 0, v43, vcc_lo
	v_cmp_nlt_f32_e32 vcc_lo, 0x42b17218, v42
	s_wait_alu 0xfffd
	v_dual_add_f32 v49, v49, v52 :: v_dual_cndmask_b32 v80, 0x7f800000, v43
	s_delay_alu instid0(VALU_DEP_1) | instskip(NEXT) | instid1(VALU_DEP_1)
	v_exp_f32_e32 v49, v49
	v_cvt_f16_f32_e32 v43, v80
	s_delay_alu instid0(TRANS32_DEP_1) | instskip(SKIP_1) | instid1(VALU_DEP_1)
	v_ldexp_f32 v48, v49, v48
	s_wait_alu 0xf1ff
	v_cndmask_b32_e64 v42, 0, v48, s3
	v_cmp_nlt_f32_e64 s3, 0x42b17218, v46
	s_wait_alu 0xf1ff
	s_delay_alu instid0(VALU_DEP_1) | instskip(NEXT) | instid1(VALU_DEP_1)
	v_cndmask_b32_e64 v79, 0x7f800000, v42, s3
	v_cvt_f16_f32_e32 v42, v79
	s_delay_alu instid0(VALU_DEP_1)
	v_pack_b32_f16 v71, v42, v43
	s_wait_dscnt 0x2
	ds_load_u16_d16_hi v171, v195 offset:8480
	ds_load_u16_d16_hi v109, v195 offset:8512
	;; [unrolled: 1-line block ×5, first 2 shown]
	ds_load_u16 v53, v193 offset:6368
	ds_load_u16_d16_hi v47, v193 offset:5872
	ds_load_u16 v60, v193 offset:5984
	ds_load_u16_d16_hi v55, v193 offset:5904
	ds_load_u16_d16_hi v59, v193 offset:5808
	;; [unrolled: 1-line block ×4, first 2 shown]
	ds_load_u16 v42, v193 offset:8448
	s_wait_dscnt 0x7
	ds_load_u16_d16_hi v53, v193 offset:6544
	ds_load_u16 v49, v193 offset:6400
	ds_load_u16_d16_hi v65, v193 offset:6640
	s_wait_dscnt 0x8
	ds_load_u16_d16_hi v60, v193 offset:6160
	ds_load_u16 v52, v193 offset:6016
	ds_load_u16 v168, v193 offset:8480
	;; [unrolled: 1-line block ×5, first 2 shown]
	s_wait_dscnt 0x9
	ds_load_u16_d16_hi v42, v193 offset:8624
	v_sub_f32_e32 v43, v160, v112
	s_delay_alu instid0(VALU_DEP_1)
	v_mul_f32_e32 v46, 0x3fb8aa3b, v43
	v_cmp_ngt_f32_e64 s5, 0xc2ce8ed0, v43
	s_wait_dscnt 0x8
	ds_load_u16_d16_hi v49, v193 offset:6576
	ds_load_u16 v56, v193 offset:6080
	ds_load_u16 v61, v193 offset:6336
	s_wait_dscnt 0x1
	ds_load_u16_d16_hi v56, v193 offset:6256
	s_wait_dscnt 0x1
	ds_load_u16_d16_hi v61, v193 offset:6512
	ds_load_u16 v57, v193 offset:6432
	s_wait_dscnt 0x0
	ds_load_u16_d16_hi v57, v193 offset:6608
	ds_load_u16_d16_hi v52, v193 offset:6192
	;; [unrolled: 1-line block ×3, first 2 shown]
	ds_load_u16 v48, v193 offset:6048
	ds_load_u16_d16_hi v50, v195 offset:5696
	v_wmma_f16_16x16x16_f16 v[16:19], v[59:62], v[71:74], v[16:19]
	v_wmma_f16_16x16x16_f16 v[4:7], v[63:66], v[71:74], v[4:7]
	s_wait_dscnt 0x4
	v_wmma_f16_16x16x16_f16 v[8:11], v[55:58], v[71:74], v[8:11]
	s_wait_dscnt 0x1
	ds_load_u16_d16_hi v48, v193 offset:6224
	v_wmma_f16_16x16x16_f16 v[0:3], v[51:54], v[71:74], v[0:3]
	s_wait_dscnt 0x0
	v_wmma_f16_16x16x16_f16 v[12:15], v[47:50], v[71:74], v[12:15]
	v_fma_f32 v47, 0x3fb8aa3b, v43, -v46
	v_rndne_f32_e32 v48, v46
	s_delay_alu instid0(VALU_DEP_1) | instskip(SKIP_1) | instid1(VALU_DEP_2)
	v_dual_fmac_f32 v47, 0x32a5705f, v43 :: v_dual_sub_f32 v46, v46, v48
	v_cvt_i32_f32_e32 v48, v48
	v_add_f32_e32 v46, v46, v47
	v_sub_f32_e32 v47, v198, v112
	s_delay_alu instid0(VALU_DEP_2) | instskip(NEXT) | instid1(VALU_DEP_1)
	v_exp_f32_e32 v46, v46
	v_mul_f32_e32 v49, 0x3fb8aa3b, v47
	v_cmp_ngt_f32_e32 vcc_lo, 0xc2ce8ed0, v47
	s_delay_alu instid0(VALU_DEP_2) | instskip(SKIP_1) | instid1(TRANS32_DEP_1)
	v_fma_f32 v50, 0x3fb8aa3b, v47, -v49
	v_rndne_f32_e32 v51, v49
	v_ldexp_f32 v46, v46, v48
	s_delay_alu instid0(VALU_DEP_3) | instskip(NEXT) | instid1(VALU_DEP_3)
	v_fmac_f32_e32 v50, 0x32a5705f, v47
	v_sub_f32_e32 v49, v49, v51
	v_cvt_i32_f32_e32 v51, v51
	s_wait_alu 0xf1ff
	v_cndmask_b32_e64 v46, 0, v46, s5
	v_cmp_nlt_f32_e64 s5, 0x42b17218, v43
	v_dual_add_f32 v49, v49, v50 :: v_dual_sub_f32 v50, v196, v112
	s_delay_alu instid0(VALU_DEP_1) | instskip(NEXT) | instid1(VALU_DEP_1)
	v_exp_f32_e32 v49, v49
	v_mul_f32_e32 v52, 0x3fb8aa3b, v50
	v_cmp_ngt_f32_e64 s3, 0xc2ce8ed0, v50
	s_delay_alu instid0(VALU_DEP_2) | instskip(SKIP_1) | instid1(TRANS32_DEP_1)
	v_fma_f32 v53, 0x3fb8aa3b, v50, -v52
	v_rndne_f32_e32 v54, v52
	v_ldexp_f32 v49, v49, v51
	s_delay_alu instid0(VALU_DEP_3) | instskip(NEXT) | instid1(VALU_DEP_3)
	v_fmac_f32_e32 v53, 0x32a5705f, v50
	v_sub_f32_e32 v52, v52, v54
	v_cvt_i32_f32_e32 v48, v54
	s_wait_alu 0xfffd
	v_cndmask_b32_e32 v49, 0, v49, vcc_lo
	v_cmp_nlt_f32_e32 vcc_lo, 0x42b17218, v47
	v_dual_add_f32 v52, v52, v53 :: v_dual_sub_f32 v53, v239, v112
	s_delay_alu instid0(VALU_DEP_1) | instskip(NEXT) | instid1(VALU_DEP_1)
	v_exp_f32_e32 v52, v52
	v_mul_f32_e32 v55, 0x3fb8aa3b, v53
	v_cmp_ngt_f32_e64 s4, 0xc2ce8ed0, v53
	s_delay_alu instid0(VALU_DEP_2) | instskip(SKIP_1) | instid1(TRANS32_DEP_1)
	v_fma_f32 v56, 0x3fb8aa3b, v53, -v55
	v_rndne_f32_e32 v57, v55
	v_ldexp_f32 v48, v52, v48
	s_delay_alu instid0(VALU_DEP_3) | instskip(NEXT) | instid1(VALU_DEP_3)
	v_fmac_f32_e32 v56, 0x32a5705f, v53
	v_sub_f32_e32 v55, v55, v57
	v_cvt_i32_f32_e32 v51, v57
	s_wait_alu 0xf1ff
	v_cndmask_b32_e64 v47, 0, v48, s3
	v_cmp_nlt_f32_e64 s3, 0x42b17218, v50
	v_add_f32_e32 v55, v55, v56
	v_cndmask_b32_e64 v50, 0x7f800000, v46, s5
	s_delay_alu instid0(VALU_DEP_2) | instskip(NEXT) | instid1(VALU_DEP_1)
	v_exp_f32_e32 v52, v55
	v_cvt_f16_f32_e32 v43, v50
	s_delay_alu instid0(TRANS32_DEP_1) | instskip(NEXT) | instid1(VALU_DEP_1)
	v_ldexp_f32 v51, v52, v51
	v_cndmask_b32_e64 v48, 0, v51, s4
	v_cmp_nlt_f32_e64 s4, 0x42b17218, v53
	s_wait_alu 0xfffd
	v_cndmask_b32_e32 v53, 0x7f800000, v49, vcc_lo
	s_wait_alu 0xf1ff
	v_cndmask_b32_e64 v51, 0x7f800000, v47, s3
	v_cndmask_b32_e64 v52, 0x7f800000, v48, s4
	s_delay_alu instid0(VALU_DEP_3) | instskip(NEXT) | instid1(VALU_DEP_3)
	v_cvt_f16_f32_e32 v48, v53
	v_cvt_f16_f32_e32 v46, v51
	s_delay_alu instid0(VALU_DEP_3) | instskip(NEXT) | instid1(VALU_DEP_3)
	v_cvt_f16_f32_e32 v47, v52
	v_pack_b32_f16 v48, v43, v48
	v_sub_f32_e32 v43, v229, v112
	s_delay_alu instid0(VALU_DEP_3) | instskip(NEXT) | instid1(VALU_DEP_2)
	v_pack_b32_f16 v49, v46, v47
	v_mul_f32_e32 v46, 0x3fb8aa3b, v43
	v_cmp_ngt_f32_e32 vcc_lo, 0xc2ce8ed0, v43
	s_delay_alu instid0(VALU_DEP_2) | instskip(SKIP_1) | instid1(VALU_DEP_1)
	v_fma_f32 v47, 0x3fb8aa3b, v43, -v46
	v_rndne_f32_e32 v54, v46
	v_dual_fmac_f32 v47, 0x32a5705f, v43 :: v_dual_sub_f32 v46, v46, v54
	v_cvt_i32_f32_e32 v54, v54
	s_delay_alu instid0(VALU_DEP_2) | instskip(SKIP_1) | instid1(VALU_DEP_2)
	v_add_f32_e32 v46, v46, v47
	v_sub_f32_e32 v47, v166, v112
	v_exp_f32_e32 v46, v46
	s_delay_alu instid0(VALU_DEP_1) | instskip(SKIP_1) | instid1(VALU_DEP_2)
	v_mul_f32_e32 v55, 0x3fb8aa3b, v47
	v_cmp_ngt_f32_e64 s3, 0xc2ce8ed0, v47
	v_fma_f32 v56, 0x3fb8aa3b, v47, -v55
	v_rndne_f32_e32 v57, v55
	s_delay_alu instid0(TRANS32_DEP_1) | instskip(NEXT) | instid1(VALU_DEP_2)
	v_ldexp_f32 v46, v46, v54
	v_dual_fmac_f32 v56, 0x32a5705f, v47 :: v_dual_sub_f32 v55, v55, v57
	v_cvt_i32_f32_e32 v54, v57
	s_wait_alu 0xfffd
	s_delay_alu instid0(VALU_DEP_3) | instskip(SKIP_2) | instid1(VALU_DEP_1)
	v_cndmask_b32_e32 v46, 0, v46, vcc_lo
	v_cmp_nlt_f32_e32 vcc_lo, 0x42b17218, v43
	v_add_f32_e32 v55, v55, v56
	v_exp_f32_e32 v55, v55
	s_delay_alu instid0(TRANS32_DEP_1) | instskip(SKIP_3) | instid1(VALU_DEP_2)
	v_ldexp_f32 v54, v55, v54
	s_wait_alu 0xfffd
	v_cndmask_b32_e32 v55, 0x7f800000, v46, vcc_lo
	s_wait_alu 0xf1ff
	v_cndmask_b32_e64 v43, 0, v54, s3
	v_cmp_nlt_f32_e64 s3, 0x42b17218, v47
	s_delay_alu instid0(VALU_DEP_3) | instskip(SKIP_1) | instid1(VALU_DEP_2)
	v_cvt_f16_f32_e32 v46, v55
	s_wait_alu 0xf1ff
	v_cndmask_b32_e64 v54, 0x7f800000, v43, s3
	s_delay_alu instid0(VALU_DEP_1) | instskip(NEXT) | instid1(VALU_DEP_1)
	v_cvt_f16_f32_e32 v43, v54
	v_pack_b32_f16 v47, v43, v46
	v_sub_f32_e32 v43, v108, v112
	s_delay_alu instid0(VALU_DEP_1) | instskip(SKIP_1) | instid1(VALU_DEP_2)
	v_mul_f32_e32 v46, 0x3fb8aa3b, v43
	v_cmp_ngt_f32_e32 vcc_lo, 0xc2ce8ed0, v43
	v_fma_f32 v56, 0x3fb8aa3b, v43, -v46
	v_rndne_f32_e32 v57, v46
	s_delay_alu instid0(VALU_DEP_2) | instskip(NEXT) | instid1(VALU_DEP_2)
	v_fmac_f32_e32 v56, 0x32a5705f, v43
	v_sub_f32_e32 v46, v46, v57
	v_cvt_i32_f32_e32 v57, v57
	s_delay_alu instid0(VALU_DEP_2) | instskip(SKIP_1) | instid1(VALU_DEP_2)
	v_add_f32_e32 v46, v46, v56
	v_sub_f32_e32 v56, v68, v112
	v_exp_f32_e32 v46, v46
	s_delay_alu instid0(VALU_DEP_1) | instskip(SKIP_1) | instid1(VALU_DEP_2)
	v_mul_f32_e32 v58, 0x3fb8aa3b, v56
	v_cmp_ngt_f32_e64 s3, 0xc2ce8ed0, v56
	v_fma_f32 v59, 0x3fb8aa3b, v56, -v58
	v_rndne_f32_e32 v60, v58
	s_delay_alu instid0(TRANS32_DEP_1) | instskip(NEXT) | instid1(VALU_DEP_3)
	v_ldexp_f32 v46, v46, v57
	v_fmac_f32_e32 v59, 0x32a5705f, v56
	s_delay_alu instid0(VALU_DEP_3)
	v_sub_f32_e32 v58, v58, v60
	v_cvt_i32_f32_e32 v57, v60
	s_wait_alu 0xfffd
	v_cndmask_b32_e32 v46, 0, v46, vcc_lo
	v_cmp_nlt_f32_e32 vcc_lo, 0x42b17218, v43
	v_add_f32_e32 v58, v58, v59
	s_delay_alu instid0(VALU_DEP_1) | instskip(NEXT) | instid1(TRANS32_DEP_1)
	v_exp_f32_e32 v58, v58
	v_ldexp_f32 v57, v58, v57
	s_wait_alu 0xf1ff
	s_delay_alu instid0(VALU_DEP_1)
	v_cndmask_b32_e64 v43, 0, v57, s3
	v_cmp_nlt_f32_e64 s3, 0x42b17218, v56
	s_wait_alu 0xfffd
	v_cndmask_b32_e32 v57, 0x7f800000, v46, vcc_lo
	v_add_co_u32 v141, vcc_lo, 0x80, v141
	s_wait_alu 0xfffd
	v_add_co_ci_u32_e64 v142, null, 0, v142, vcc_lo
	s_wait_alu 0xf1ff
	v_cndmask_b32_e64 v56, 0x7f800000, v43, s3
	v_cvt_f16_f32_e32 v46, v57
	v_add_co_u32 v143, vcc_lo, 0x80, v143
	s_wait_alu 0xfffd
	v_add_co_ci_u32_e64 v144, null, 0, v144, vcc_lo
	v_cvt_f16_f32_e32 v43, v56
	v_add_co_u32 v145, vcc_lo, 0x80, v145
	s_wait_alu 0xfffd
	v_add_co_ci_u32_e64 v146, null, 0, v146, vcc_lo
	s_delay_alu instid0(VALU_DEP_3)
	v_pack_b32_f16 v46, v43, v46
	ds_load_u16 v43, v193 offset:8800
	ds_load_u16 v169, v193 offset:8832
	ds_load_u16_d16_hi v67, v193 offset:8752
	s_wait_dscnt 0x2
	ds_load_u16_d16_hi v43, v193 offset:8976
	s_wait_dscnt 0x2
	ds_load_u16_d16_hi v169, v193 offset:9008
	ds_load_u16_d16_hi v107, v193 offset:9040
	ds_load_u16 v68, v193 offset:8928
	ds_load_u16_d16_hi v102, v193 offset:8720
	s_wait_dscnt 0x1
	ds_load_u16_d16_hi v68, v193 offset:9104
	ds_load_u16_d16_hi v170, v193 offset:9360
	v_wmma_f16_16x16x16_f16 v[16:19], v[42:45], v[46:49], v[16:19]
	v_add_f32_e32 v42, v247, v249
	ds_load_u16 v108, v193 offset:9216
	v_add_co_u32 v147, vcc_lo, 0x80, v147
	s_wait_alu 0xfffd
	v_add_co_ci_u32_e64 v148, null, 0, v148, vcc_lo
	v_add_f32_e32 v42, v201, v42
	v_add_co_u32 v149, vcc_lo, 0x80, v149
	s_wait_alu 0xfffd
	v_add_co_ci_u32_e64 v150, null, 0, v150, vcc_lo
	s_delay_alu instid0(VALU_DEP_3) | instskip(SKIP_3) | instid1(VALU_DEP_3)
	v_add_f32_e32 v42, v203, v42
	v_add_co_u32 v151, vcc_lo, 0x80, v151
	s_wait_alu 0xfffd
	v_add_co_ci_u32_e64 v152, null, 0, v152, vcc_lo
	v_add_f32_e32 v42, v197, v42
	v_add_co_u32 v153, vcc_lo, 0x80, v153
	s_wait_alu 0xfffd
	v_add_co_ci_u32_e64 v154, null, 0, v154, vcc_lo
	s_delay_alu instid0(VALU_DEP_3)
	v_add_f32_e32 v42, v199, v42
	v_add_co_u32 v155, vcc_lo, 0x80, v155
	s_wait_dscnt 0x0
	ds_load_u16_d16_hi v108, v193 offset:9392
	ds_load_u16_d16_hi v106, v193 offset:8688
	;; [unrolled: 1-line block ×3, first 2 shown]
	v_add_f32_e32 v42, v180, v42
	s_wait_alu 0xfffd
	v_add_co_ci_u32_e64 v156, null, 0, v156, vcc_lo
	v_add_co_u32 v253, vcc_lo, v253, s68
	s_delay_alu instid0(VALU_DEP_3) | instskip(SKIP_3) | instid1(VALU_DEP_3)
	v_add_f32_e32 v42, v182, v42
	s_wait_alu 0xfffd
	v_add_co_ci_u32_e64 v254, null, s69, v254, vcc_lo
	v_add_co_u32 v208, vcc_lo, v208, s68
	v_add_f32_e32 v42, v97, v42
	s_wait_alu 0xfffd
	v_add_co_ci_u32_e64 v224, null, s69, v224, vcc_lo
	v_add_co_u32 v207, vcc_lo, v207, s68
	s_delay_alu instid0(VALU_DEP_3) | instskip(SKIP_3) | instid1(VALU_DEP_3)
	v_add_f32_e32 v42, v98, v42
	s_wait_alu 0xfffd
	v_add_co_ci_u32_e64 v222, null, s69, v222, vcc_lo
	v_add_co_u32 v167, vcc_lo, v167, s68
	;; [unrolled: 9-line block ×5, first 2 shown]
	v_add_f32_e32 v42, v79, v42
	v_wmma_f16_16x16x16_f16 v[8:11], v[102:105], v[46:49], v[8:11]
	s_wait_dscnt 0x1
	v_wmma_f16_16x16x16_f16 v[12:15], v[106:109], v[46:49], v[12:15]
	s_wait_dscnt 0x0
	v_wmma_f16_16x16x16_f16 v[0:3], v[168:171], v[46:49], v[0:3]
	v_wmma_f16_16x16x16_f16 v[4:7], v[67:70], v[46:49], v[4:7]
	v_add_f32_e32 v42, v80, v42
	s_wait_alu 0xfffd
	v_add_co_ci_u32_e64 v138, null, s69, v138, vcc_lo
	s_wait_loadcnt 0x0
	s_barrier_signal -1
	v_add_f32_e32 v42, v77, v42
	s_barrier_wait -1
	global_inv scope:SCOPE_SE
	v_add_f32_e32 v42, v78, v42
	s_delay_alu instid0(VALU_DEP_1) | instskip(NEXT) | instid1(VALU_DEP_1)
	v_add_f32_e32 v40, v40, v42
	v_add_f32_e32 v40, v76, v40
	s_delay_alu instid0(VALU_DEP_1) | instskip(NEXT) | instid1(VALU_DEP_1)
	v_add_f32_e32 v40, v41, v40
	v_dual_mov_b32 v41, v209 :: v_dual_add_f32 v40, v75, v40
	s_delay_alu instid0(VALU_DEP_1) | instskip(NEXT) | instid1(VALU_DEP_1)
	v_add_f32_e32 v40, v56, v40
	v_add_f32_e32 v40, v57, v40
	s_delay_alu instid0(VALU_DEP_1) | instskip(NEXT) | instid1(VALU_DEP_1)
	v_add_f32_e32 v40, v54, v40
	v_add_f32_e32 v40, v55, v40
	;; [unrolled: 3-line block ×4, first 2 shown]
	s_delay_alu instid0(VALU_DEP_1)
	v_fmac_f32_e32 v209, v41, v205
	s_cbranch_scc1 .LBB9_286
; %bb.287:                              ;   in Loop: Header=BB9_9 Depth=1
	v_mad_co_i64_i32 v[54:55], null, v248, s38, 0
	v_mad_co_i64_i32 v[44:45], null, v246, s38, 0
	s_clause 0x1
	scratch_load_b32 v248, off, off offset:184
	scratch_load_b64 v[246:247], off, off offset:176
	v_mad_co_i64_i32 v[52:53], null, v223, s38, 0
	v_mad_co_i64_i32 v[40:41], null, v250, s38, 0
	;; [unrolled: 1-line block ×4, first 2 shown]
	s_wait_loadcnt 0x0
	s_clause 0x1f
	scratch_load_b32 v247, off, off offset:188
	scratch_load_b32 v205, off, off offset:192
	;; [unrolled: 1-line block ×8, first 2 shown]
	scratch_load_b64 v[56:57], off, off offset:220
	scratch_load_b32 v238, off, off offset:228
	scratch_load_b32 v239, off, off offset:232
	;; [unrolled: 1-line block ×23, first 2 shown]
	s_clause 0x4
	scratch_load_b32 v201, off, off offset:148
	scratch_load_b32 v202, off, off offset:152
	;; [unrolled: 1-line block ×5, first 2 shown]
	v_mad_co_i64_i32 v[42:43], null, v244, s38, 0
	v_mad_co_i64_i32 v[46:47], null, v242, s38, 0
	s_lshl_b32 s56, s49, 6
	s_delay_alu instid0(SALU_CYCLE_1)
	s_mov_b64 s[4:5], s[56:57]
	v_add_nc_u32_e32 v242, 32, v248
	s_wait_loadcnt 0x1c
	v_dual_mov_b32 v229, v56 :: v_dual_add_nc_u32 v244, 48, v248
	s_branch .LBB9_289
.LBB9_288:                              ;   in Loop: Header=BB9_9 Depth=1
	v_dual_mov_b32 v7, 0 :: v_dual_mov_b32 v112, 0xfeffffff
	s_mov_b64 s[4:5], 0
	s_delay_alu instid0(VALU_DEP_1)
	v_dual_mov_b32 v209, 0 :: v_dual_mov_b32 v0, v7
	v_dual_mov_b32 v6, v7 :: v_dual_mov_b32 v5, v7
	;; [unrolled: 1-line block ×10, first 2 shown]
.LBB9_289:                              ;   in Loop: Header=BB9_9 Depth=1
	s_wait_loadcnt 0x9
	v_lshlrev_b32_e32 v56, 1, v196
	s_wait_alu 0xfffe
	s_lshl_b64 s[82:83], s[4:5], 1
	v_lshlrev_b64_e32 v[52:53], 1, v[52:53]
	s_wait_alu 0xfffe
	s_add_nc_u64 s[80:81], s[80:81], s[82:83]
	v_lshlrev_b64_e32 v[42:43], 1, v[42:43]
	s_wait_alu 0xfffe
	v_add_co_u32 v58, s3, s80, v56
	s_wait_alu 0xf1ff
	v_add_co_ci_u32_e64 v59, null, s81, 0, s3
	v_lshlrev_b64_e32 v[40:41], 1, v[40:41]
	s_delay_alu instid0(VALU_DEP_3) | instskip(SKIP_1) | instid1(VALU_DEP_3)
	v_add_co_u32 v52, vcc_lo, v58, v52
	s_wait_alu 0xfffd
	v_add_co_ci_u32_e64 v53, null, v59, v53, vcc_lo
	v_add_co_u32 v56, vcc_lo, v58, v42
	s_wait_alu 0xfffd
	v_add_co_ci_u32_e64 v57, null, v59, v43, vcc_lo
	v_lshlrev_b64_e32 v[42:43], 1, v[54:55]
	v_lshlrev_b64_e32 v[44:45], 1, v[44:45]
	v_add_co_u32 v40, vcc_lo, v58, v40
	v_lshlrev_b64_e32 v[46:47], 1, v[46:47]
	s_wait_alu 0xfffd
	v_add_co_ci_u32_e64 v41, null, v59, v41, vcc_lo
	v_add_co_u32 v42, vcc_lo, v58, v42
	v_lshlrev_b64_e32 v[48:49], 1, v[48:49]
	s_wait_alu 0xfffd
	v_add_co_ci_u32_e64 v43, null, v59, v43, vcc_lo
	;; [unrolled: 4-line block ×3, first 2 shown]
	v_add_co_u32 v46, vcc_lo, v58, v46
	s_wait_alu 0xfffd
	v_add_co_ci_u32_e64 v47, null, v59, v47, vcc_lo
	v_add_co_u32 v48, vcc_lo, v58, v48
	s_wait_alu 0xfffd
	v_add_co_ci_u32_e64 v49, null, v59, v49, vcc_lo
	;; [unrolled: 3-line block ×3, first 2 shown]
	s_clause 0x7
	global_load_b32 v52, v[52:53], off
	global_load_b32 v53, v[56:57], off
	;; [unrolled: 1-line block ×8, first 2 shown]
	v_add_nc_u32_e32 v46, v219, v231
	s_mul_u64 s[80:81], s[4:5], s[26:27]
	s_mul_u64 s[4:5], s[4:5], s[34:35]
	s_wait_alu 0xfffe
	s_lshl_b64 s[80:81], s[80:81], 2
	s_lshl_b64 s[4:5], s[4:5], 2
	v_add_nc_u32_e32 v47, 0x2c00, v46
	s_wait_alu 0xfffe
	s_add_nc_u64 s[78:79], s[78:79], s[80:81]
	s_add_nc_u64 s[4:5], s[76:77], s[4:5]
	s_cmp_eq_u64 s[74:75], 0
	v_add_nc_u32_e32 v88, v164, v161
	v_add_nc_u32_e32 v108, v164, v162
	s_wait_loadcnt 0x6
	ds_store_2addr_b32 v47, v52, v53 offset1:144
	v_add_nc_u32_e32 v47, 0x3000, v46
	s_wait_loadcnt 0x4
	ds_store_2addr_b32 v47, v40, v41 offset0:32 offset1:176
	v_add_nc_u32_e32 v40, 0x3400, v46
	s_wait_loadcnt 0x2
	ds_store_2addr_b32 v40, v42, v43 offset0:64 offset1:208
	;; [unrolled: 3-line block ×3, first 2 shown]
	s_wait_alu 0xfffe
	v_add_co_u32 v40, vcc_lo, s78, v116
	s_wait_alu 0xfffd
	v_add_co_ci_u32_e64 v41, null, s79, v117, vcc_lo
	s_delay_alu instid0(VALU_DEP_2) | instskip(SKIP_1) | instid1(VALU_DEP_2)
	v_add_co_u32 v40, vcc_lo, v40, v220
	s_wait_alu 0xfffd
	v_add_co_ci_u32_e64 v41, null, 0, v41, vcc_lo
	v_add_co_u32 v42, vcc_lo, s78, v126
	s_wait_alu 0xfffd
	v_add_co_ci_u32_e64 v43, null, s79, v127, vcc_lo
	s_delay_alu instid0(VALU_DEP_2) | instskip(SKIP_1) | instid1(VALU_DEP_2)
	v_add_co_u32 v44, vcc_lo, v42, v221
	s_wait_alu 0xfffd
	v_add_co_ci_u32_e64 v45, null, 0, v43, vcc_lo
	s_clause 0x1
	global_load_b128 v[40:43], v[40:41], off offset:128
	global_load_b128 v[44:47], v[44:45], off
	s_wait_loadcnt 0x1
	ds_store_b128 v183, v[40:43]
	v_add_co_u32 v40, vcc_lo, s78, v128
	s_wait_alu 0xfffd
	v_add_co_ci_u32_e64 v41, null, s79, v129, vcc_lo
	s_delay_alu instid0(VALU_DEP_2) | instskip(SKIP_1) | instid1(VALU_DEP_2)
	v_add_co_u32 v40, vcc_lo, v40, v221
	s_wait_alu 0xfffd
	v_add_co_ci_u32_e64 v41, null, 0, v41, vcc_lo
	v_add_co_u32 v42, vcc_lo, s78, v130
	s_wait_alu 0xfffd
	v_add_co_ci_u32_e64 v43, null, s79, v131, vcc_lo
	s_delay_alu instid0(VALU_DEP_2) | instskip(SKIP_1) | instid1(VALU_DEP_2)
	v_add_co_u32 v48, vcc_lo, v42, v221
	s_wait_alu 0xfffd
	v_add_co_ci_u32_e64 v49, null, 0, v43, vcc_lo
	s_clause 0x1
	global_load_b128 v[40:43], v[40:41], off
	global_load_b128 v[48:51], v[48:49], off
	s_wait_loadcnt 0x2
	ds_store_b128 v184, v[44:47]
	s_wait_loadcnt 0x1
	ds_store_b128 v185, v[40:43]
	v_add_co_u32 v40, vcc_lo, s78, v132
	s_wait_alu 0xfffd
	v_add_co_ci_u32_e64 v41, null, s79, v133, vcc_lo
	s_delay_alu instid0(VALU_DEP_2) | instskip(SKIP_1) | instid1(VALU_DEP_2)
	v_add_co_u32 v40, vcc_lo, v40, v221
	s_wait_alu 0xfffd
	v_add_co_ci_u32_e64 v41, null, 0, v41, vcc_lo
	v_cmp_lt_i32_e32 vcc_lo, v113, v181
	global_load_b128 v[40:43], v[40:41], off
	s_wait_loadcnt 0x1
	ds_store_b128 v186, v[48:51]
	s_wait_loadcnt 0x0
	ds_store_b128 v189, v[40:43]
	s_wait_dscnt 0x0
	s_barrier_signal -1
	s_barrier_wait -1
	global_inv scope:SCOPE_SE
	ds_load_b128 v[48:51], v190
	ds_load_b128 v[52:55], v190 offset:32
	ds_load_b128 v[56:59], v190 offset:2816
	;; [unrolled: 1-line block ×9, first 2 shown]
	s_wait_dscnt 0x9
	v_wmma_f32_16x16x16_f16 v[40:47], v[48:51], v[36:39], 0
	s_wait_dscnt 0x8
	s_delay_alu instid0(VALU_DEP_1) | instskip(SKIP_3) | instid1(VALU_DEP_1)
	v_wmma_f32_16x16x16_f16 v[40:47], v[52:55], v[32:35], v[40:47]
	s_wait_dscnt 0x7
	v_wmma_f32_16x16x16_f16 v[48:55], v[56:59], v[36:39], 0
	s_wait_dscnt 0x6
	;; [unrolled: 2-line block ×3, first 2 shown]
	v_wmma_f32_16x16x16_f16 v[56:63], v[64:67], v[36:39], 0
	s_delay_alu instid0(VALU_DEP_2) | instskip(SKIP_1) | instid1(VALU_DEP_2)
	v_wmma_f32_16x16x16_f16 v[48:55], v[76:79], v[28:31], v[48:55]
	s_wait_dscnt 0x2
	v_wmma_f32_16x16x16_f16 v[56:63], v[68:71], v[32:35], v[56:63]
	s_wait_dscnt 0x1
	v_wmma_f32_16x16x16_f16 v[64:71], v[80:83], v[36:39], 0
	ds_load_b128 v[36:39], v190 offset:8480
	ds_load_b128 v[80:83], v190 offset:8512
	s_wait_dscnt 0x1
	v_wmma_f32_16x16x16_f16 v[64:71], v[36:39], v[32:35], v[64:71]
	ds_load_b128 v[32:35], v190 offset:64
	ds_load_b128 v[36:39], v190 offset:96
	s_wait_dscnt 0x2
	v_wmma_f32_16x16x16_f16 v[64:71], v[80:83], v[28:31], v[64:71]
	s_wait_dscnt 0x1
	v_wmma_f32_16x16x16_f16 v[40:47], v[32:35], v[28:31], v[40:47]
	ds_load_b128 v[32:35], v190 offset:5696
	ds_load_b128 v[76:79], v190 offset:5728
	s_wait_dscnt 0x2
	v_wmma_f32_16x16x16_f16 v[40:47], v[36:39], v[24:27], v[40:47]
	s_delay_alu instid0(VALU_DEP_1)
	v_wmma_f32_16x16x16_f16 v[40:47], v[72:75], v[20:23], v[40:47]
	s_wait_dscnt 0x1
	v_wmma_f32_16x16x16_f16 v[56:63], v[32:35], v[28:31], v[56:63]
	ds_load_b128 v[28:31], v190 offset:2912
	ds_load_b128 v[32:35], v190 offset:2944
	s_wait_dscnt 0x2
	v_wmma_f32_16x16x16_f16 v[56:63], v[76:79], v[24:27], v[56:63]
	s_delay_alu instid0(VALU_DEP_1)
	v_wmma_f32_16x16x16_f16 v[56:63], v[84:87], v[20:23], v[56:63]
	s_wait_dscnt 0x1
	v_wmma_f32_16x16x16_f16 v[48:55], v[28:31], v[24:27], v[48:55]
	ds_load_b128 v[28:31], v190 offset:8544
	ds_load_b128 v[36:39], v190 offset:8576
	s_wait_loadcnt_dscnt 0x0
	s_barrier_signal -1
	s_barrier_wait -1
	v_wmma_f32_16x16x16_f16 v[48:55], v[32:35], v[20:23], v[48:55]
	global_inv scope:SCOPE_SE
	v_add_nc_u32_e32 v35, 0x2c00, v235
	v_wmma_f32_16x16x16_f16 v[64:71], v[28:31], v[24:27], v[64:71]
	s_delay_alu instid0(VALU_DEP_1)
	v_wmma_f32_16x16x16_f16 v[64:71], v[36:39], v[20:23], v[64:71]
	v_add_nc_u32_e32 v20, 0x2c00, v191
	v_add_nc_u32_e32 v22, 0x2c00, v232
	;; [unrolled: 1-line block ×3, first 2 shown]
	ds_load_2addr_b32 v[20:21], v20 offset1:1
	ds_load_2addr_b32 v[26:27], v22 offset1:1
	ds_load_b32 v22, v192 offset:11264
	ds_load_b32 v24, v191 offset:11272
	s_wait_dscnt 0x3
	v_cvt_f32_f16_e32 v23, v20
	v_lshrrev_b32_e32 v20, 16, v20
	s_wait_dscnt 0x0
	v_cvt_f32_f16_e32 v28, v24
	v_lshrrev_b32_e32 v24, 16, v24
	v_lshrrev_b32_e32 v29, 16, v22
	v_cvt_f32_f16_e32 v22, v22
	v_cvt_f32_f16_e32 v30, v20
	v_add_f32_e32 v33, v44, v28
	v_cvt_f32_f16_e32 v32, v24
	v_cvt_f32_f16_e32 v34, v29
	;; [unrolled: 1-line block ×3, first 2 shown]
	v_add_f32_e32 v24, v41, v30
	v_lshrrev_b32_e32 v30, 16, v26
	v_add_nc_u32_e32 v26, 0x2c00, v233
	v_cvt_f32_f16_e32 v25, v21
	v_lshrrev_b32_e32 v21, 16, v21
	v_dual_add_f32 v20, v40, v23 :: v_dual_add_f32 v23, v46, v22
	v_add_f32_e32 v22, v47, v34
	v_cvt_f32_f16_e32 v37, v27
	v_lshrrev_b32_e32 v34, 16, v27
	ds_load_2addr_b32 v[26:27], v26 offset1:1
	v_cvt_f32_f16_e32 v31, v21
	v_add_f32_e32 v21, v42, v25
	v_cvt_f32_f16_e32 v40, v30
	v_add_f32_e32 v29, v45, v32
	;; [unrolled: 2-line block ×3, first 2 shown]
	s_delay_alu instid0(VALU_DEP_4)
	v_dual_add_f32 v34, v49, v40 :: v_dual_add_nc_u32 v31, 0x2c00, v234
	ds_load_2addr_b32 v[31:32], v31 offset1:1
	ds_load_2addr_b32 v[35:36], v35 offset1:1
	;; [unrolled: 1-line block ×3, first 2 shown]
	v_add_f32_e32 v30, v48, v28
	s_wait_dscnt 0x3
	v_cvt_f32_f16_e32 v39, v26
	v_lshrrev_b32_e32 v26, 16, v26
	v_lshrrev_b32_e32 v38, 16, v27
	v_cvt_f32_f16_e32 v27, v27
	s_delay_alu instid0(VALU_DEP_4) | instskip(NEXT) | instid1(VALU_DEP_4)
	v_add_f32_e32 v52, v52, v39
	v_cvt_f32_f16_e32 v26, v26
	s_delay_alu instid0(VALU_DEP_4) | instskip(NEXT) | instid1(VALU_DEP_4)
	v_cvt_f32_f16_e32 v42, v38
	v_add_f32_e32 v43, v54, v27
	s_wait_dscnt 0x2
	v_lshrrev_b32_e32 v27, 16, v31
	v_add_f32_e32 v44, v53, v26
	v_cvt_f32_f16_e32 v26, v31
	v_cvt_f32_f16_e32 v28, v32
	v_lshrrev_b32_e32 v31, 16, v32
	s_wait_dscnt 0x1
	v_cvt_f32_f16_e32 v32, v35
	v_add_f32_e32 v38, v50, v37
	v_lshrrev_b32_e32 v35, 16, v35
	v_lshrrev_b32_e32 v37, 16, v36
	s_wait_dscnt 0x0
	v_cvt_f32_f16_e32 v47, v46
	v_add_f32_e32 v40, v51, v41
	v_cvt_f32_f16_e32 v41, v36
	v_cvt_f32_f16_e32 v35, v35
	;; [unrolled: 1-line block ×3, first 2 shown]
	v_add_f32_e32 v39, v60, v32
	v_lshrrev_b32_e32 v48, 16, v46
	v_cvt_f32_f16_e32 v27, v27
	v_dual_add_f32 v36, v61, v35 :: v_dual_add_f32 v35, v62, v41
	v_add_f32_e32 v32, v63, v37
	v_cvt_f32_f16_e32 v37, v45
	v_lshrrev_b32_e32 v41, 16, v45
	v_add_nc_u32_e32 v45, 0x2c00, v237
	v_add_f32_e32 v27, v57, v27
	v_cvt_f32_f16_e32 v48, v48
	v_add_f32_e32 v90, v64, v37
	v_cvt_f32_f16_e32 v41, v41
	ds_load_2addr_b32 v[45:46], v45 offset1:1
	v_dual_add_f32 v42, v55, v42 :: v_dual_add_f32 v37, 0x40051340, v20
	v_dual_add_f32 v94, v67, v48 :: v_dual_add_f32 v91, v65, v41
	v_add_f32_e32 v41, 0x40051340, v24
	v_add_f32_e32 v93, v66, v47
	v_cvt_f32_f16_e32 v31, v31
	s_delay_alu instid0(VALU_DEP_3) | instskip(SKIP_1) | instid1(VALU_DEP_3)
	v_max3_num_f32 v37, v112, v37, v41
	v_add_f32_e32 v41, 0x40051340, v21
	v_add_f32_e32 v31, v59, v31
	s_wait_dscnt 0x0
	v_cvt_f32_f16_e32 v49, v45
	v_lshrrev_b32_e32 v45, 16, v45
	v_lshrrev_b32_e32 v50, 16, v46
	v_cvt_f32_f16_e32 v46, v46
	s_delay_alu instid0(VALU_DEP_4) | instskip(NEXT) | instid1(VALU_DEP_4)
	v_add_f32_e32 v98, v68, v49
	v_cvt_f32_f16_e32 v45, v45
	v_add_f32_e32 v26, v56, v26
	s_delay_alu instid0(VALU_DEP_4) | instskip(SKIP_1) | instid1(VALU_DEP_4)
	v_add_f32_e32 v96, v70, v46
	v_cvt_f32_f16_e32 v50, v50
	v_dual_add_f32 v28, v58, v28 :: v_dual_add_f32 v97, v69, v45
	v_add_f32_e32 v45, 0x40051340, v25
	s_delay_alu instid0(VALU_DEP_3) | instskip(NEXT) | instid1(VALU_DEP_2)
	v_add_f32_e32 v95, v71, v50
	v_max3_num_f32 v37, v37, v41, v45
	v_add_f32_e32 v41, 0x40051340, v33
	v_add_f32_e32 v45, 0x40051340, v29
	s_delay_alu instid0(VALU_DEP_1) | instskip(SKIP_2) | instid1(VALU_DEP_1)
	v_max3_num_f32 v37, v37, v41, v45
	v_add_f32_e32 v41, 0x40051340, v23
	v_add_f32_e32 v45, 0x40051340, v22
	v_max3_num_f32 v37, v37, v41, v45
	v_add_f32_e32 v41, 0x40051340, v30
	v_add_f32_e32 v45, 0x40051340, v34
	s_delay_alu instid0(VALU_DEP_1) | instskip(SKIP_2) | instid1(VALU_DEP_1)
	v_max3_num_f32 v37, v37, v41, v45
	v_add_f32_e32 v41, 0x40051340, v38
	;; [unrolled: 7-line block ×7, first 2 shown]
	v_add_f32_e32 v45, 0x40051340, v95
	v_max3_num_f32 v37, v37, v41, v45
	s_wait_alu 0xfffd
	v_cndmask_b32_e32 v41, v225, v113, vcc_lo
	s_delay_alu instid0(VALU_DEP_1) | instskip(SKIP_3) | instid1(VALU_DEP_1)
	v_lshlrev_b32_e32 v92, 2, v41
	ds_bpermute_b32 v41, v92, v37
	s_wait_dscnt 0x0
	v_max_num_f32_e32 v41, v41, v41
	v_max_num_f32_e32 v89, v37, v41
	s_delay_alu instid0(VALU_DEP_1) | instskip(SKIP_4) | instid1(VALU_DEP_4)
	v_sub_f32_e32 v22, v22, v89
	v_sub_f32_e32 v37, v112, v89
	;; [unrolled: 1-line block ×5, first 2 shown]
	v_mul_f32_e32 v41, 0x3fb8aa3b, v37
	v_cmp_ngt_f32_e32 vcc_lo, 0xc2ce8ed0, v37
	s_delay_alu instid0(VALU_DEP_3) | instskip(NEXT) | instid1(VALU_DEP_3)
	v_cmp_ngt_f32_e64 s3, 0xc2ce8ed0, v23
	v_fma_f32 v45, 0x3fb8aa3b, v37, -v41
	v_rndne_f32_e32 v46, v41
	s_delay_alu instid0(VALU_DEP_2) | instskip(NEXT) | instid1(VALU_DEP_2)
	v_fmac_f32_e32 v45, 0x32a5705f, v37
	v_sub_f32_e32 v41, v41, v46
	s_delay_alu instid0(VALU_DEP_1) | instskip(SKIP_1) | instid1(VALU_DEP_2)
	v_add_f32_e32 v41, v41, v45
	v_cvt_i32_f32_e32 v45, v46
	v_exp_f32_e32 v41, v41
	s_delay_alu instid0(TRANS32_DEP_1) | instskip(SKIP_1) | instid1(VALU_DEP_1)
	v_ldexp_f32 v41, v41, v45
	s_wait_alu 0xfffd
	v_cndmask_b32_e32 v41, 0, v41, vcc_lo
	v_cmp_nlt_f32_e32 vcc_lo, 0x42b17218, v37
	s_wait_alu 0xfffd
	s_delay_alu instid0(VALU_DEP_2) | instskip(SKIP_2) | instid1(VALU_DEP_2)
	v_cndmask_b32_e32 v41, 0x7f800000, v41, vcc_lo
	v_cmp_le_f32_e32 vcc_lo, 0xc1a00000, v37
	s_wait_alu 0xfffd
	v_cndmask_b32_e32 v99, 0, v41, vcc_lo
	s_delay_alu instid0(VALU_DEP_1) | instskip(NEXT) | instid1(VALU_DEP_1)
	v_cvt_f16_f32_e32 v37, v99
	v_and_b32_e32 v37, 0xffff, v37
	s_delay_alu instid0(VALU_DEP_1) | instskip(NEXT) | instid1(VALU_DEP_1)
	v_mul_u32_u24_e32 v37, 0x10001, v37
	v_pk_mul_f16 v16, v16, v37
	v_pk_mul_f16 v17, v17, v37
	;; [unrolled: 1-line block ×20, first 2 shown]
	v_add_co_u32 v37, vcc_lo, s4, v114
	s_wait_alu 0xfffd
	v_add_co_ci_u32_e64 v41, null, s5, v115, vcc_lo
	s_delay_alu instid0(VALU_DEP_2) | instskip(SKIP_1) | instid1(VALU_DEP_2)
	v_add_co_u32 v45, vcc_lo, v37, v220
	s_wait_alu 0xfffd
	v_add_co_ci_u32_e64 v46, null, 0, v41, vcc_lo
	v_add_co_u32 v37, vcc_lo, s4, v118
	s_wait_alu 0xfffd
	v_add_co_ci_u32_e64 v41, null, s5, v119, vcc_lo
	s_delay_alu instid0(VALU_DEP_2) | instskip(SKIP_1) | instid1(VALU_DEP_2)
	v_add_co_u32 v49, vcc_lo, v37, v221
	s_wait_alu 0xfffd
	v_add_co_ci_u32_e64 v50, null, 0, v41, vcc_lo
	s_clause 0x1
	global_load_b128 v[45:48], v[45:46], off offset:128
	global_load_b128 v[53:56], v[49:50], off
	v_add_co_u32 v37, vcc_lo, s4, v120
	s_wait_alu 0xfffd
	v_add_co_ci_u32_e64 v41, null, s5, v121, vcc_lo
	s_wait_loadcnt 0x1
	ds_store_b128 v183, v[45:48]
	v_add_co_u32 v45, vcc_lo, v37, v221
	s_wait_alu 0xfffd
	v_add_co_ci_u32_e64 v46, null, 0, v41, vcc_lo
	v_add_co_u32 v37, vcc_lo, s4, v122
	s_wait_alu 0xfffd
	v_add_co_ci_u32_e64 v41, null, s5, v123, vcc_lo
	s_delay_alu instid0(VALU_DEP_2) | instskip(SKIP_1) | instid1(VALU_DEP_2)
	v_add_co_u32 v49, vcc_lo, v37, v221
	s_wait_alu 0xfffd
	v_add_co_ci_u32_e64 v50, null, 0, v41, vcc_lo
	s_clause 0x1
	global_load_b128 v[45:48], v[45:46], off
	global_load_b128 v[57:60], v[49:50], off
	v_add_co_u32 v37, vcc_lo, s4, v124
	s_wait_alu 0xfffd
	v_add_co_ci_u32_e64 v41, null, s5, v125, vcc_lo
	v_cmp_ngt_f32_e64 s4, 0xc2ce8ed0, v22
	v_cmp_ngt_f32_e64 s5, 0xc2ce8ed0, v33
	s_wait_loadcnt 0x2
	ds_store_b128 v184, v[53:56]
	s_wait_loadcnt 0x1
	ds_store_b128 v185, v[45:48]
	v_add_co_u32 v45, vcc_lo, v37, v221
	s_wait_alu 0xfffd
	v_add_co_ci_u32_e64 v46, null, 0, v41, vcc_lo
	v_mul_f32_e32 v37, 0x3fb8aa3b, v33
	v_cmp_ngt_f32_e32 vcc_lo, 0xc2ce8ed0, v29
	global_load_b128 v[45:48], v[45:46], off
	s_wait_loadcnt 0x1
	ds_store_b128 v186, v[57:60]
	s_wait_loadcnt 0x0
	ds_store_b128 v189, v[45:48]
	v_fma_f32 v41, 0x3fb8aa3b, v33, -v37
	v_rndne_f32_e32 v45, v37
	s_wait_dscnt 0x0
	s_barrier_signal -1
	s_barrier_wait -1
	v_fmac_f32_e32 v41, 0x32a5705f, v33
	v_sub_f32_e32 v37, v37, v45
	v_cvt_i32_f32_e32 v45, v45
	global_inv scope:SCOPE_SE
	v_add_f32_e32 v37, v37, v41
	v_mul_f32_e32 v41, 0x3fb8aa3b, v29
	s_delay_alu instid0(VALU_DEP_2) | instskip(NEXT) | instid1(VALU_DEP_1)
	v_exp_f32_e32 v37, v37
	v_fma_f32 v46, 0x3fb8aa3b, v29, -v41
	v_rndne_f32_e32 v47, v41
	s_delay_alu instid0(VALU_DEP_1) | instskip(NEXT) | instid1(TRANS32_DEP_1)
	v_dual_fmac_f32 v46, 0x32a5705f, v29 :: v_dual_sub_f32 v41, v41, v47
	v_ldexp_f32 v37, v37, v45
	v_cvt_i32_f32_e32 v45, v47
	s_delay_alu instid0(VALU_DEP_3) | instskip(NEXT) | instid1(VALU_DEP_1)
	v_dual_add_f32 v41, v41, v46 :: v_dual_mul_f32 v46, 0x3fb8aa3b, v23
	v_exp_f32_e32 v41, v41
	s_delay_alu instid0(VALU_DEP_1) | instskip(SKIP_1) | instid1(VALU_DEP_2)
	v_fma_f32 v48, 0x3fb8aa3b, v23, -v46
	v_rndne_f32_e32 v49, v46
	v_fmac_f32_e32 v48, 0x32a5705f, v23
	s_delay_alu instid0(VALU_DEP_2) | instskip(NEXT) | instid1(TRANS32_DEP_1)
	v_sub_f32_e32 v46, v46, v49
	v_ldexp_f32 v41, v41, v45
	s_delay_alu instid0(VALU_DEP_2) | instskip(SKIP_2) | instid1(VALU_DEP_3)
	v_add_f32_e32 v46, v46, v48
	v_dual_mul_f32 v48, 0x3fb8aa3b, v22 :: v_dual_sub_f32 v25, v25, v89
	s_wait_alu 0xfffd
	v_cndmask_b32_e32 v41, 0, v41, vcc_lo
	v_cmp_nlt_f32_e32 vcc_lo, 0x42b17218, v29
	v_exp_f32_e32 v45, v46
	v_fma_f32 v50, 0x3fb8aa3b, v22, -v48
	v_rndne_f32_e32 v51, v48
	v_cvt_i32_f32_e32 v46, v49
	s_wait_alu 0xfffd
	v_cndmask_b32_e32 v103, 0x7f800000, v41, vcc_lo
	v_dual_sub_f32 v21, v21, v89 :: v_dual_fmac_f32 v50, 0x32a5705f, v22
	v_sub_f32_e32 v48, v48, v51
	v_cvt_i32_f32_e32 v47, v51
	v_sub_f32_e32 v32, v32, v89
	v_ldexp_f32 v45, v45, v46
	v_cmp_ngt_f32_e32 vcc_lo, 0xc2ce8ed0, v25
	v_add_f32_e32 v48, v48, v50
	v_sub_f32_e32 v24, v24, v89
	v_sub_f32_e32 v20, v20, v89
	s_wait_alu 0xf1ff
	v_cndmask_b32_e64 v29, 0, v45, s3
	v_cmp_nlt_f32_e64 s3, 0x42b17218, v23
	v_exp_f32_e32 v46, v48
	v_sub_f32_e32 v28, v28, v89
	v_sub_f32_e32 v43, v43, v89
	v_sub_f32_e32 v42, v42, v89
	s_wait_alu 0xf1ff
	v_cndmask_b32_e64 v100, 0x7f800000, v29, s3
	v_cvt_f16_f32_e32 v29, v103
	v_cmp_ngt_f32_e64 s3, 0xc2ce8ed0, v21
	v_sub_f32_e32 v38, v38, v89
	v_sub_f32_e32 v30, v30, v89
	;; [unrolled: 1-line block ×3, first 2 shown]
	v_ldexp_f32 v46, v46, v47
	s_delay_alu instid0(VALU_DEP_1)
	v_cndmask_b32_e64 v23, 0, v46, s4
	v_cmp_nlt_f32_e64 s4, 0x42b17218, v22
	v_cndmask_b32_e64 v22, 0, v37, s5
	v_cmp_nlt_f32_e64 s5, 0x42b17218, v33
	ds_load_u16 v46, v193 offset:128
	ds_load_u16 v49, v88 offset:128
	;; [unrolled: 1-line block ×7, first 2 shown]
	s_wait_alu 0xf1ff
	v_cndmask_b32_e64 v101, 0x7f800000, v23, s4
	v_cvt_f16_f32_e32 v23, v100
	v_cndmask_b32_e64 v102, 0x7f800000, v22, s5
	v_cmp_ngt_f32_e64 s4, 0xc2ce8ed0, v42
	s_delay_alu instid0(VALU_DEP_4) | instskip(NEXT) | instid1(VALU_DEP_3)
	v_cvt_f16_f32_e32 v33, v101
	v_cvt_f16_f32_e32 v22, v102
	s_delay_alu instid0(VALU_DEP_2) | instskip(NEXT) | instid1(VALU_DEP_2)
	v_pack_b32_f16 v23, v23, v33
	v_pack_b32_f16 v22, v22, v29
	v_mul_f32_e32 v29, 0x3fb8aa3b, v25
	s_wait_dscnt 0x6
	ds_load_u16_d16_hi v46, v193 offset:304
	ds_load_u16 v57, v88 offset:2816
	ds_load_u16 v53, v88 offset:2848
	;; [unrolled: 1-line block ×3, first 2 shown]
	s_wait_dscnt 0x9
	ds_load_u16_d16_hi v49, v108 offset:128
	s_wait_dscnt 0x3
	ds_load_u16_d16_hi v57, v108 offset:2816
	s_wait_dscnt 0x3
	ds_load_u16_d16_hi v53, v108 offset:2848
	ds_load_u16 v80, v193 offset:768
	ds_load_u16 v72, v193 offset:800
	;; [unrolled: 1-line block ×4, first 2 shown]
	v_fma_f32 v33, 0x3fb8aa3b, v25, -v29
	v_rndne_f32_e32 v37, v29
	s_delay_alu instid0(VALU_DEP_2) | instskip(NEXT) | instid1(VALU_DEP_2)
	v_fmac_f32_e32 v33, 0x32a5705f, v25
	v_sub_f32_e32 v29, v29, v37
	v_cvt_i32_f32_e32 v37, v37
	s_delay_alu instid0(VALU_DEP_2) | instskip(SKIP_1) | instid1(VALU_DEP_2)
	v_add_f32_e32 v29, v29, v33
	v_mul_f32_e32 v33, 0x3fb8aa3b, v21
	v_exp_f32_e32 v29, v29
	s_delay_alu instid0(VALU_DEP_1) | instskip(SKIP_1) | instid1(VALU_DEP_2)
	v_fma_f32 v41, 0x3fb8aa3b, v21, -v33
	v_rndne_f32_e32 v45, v33
	v_fmac_f32_e32 v41, 0x32a5705f, v21
	s_delay_alu instid0(VALU_DEP_2) | instskip(NEXT) | instid1(TRANS32_DEP_1)
	v_sub_f32_e32 v33, v33, v45
	v_ldexp_f32 v29, v29, v37
	v_cvt_i32_f32_e32 v37, v45
	s_delay_alu instid0(VALU_DEP_3) | instskip(SKIP_1) | instid1(VALU_DEP_3)
	v_add_f32_e32 v33, v33, v41
	s_wait_alu 0xfffd
	v_cndmask_b32_e32 v29, 0, v29, vcc_lo
	v_cmp_nlt_f32_e32 vcc_lo, 0x42b17218, v25
	s_delay_alu instid0(VALU_DEP_3) | instskip(SKIP_1) | instid1(VALU_DEP_2)
	v_exp_f32_e32 v33, v33
	s_wait_alu 0xfffd
	v_cndmask_b32_e32 v105, 0x7f800000, v29, vcc_lo
	v_cmp_ngt_f32_e32 vcc_lo, 0xc2ce8ed0, v24
	v_sub_f32_e32 v35, v35, v89
	s_delay_alu instid0(TRANS32_DEP_1) | instskip(NEXT) | instid1(VALU_DEP_1)
	v_ldexp_f32 v33, v33, v37
	v_cndmask_b32_e64 v25, 0, v33, s3
	v_cmp_nlt_f32_e64 s3, 0x42b17218, v21
	s_wait_alu 0xf1ff
	s_delay_alu instid0(VALU_DEP_1) | instskip(SKIP_2) | instid1(VALU_DEP_3)
	v_cndmask_b32_e64 v104, 0x7f800000, v25, s3
	v_cvt_f16_f32_e32 v25, v105
	v_cmp_ngt_f32_e64 s3, 0xc2ce8ed0, v20
	v_cvt_f16_f32_e32 v21, v104
	s_delay_alu instid0(VALU_DEP_1) | instskip(SKIP_1) | instid1(VALU_DEP_1)
	v_pack_b32_f16 v21, v21, v25
	v_mul_f32_e32 v25, 0x3fb8aa3b, v24
	v_fma_f32 v29, 0x3fb8aa3b, v24, -v25
	v_rndne_f32_e32 v33, v25
	s_delay_alu instid0(VALU_DEP_2) | instskip(NEXT) | instid1(VALU_DEP_2)
	v_fmac_f32_e32 v29, 0x32a5705f, v24
	v_sub_f32_e32 v25, v25, v33
	v_cvt_i32_f32_e32 v33, v33
	s_delay_alu instid0(VALU_DEP_2) | instskip(SKIP_1) | instid1(VALU_DEP_2)
	v_add_f32_e32 v25, v25, v29
	v_mul_f32_e32 v29, 0x3fb8aa3b, v20
	v_exp_f32_e32 v25, v25
	s_delay_alu instid0(VALU_DEP_1) | instskip(SKIP_1) | instid1(VALU_DEP_2)
	v_fma_f32 v37, 0x3fb8aa3b, v20, -v29
	v_rndne_f32_e32 v41, v29
	v_fmac_f32_e32 v37, 0x32a5705f, v20
	s_delay_alu instid0(VALU_DEP_2) | instskip(NEXT) | instid1(TRANS32_DEP_1)
	v_sub_f32_e32 v29, v29, v41
	v_ldexp_f32 v25, v25, v33
	v_cvt_i32_f32_e32 v33, v41
	s_delay_alu instid0(VALU_DEP_3) | instskip(SKIP_1) | instid1(VALU_DEP_3)
	v_add_f32_e32 v29, v29, v37
	s_wait_alu 0xfffd
	v_cndmask_b32_e32 v25, 0, v25, vcc_lo
	v_cmp_nlt_f32_e32 vcc_lo, 0x42b17218, v24
	s_delay_alu instid0(VALU_DEP_3) | instskip(SKIP_1) | instid1(VALU_DEP_2)
	v_exp_f32_e32 v29, v29
	s_wait_alu 0xfffd
	v_cndmask_b32_e32 v107, 0x7f800000, v25, vcc_lo
	s_delay_alu instid0(TRANS32_DEP_1) | instskip(SKIP_1) | instid1(VALU_DEP_1)
	v_ldexp_f32 v29, v29, v33
	s_wait_alu 0xf1ff
	v_cndmask_b32_e64 v24, 0, v29, s3
	v_cmp_nlt_f32_e64 s3, 0x42b17218, v20
	s_wait_dscnt 0x0
	ds_load_u16_d16_hi v61, v108 offset:2880
	ds_load_u16_d16_hi v47, v193 offset:656
	ds_load_u16 v84, v193 offset:736
	ds_load_u16_d16_hi v80, v193 offset:944
	ds_load_u16_d16_hi v72, v193 offset:976
	ds_load_u16 v54, v193 offset:2816
	ds_load_u16 v58, v193 offset:2880
	;; [unrolled: 1-line block ×3, first 2 shown]
	ds_load_u16_d16_hi v76, v193 offset:880
	ds_load_u16_d16_hi v48, v193 offset:1008
	ds_load_u16 v69, v88 offset:2944
	ds_load_u16 v45, v88 offset:5632
	;; [unrolled: 1-line block ×8, first 2 shown]
	s_wait_dscnt 0x0
	ds_load_u16_d16_hi v65, v108 offset:2912
	ds_load_u16_d16_hi v69, v108 offset:2944
	;; [unrolled: 1-line block ×5, first 2 shown]
	ds_load_u16 v83, v193 offset:384
	ds_load_u16_d16_hi v70, v193 offset:272
	ds_load_u16_d16_hi v71, v193 offset:624
	ds_load_u16 v50, v193 offset:2848
	ds_load_u16_d16_hi v66, v193 offset:3120
	ds_load_u16 v62, v193 offset:2912
	ds_load_u16 v51, v193 offset:3200
	ds_load_u16_d16_hi v54, v193 offset:2992
	s_wait_alu 0xf1ff
	v_cndmask_b32_e64 v106, 0x7f800000, v24, s3
	v_cvt_f16_f32_e32 v24, v107
	v_cmp_ngt_f32_e64 s3, 0xc2ce8ed0, v43
	s_delay_alu instid0(VALU_DEP_3) | instskip(NEXT) | instid1(VALU_DEP_1)
	v_cvt_f16_f32_e32 v20, v106
	v_pack_b32_f16 v20, v20, v24
	s_delay_alu instid0(VALU_DEP_1)
	v_wmma_f16_16x16x16_f16 v[4:7], v[46:49], v[20:23], v[4:7]
	ds_load_u16 v48, v193 offset:9280
	ds_load_u16 v24, v193 offset:9152
	ds_load_u16 v86, v193 offset:8896
	ds_load_u16 v87, v193 offset:9248
	ds_load_u16 v77, v88
	ds_load_u16 v74, v193
	ds_load_u16 v82, v193 offset:32
	ds_load_u16 v78, v193 offset:64
	;; [unrolled: 1-line block ×3, first 2 shown]
	s_wait_dscnt 0x6
	ds_load_u16_d16_hi v86, v193 offset:9072
	ds_load_u16 v85, v88 offset:32
	ds_load_u16 v73, v88 offset:96
	ds_load_u16_d16_hi v48, v193 offset:9456
	ds_load_u16_d16_hi v24, v193 offset:9328
	ds_load_u16 v143, v193 offset:9184
	s_wait_dscnt 0xb
	ds_load_u16_d16_hi v87, v193 offset:9424
	s_wait_dscnt 0xb
	ds_load_u16_d16_hi v77, v108
	s_wait_dscnt 0xb
	ds_load_u16_d16_hi v74, v193 offset:176
	s_wait_dscnt 0xb
	ds_load_u16_d16_hi v82, v193 offset:208
	;; [unrolled: 2-line block ×4, first 2 shown]
	ds_load_u16_d16_hi v81, v108 offset:64
	s_wait_dscnt 0xa
	ds_load_u16_d16_hi v73, v108 offset:96
	ds_load_u16 v49, v88 offset:8576
	ds_load_u16 v79, v193 offset:416
	ds_load_u16_d16_hi v84, v193 offset:912
	ds_load_u16_d16_hi v83, v193 offset:560
	s_wait_dscnt 0x9
	v_wmma_f16_16x16x16_f16 v[16:19], v[74:77], v[20:23], v[16:19]
	s_wait_dscnt 0x2
	ds_load_u16_d16_hi v79, v193 offset:592
	v_wmma_f16_16x16x16_f16 v[8:11], v[70:73], v[20:23], v[8:11]
	s_wait_dscnt 0x1
	v_wmma_f16_16x16x16_f16 v[0:3], v[82:85], v[20:23], v[0:3]
	s_wait_dscnt 0x0
	v_wmma_f16_16x16x16_f16 v[12:15], v[78:81], v[20:23], v[12:15]
	v_sub_f32_e32 v20, v52, v89
	s_delay_alu instid0(VALU_DEP_1) | instskip(SKIP_1) | instid1(VALU_DEP_2)
	v_mul_f32_e32 v21, 0x3fb8aa3b, v20
	v_cmp_ngt_f32_e64 s5, 0xc2ce8ed0, v20
	v_fma_f32 v22, 0x3fb8aa3b, v20, -v21
	v_rndne_f32_e32 v23, v21
	s_delay_alu instid0(VALU_DEP_1) | instskip(SKIP_1) | instid1(VALU_DEP_2)
	v_dual_fmac_f32 v22, 0x32a5705f, v20 :: v_dual_sub_f32 v21, v21, v23
	v_cvt_i32_f32_e32 v23, v23
	v_dual_add_f32 v21, v21, v22 :: v_dual_sub_f32 v22, v44, v89
	s_delay_alu instid0(VALU_DEP_1) | instskip(NEXT) | instid1(VALU_DEP_1)
	v_exp_f32_e32 v21, v21
	v_mul_f32_e32 v44, 0x3fb8aa3b, v22
	v_cmp_ngt_f32_e32 vcc_lo, 0xc2ce8ed0, v22
	s_delay_alu instid0(VALU_DEP_2) | instskip(SKIP_1) | instid1(TRANS32_DEP_1)
	v_fma_f32 v46, 0x3fb8aa3b, v22, -v44
	v_rndne_f32_e32 v47, v44
	v_ldexp_f32 v21, v21, v23
	s_delay_alu instid0(VALU_DEP_3) | instskip(NEXT) | instid1(VALU_DEP_3)
	v_fmac_f32_e32 v46, 0x32a5705f, v22
	v_sub_f32_e32 v44, v44, v47
	s_wait_alu 0xf1ff
	s_delay_alu instid0(VALU_DEP_3) | instskip(SKIP_1) | instid1(VALU_DEP_3)
	v_cndmask_b32_e64 v21, 0, v21, s5
	v_cmp_nlt_f32_e64 s5, 0x42b17218, v20
	v_add_f32_e32 v44, v44, v46
	v_mul_f32_e32 v46, 0x3fb8aa3b, v43
	s_wait_alu 0xf1ff
	s_delay_alu instid0(VALU_DEP_3) | instskip(NEXT) | instid1(VALU_DEP_3)
	v_cndmask_b32_e64 v70, 0x7f800000, v21, s5
	v_exp_f32_e32 v23, v44
	s_delay_alu instid0(VALU_DEP_2) | instskip(SKIP_3) | instid1(VALU_DEP_4)
	v_fma_f32 v52, 0x3fb8aa3b, v43, -v46
	v_rndne_f32_e32 v55, v46
	v_cvt_i32_f32_e32 v44, v47
	v_cvt_f16_f32_e32 v20, v70
	v_fmac_f32_e32 v52, 0x32a5705f, v43
	s_delay_alu instid0(VALU_DEP_4)
	v_sub_f32_e32 v46, v46, v55
	s_delay_alu instid0(TRANS32_DEP_1) | instid1(VALU_DEP_4)
	v_ldexp_f32 v23, v23, v44
	s_delay_alu instid0(VALU_DEP_2) | instskip(SKIP_1) | instid1(VALU_DEP_2)
	v_add_f32_e32 v46, v46, v52
	s_wait_alu 0xfffd
	v_dual_mul_f32 v52, 0x3fb8aa3b, v42 :: v_dual_cndmask_b32 v23, 0, v23
	v_cmp_nlt_f32_e32 vcc_lo, 0x42b17218, v22
	s_delay_alu instid0(VALU_DEP_3) | instskip(NEXT) | instid1(VALU_DEP_2)
	v_exp_f32_e32 v44, v46
	v_fma_f32 v56, 0x3fb8aa3b, v42, -v52
	v_rndne_f32_e32 v59, v52
	v_cvt_i32_f32_e32 v46, v55
	s_wait_alu 0xfffd
	v_cndmask_b32_e32 v73, 0x7f800000, v23, vcc_lo
	v_fmac_f32_e32 v56, 0x32a5705f, v42
	v_sub_f32_e32 v52, v52, v59
	v_cvt_i32_f32_e32 v47, v59
	s_delay_alu instid0(TRANS32_DEP_1) | instskip(NEXT) | instid1(VALU_DEP_3)
	v_ldexp_f32 v44, v44, v46
	v_add_f32_e32 v52, v52, v56
	ds_load_u16 v56, v193 offset:3520
	ds_load_u16 v68, v193 offset:3648
	;; [unrolled: 1-line block ×3, first 2 shown]
	ds_load_u16_d16_hi v51, v193 offset:3376
	ds_load_u16 v59, v193 offset:3232
	v_cndmask_b32_e64 v22, 0, v44, s3
	v_cmp_nlt_f32_e64 s3, 0x42b17218, v43
	v_exp_f32_e32 v46, v52
	s_wait_alu 0xf1ff
	s_delay_alu instid0(VALU_DEP_1) | instskip(SKIP_1) | instid1(VALU_DEP_2)
	v_cndmask_b32_e64 v71, 0x7f800000, v22, s3
	v_cmp_ngt_f32_e64 s3, 0xc2ce8ed0, v38
	v_cvt_f16_f32_e32 v21, v71
	s_delay_alu instid0(TRANS32_DEP_1) | instskip(NEXT) | instid1(VALU_DEP_1)
	v_ldexp_f32 v46, v46, v47
	v_cndmask_b32_e64 v43, 0, v46, s4
	v_cmp_nlt_f32_e64 s4, 0x42b17218, v42
	v_cvt_f16_f32_e32 v42, v73
	s_wait_alu 0xf1ff
	s_delay_alu instid0(VALU_DEP_2) | instskip(NEXT) | instid1(VALU_DEP_1)
	v_cndmask_b32_e64 v72, 0x7f800000, v43, s4
	v_cvt_f16_f32_e32 v22, v72
	s_delay_alu instid0(VALU_DEP_1) | instskip(SKIP_2) | instid1(VALU_DEP_1)
	v_pack_b32_f16 v23, v21, v22
	v_pack_b32_f16 v22, v20, v42
	v_sub_f32_e32 v20, v40, v89
	v_mul_f32_e32 v21, 0x3fb8aa3b, v20
	v_cmp_ngt_f32_e32 vcc_lo, 0xc2ce8ed0, v20
	s_delay_alu instid0(VALU_DEP_2) | instskip(SKIP_1) | instid1(VALU_DEP_1)
	v_fma_f32 v40, 0x3fb8aa3b, v20, -v21
	v_rndne_f32_e32 v42, v21
	v_dual_fmac_f32 v40, 0x32a5705f, v20 :: v_dual_sub_f32 v21, v21, v42
	v_cvt_i32_f32_e32 v42, v42
	s_delay_alu instid0(VALU_DEP_2) | instskip(NEXT) | instid1(VALU_DEP_1)
	v_dual_add_f32 v21, v21, v40 :: v_dual_mul_f32 v40, 0x3fb8aa3b, v38
	v_exp_f32_e32 v21, v21
	s_delay_alu instid0(VALU_DEP_1) | instskip(SKIP_1) | instid1(VALU_DEP_1)
	v_fma_f32 v43, 0x3fb8aa3b, v38, -v40
	v_rndne_f32_e32 v44, v40
	v_dual_fmac_f32 v43, 0x32a5705f, v38 :: v_dual_sub_f32 v40, v40, v44
	s_delay_alu instid0(TRANS32_DEP_1) | instskip(SKIP_2) | instid1(VALU_DEP_2)
	v_ldexp_f32 v21, v21, v42
	v_cvt_i32_f32_e32 v42, v44
	s_wait_alu 0xfffd
	v_dual_add_f32 v40, v40, v43 :: v_dual_cndmask_b32 v21, 0, v21
	v_cmp_nlt_f32_e32 vcc_lo, 0x42b17218, v20
	s_delay_alu instid0(VALU_DEP_2) | instskip(SKIP_1) | instid1(VALU_DEP_2)
	v_exp_f32_e32 v40, v40
	s_wait_alu 0xfffd
	v_cndmask_b32_e32 v75, 0x7f800000, v21, vcc_lo
	s_delay_alu instid0(VALU_DEP_1) | instskip(NEXT) | instid1(TRANS32_DEP_1)
	v_cvt_f16_f32_e32 v21, v75
	v_ldexp_f32 v40, v40, v42
	s_delay_alu instid0(VALU_DEP_1) | instskip(SKIP_2) | instid1(VALU_DEP_1)
	v_cndmask_b32_e64 v20, 0, v40, s3
	v_cmp_nlt_f32_e64 s3, 0x42b17218, v38
	s_wait_alu 0xf1ff
	v_cndmask_b32_e64 v74, 0x7f800000, v20, s3
	v_cmp_ngt_f32_e64 s3, 0xc2ce8ed0, v30
	s_delay_alu instid0(VALU_DEP_2) | instskip(NEXT) | instid1(VALU_DEP_1)
	v_cvt_f16_f32_e32 v20, v74
	v_pack_b32_f16 v21, v20, v21
	v_sub_f32_e32 v20, v34, v89
	s_delay_alu instid0(VALU_DEP_1) | instskip(SKIP_1) | instid1(VALU_DEP_2)
	v_mul_f32_e32 v34, 0x3fb8aa3b, v20
	v_cmp_ngt_f32_e32 vcc_lo, 0xc2ce8ed0, v20
	v_fma_f32 v38, 0x3fb8aa3b, v20, -v34
	v_rndne_f32_e32 v40, v34
	s_delay_alu instid0(VALU_DEP_2) | instskip(NEXT) | instid1(VALU_DEP_2)
	v_fmac_f32_e32 v38, 0x32a5705f, v20
	v_sub_f32_e32 v34, v34, v40
	v_cvt_i32_f32_e32 v40, v40
	s_delay_alu instid0(VALU_DEP_2) | instskip(SKIP_1) | instid1(VALU_DEP_2)
	v_add_f32_e32 v34, v34, v38
	v_mul_f32_e32 v38, 0x3fb8aa3b, v30
	v_exp_f32_e32 v34, v34
	s_delay_alu instid0(VALU_DEP_1) | instskip(SKIP_1) | instid1(VALU_DEP_2)
	v_fma_f32 v42, 0x3fb8aa3b, v30, -v38
	v_rndne_f32_e32 v43, v38
	v_fmac_f32_e32 v42, 0x32a5705f, v30
	s_delay_alu instid0(VALU_DEP_2) | instskip(NEXT) | instid1(TRANS32_DEP_1)
	v_sub_f32_e32 v38, v38, v43
	v_ldexp_f32 v34, v34, v40
	v_cvt_i32_f32_e32 v40, v43
	s_delay_alu instid0(VALU_DEP_3) | instskip(SKIP_1) | instid1(VALU_DEP_3)
	v_add_f32_e32 v38, v38, v42
	s_wait_alu 0xfffd
	v_cndmask_b32_e32 v34, 0, v34, vcc_lo
	v_cmp_nlt_f32_e32 vcc_lo, 0x42b17218, v20
	s_delay_alu instid0(VALU_DEP_3) | instskip(SKIP_1) | instid1(VALU_DEP_2)
	v_exp_f32_e32 v38, v38
	s_wait_alu 0xfffd
	v_cndmask_b32_e32 v77, 0x7f800000, v34, vcc_lo
	s_delay_alu instid0(TRANS32_DEP_1) | instskip(SKIP_1) | instid1(VALU_DEP_1)
	v_ldexp_f32 v38, v38, v40
	s_wait_alu 0xf1ff
	v_cndmask_b32_e64 v20, 0, v38, s3
	v_cmp_nlt_f32_e64 s3, 0x42b17218, v30
	v_cvt_f16_f32_e32 v30, v77
	s_wait_alu 0xf1ff
	s_delay_alu instid0(VALU_DEP_2) | instskip(SKIP_1) | instid1(VALU_DEP_2)
	v_cndmask_b32_e64 v76, 0x7f800000, v20, s3
	v_cmp_ngt_f32_e64 s3, 0xc2ce8ed0, v35
	v_cvt_f16_f32_e32 v20, v76
	s_delay_alu instid0(VALU_DEP_1)
	v_pack_b32_f16 v20, v20, v30
	s_wait_dscnt 0x4
	ds_load_u16_d16_hi v56, v193 offset:3696
	ds_load_u16 v64, v193 offset:3616
	s_wait_dscnt 0x5
	ds_load_u16_d16_hi v68, v193 offset:3824
	s_wait_dscnt 0x5
	ds_load_u16_d16_hi v67, v193 offset:3472
	ds_load_u16 v52, v193 offset:3552
	s_wait_dscnt 0x5
	ds_load_u16_d16_hi v59, v193 offset:3408
	ds_load_u16 v42, v193 offset:5632
	ds_load_u16 v38, v193 offset:5664
	;; [unrolled: 1-line block ×4, first 2 shown]
	s_wait_dscnt 0x8
	ds_load_u16_d16_hi v64, v193 offset:3792
	ds_load_u16 v55, v193 offset:3168
	ds_load_u16_d16_hi v62, v193 offset:3088
	s_wait_dscnt 0x9
	v_wmma_f16_16x16x16_f16 v[4:7], v[66:69], v[20:23], v[4:7]
	s_wait_dscnt 0x1
	ds_load_u16_d16_hi v55, v193 offset:3344
	ds_load_u16 v60, v193 offset:3584
	ds_load_u16_d16_hi v50, v193 offset:3024
	ds_load_u16_d16_hi v52, v193 offset:3728
	;; [unrolled: 1-line block ×3, first 2 shown]
	ds_load_u16 v63, v193 offset:3264
	s_wait_dscnt 0x4
	ds_load_u16_d16_hi v60, v193 offset:3760
	v_wmma_f16_16x16x16_f16 v[16:19], v[54:57], v[20:23], v[16:19]
	s_wait_dscnt 0x3
	v_wmma_f16_16x16x16_f16 v[0:3], v[50:53], v[20:23], v[0:3]
	s_wait_dscnt 0x1
	ds_load_u16_d16_hi v63, v193 offset:3440
	s_wait_dscnt 0x1
	v_wmma_f16_16x16x16_f16 v[12:15], v[58:61], v[20:23], v[12:15]
	s_wait_dscnt 0x0
	v_wmma_f16_16x16x16_f16 v[8:11], v[62:65], v[20:23], v[8:11]
	v_sub_f32_e32 v20, v39, v89
	s_delay_alu instid0(VALU_DEP_1) | instskip(SKIP_1) | instid1(VALU_DEP_2)
	v_mul_f32_e32 v21, 0x3fb8aa3b, v20
	v_cmp_ngt_f32_e64 s5, 0xc2ce8ed0, v20
	v_fma_f32 v22, 0x3fb8aa3b, v20, -v21
	v_rndne_f32_e32 v23, v21
	s_delay_alu instid0(VALU_DEP_1) | instskip(SKIP_1) | instid1(VALU_DEP_2)
	v_dual_fmac_f32 v22, 0x32a5705f, v20 :: v_dual_sub_f32 v21, v21, v23
	v_cvt_i32_f32_e32 v23, v23
	v_dual_add_f32 v21, v21, v22 :: v_dual_sub_f32 v22, v36, v89
	s_delay_alu instid0(VALU_DEP_1) | instskip(NEXT) | instid1(VALU_DEP_1)
	v_exp_f32_e32 v21, v21
	v_mul_f32_e32 v36, 0x3fb8aa3b, v22
	v_cmp_ngt_f32_e32 vcc_lo, 0xc2ce8ed0, v22
	s_delay_alu instid0(VALU_DEP_2) | instskip(SKIP_1) | instid1(TRANS32_DEP_1)
	v_fma_f32 v39, 0x3fb8aa3b, v22, -v36
	v_rndne_f32_e32 v40, v36
	v_ldexp_f32 v21, v21, v23
	s_delay_alu instid0(VALU_DEP_2) | instskip(SKIP_1) | instid1(VALU_DEP_2)
	v_dual_fmac_f32 v39, 0x32a5705f, v22 :: v_dual_sub_f32 v36, v36, v40
	s_wait_alu 0xf1ff
	v_cndmask_b32_e64 v21, 0, v21, s5
	v_cmp_nlt_f32_e64 s5, 0x42b17218, v20
	s_delay_alu instid0(VALU_DEP_3) | instskip(SKIP_2) | instid1(VALU_DEP_3)
	v_add_f32_e32 v36, v36, v39
	v_mul_f32_e32 v39, 0x3fb8aa3b, v35
	s_wait_alu 0xf1ff
	v_cndmask_b32_e64 v20, 0x7f800000, v21, s5
	s_delay_alu instid0(VALU_DEP_3) | instskip(NEXT) | instid1(VALU_DEP_2)
	v_exp_f32_e32 v23, v36
	v_fma_f32 v43, 0x3fb8aa3b, v35, -v39
	v_rndne_f32_e32 v44, v39
	v_cvt_i32_f32_e32 v36, v40
	s_delay_alu instid0(VALU_DEP_3) | instskip(NEXT) | instid1(VALU_DEP_3)
	v_fmac_f32_e32 v43, 0x32a5705f, v35
	v_sub_f32_e32 v39, v39, v44
	s_delay_alu instid0(TRANS32_DEP_1) | instid1(VALU_DEP_3)
	v_ldexp_f32 v23, v23, v36
	s_delay_alu instid0(VALU_DEP_2) | instskip(SKIP_2) | instid1(VALU_DEP_3)
	v_add_f32_e32 v39, v39, v43
	v_mul_f32_e32 v43, 0x3fb8aa3b, v32
	s_wait_alu 0xfffd
	v_cndmask_b32_e32 v23, 0, v23, vcc_lo
	v_cmp_nlt_f32_e32 vcc_lo, 0x42b17218, v22
	v_exp_f32_e32 v36, v39
	v_fma_f32 v46, 0x3fb8aa3b, v32, -v43
	v_rndne_f32_e32 v47, v43
	v_cvt_i32_f32_e32 v39, v44
	s_wait_alu 0xfffd
	v_cndmask_b32_e32 v55, 0x7f800000, v23, vcc_lo
	s_delay_alu instid0(VALU_DEP_3) | instskip(SKIP_1) | instid1(TRANS32_DEP_1)
	v_dual_sub_f32 v43, v43, v47 :: v_dual_fmac_f32 v46, 0x32a5705f, v32
	v_cvt_i32_f32_e32 v40, v47
	v_ldexp_f32 v36, v36, v39
	v_cmp_ngt_f32_e64 s4, 0xc2ce8ed0, v32
	s_delay_alu instid0(VALU_DEP_4) | instskip(NEXT) | instid1(VALU_DEP_3)
	v_add_f32_e32 v43, v43, v46
	v_cndmask_b32_e64 v22, 0, v36, s3
	v_cmp_nlt_f32_e64 s3, 0x42b17218, v35
	s_delay_alu instid0(VALU_DEP_3) | instskip(SKIP_1) | instid1(VALU_DEP_1)
	v_exp_f32_e32 v39, v43
	s_wait_alu 0xf1ff
	v_cndmask_b32_e64 v21, 0x7f800000, v22, s3
	v_cvt_f16_f32_e32 v22, v20
	v_cmp_ngt_f32_e64 s3, 0xc2ce8ed0, v28
	s_delay_alu instid0(VALU_DEP_3) | instskip(NEXT) | instid1(TRANS32_DEP_1)
	v_cvt_f16_f32_e32 v23, v21
	v_ldexp_f32 v39, v39, v40
	s_delay_alu instid0(VALU_DEP_1) | instskip(SKIP_2) | instid1(VALU_DEP_1)
	v_cndmask_b32_e64 v35, 0, v39, s4
	v_cmp_nlt_f32_e64 s4, 0x42b17218, v32
	s_wait_alu 0xf1ff
	v_cndmask_b32_e64 v54, 0x7f800000, v35, s4
	v_cvt_f16_f32_e32 v35, v55
	s_delay_alu instid0(VALU_DEP_2) | instskip(NEXT) | instid1(VALU_DEP_2)
	v_cvt_f16_f32_e32 v32, v54
	v_pack_b32_f16 v52, v22, v35
	v_sub_f32_e32 v22, v31, v89
	s_delay_alu instid0(VALU_DEP_3) | instskip(NEXT) | instid1(VALU_DEP_2)
	v_pack_b32_f16 v53, v23, v32
	v_mul_f32_e32 v23, 0x3fb8aa3b, v22
	v_cmp_ngt_f32_e32 vcc_lo, 0xc2ce8ed0, v22
	s_delay_alu instid0(VALU_DEP_2) | instskip(SKIP_1) | instid1(VALU_DEP_2)
	v_fma_f32 v31, 0x3fb8aa3b, v22, -v23
	v_rndne_f32_e32 v32, v23
	v_fmac_f32_e32 v31, 0x32a5705f, v22
	s_delay_alu instid0(VALU_DEP_2) | instskip(SKIP_1) | instid1(VALU_DEP_2)
	v_sub_f32_e32 v23, v23, v32
	v_cvt_i32_f32_e32 v32, v32
	v_add_f32_e32 v23, v23, v31
	v_mul_f32_e32 v31, 0x3fb8aa3b, v28
	s_delay_alu instid0(VALU_DEP_2) | instskip(NEXT) | instid1(VALU_DEP_1)
	v_exp_f32_e32 v23, v23
	v_fma_f32 v35, 0x3fb8aa3b, v28, -v31
	v_rndne_f32_e32 v36, v31
	s_delay_alu instid0(VALU_DEP_2) | instskip(NEXT) | instid1(VALU_DEP_2)
	v_fmac_f32_e32 v35, 0x32a5705f, v28
	v_sub_f32_e32 v31, v31, v36
	s_delay_alu instid0(TRANS32_DEP_1) | instskip(SKIP_1) | instid1(VALU_DEP_3)
	v_ldexp_f32 v23, v23, v32
	v_cvt_i32_f32_e32 v32, v36
	v_add_f32_e32 v31, v31, v35
	s_wait_alu 0xfffd
	s_delay_alu instid0(VALU_DEP_3) | instskip(SKIP_1) | instid1(VALU_DEP_3)
	v_cndmask_b32_e32 v23, 0, v23, vcc_lo
	v_cmp_nlt_f32_e32 vcc_lo, 0x42b17218, v22
	v_exp_f32_e32 v31, v31
	s_wait_alu 0xfffd
	s_delay_alu instid0(VALU_DEP_2) | instskip(NEXT) | instid1(VALU_DEP_1)
	v_cndmask_b32_e32 v57, 0x7f800000, v23, vcc_lo
	v_cvt_f16_f32_e32 v23, v57
	s_delay_alu instid0(TRANS32_DEP_1) | instskip(NEXT) | instid1(VALU_DEP_1)
	v_ldexp_f32 v31, v31, v32
	v_cndmask_b32_e64 v22, 0, v31, s3
	v_cmp_nlt_f32_e64 s3, 0x42b17218, v28
	s_wait_alu 0xf1ff
	s_delay_alu instid0(VALU_DEP_1) | instskip(SKIP_1) | instid1(VALU_DEP_2)
	v_cndmask_b32_e64 v56, 0x7f800000, v22, s3
	v_cmp_ngt_f32_e64 s3, 0xc2ce8ed0, v26
	v_cvt_f16_f32_e32 v22, v56
	s_delay_alu instid0(VALU_DEP_1) | instskip(SKIP_1) | instid1(VALU_DEP_1)
	v_pack_b32_f16 v51, v22, v23
	v_sub_f32_e32 v22, v27, v89
	v_mul_f32_e32 v23, 0x3fb8aa3b, v22
	v_cmp_ngt_f32_e32 vcc_lo, 0xc2ce8ed0, v22
	s_delay_alu instid0(VALU_DEP_2) | instskip(SKIP_1) | instid1(VALU_DEP_2)
	v_fma_f32 v27, 0x3fb8aa3b, v22, -v23
	v_rndne_f32_e32 v28, v23
	v_fmac_f32_e32 v27, 0x32a5705f, v22
	s_delay_alu instid0(VALU_DEP_2) | instskip(SKIP_1) | instid1(VALU_DEP_2)
	v_sub_f32_e32 v23, v23, v28
	v_cvt_i32_f32_e32 v28, v28
	v_add_f32_e32 v23, v23, v27
	v_mul_f32_e32 v27, 0x3fb8aa3b, v26
	s_delay_alu instid0(VALU_DEP_2) | instskip(NEXT) | instid1(VALU_DEP_1)
	v_exp_f32_e32 v23, v23
	v_fma_f32 v31, 0x3fb8aa3b, v26, -v27
	v_rndne_f32_e32 v32, v27
	s_delay_alu instid0(VALU_DEP_2) | instskip(NEXT) | instid1(VALU_DEP_2)
	v_fmac_f32_e32 v31, 0x32a5705f, v26
	v_sub_f32_e32 v27, v27, v32
	s_delay_alu instid0(TRANS32_DEP_1) | instskip(SKIP_1) | instid1(VALU_DEP_3)
	v_ldexp_f32 v23, v23, v28
	v_cvt_i32_f32_e32 v28, v32
	v_add_f32_e32 v27, v27, v31
	s_wait_alu 0xfffd
	s_delay_alu instid0(VALU_DEP_3) | instskip(SKIP_1) | instid1(VALU_DEP_3)
	v_cndmask_b32_e32 v23, 0, v23, vcc_lo
	v_cmp_nlt_f32_e32 vcc_lo, 0x42b17218, v22
	v_exp_f32_e32 v27, v27
	s_wait_alu 0xfffd
	s_delay_alu instid0(VALU_DEP_2) | instskip(NEXT) | instid1(VALU_DEP_1)
	v_cndmask_b32_e32 v59, 0x7f800000, v23, vcc_lo
	v_cvt_f16_f32_e32 v23, v59
	s_delay_alu instid0(TRANS32_DEP_1) | instskip(SKIP_1) | instid1(VALU_DEP_1)
	v_ldexp_f32 v27, v27, v28
	s_wait_alu 0xf1ff
	v_cndmask_b32_e64 v22, 0, v27, s3
	ds_load_u16 v27, v193 offset:6112
	ds_load_u16 v43, v193 offset:5984
	;; [unrolled: 1-line block ×5, first 2 shown]
	ds_load_u16_d16_hi v30, v193 offset:5904
	v_cmp_nlt_f32_e64 s3, 0x42b17218, v26
	s_wait_alu 0xf1ff
	s_delay_alu instid0(VALU_DEP_1) | instskip(NEXT) | instid1(VALU_DEP_1)
	v_cndmask_b32_e64 v58, 0x7f800000, v22, s3
	v_cvt_f16_f32_e32 v22, v58
	s_delay_alu instid0(VALU_DEP_1)
	v_pack_b32_f16 v50, v22, v23
	s_wait_dscnt 0x5
	ds_load_u16_d16_hi v27, v193 offset:6288
	s_wait_dscnt 0x5
	ds_load_u16_d16_hi v43, v193 offset:6160
	ds_load_u16 v39, v193 offset:6016
	ds_load_u16 v36, v193 offset:6400
	;; [unrolled: 1-line block ×4, first 2 shown]
	s_wait_dscnt 0x9
	ds_load_u16_d16_hi v40, v193 offset:6544
	s_wait_dscnt 0x9
	ds_load_u16_d16_hi v31, v193 offset:6256
	;; [unrolled: 2-line block ×3, first 2 shown]
	ds_load_u16_d16_hi v42, v193 offset:5808
	ds_load_u16_d16_hi v38, v193 offset:5840
	ds_load_u16_d16_hi v34, v193 offset:5872
	ds_load_u16 v26, v193 offset:5760
	s_wait_dscnt 0x9
	ds_load_u16_d16_hi v36, v193 offset:6576
	s_wait_dscnt 0x8
	ds_load_u16_d16_hi v28, v193 offset:6640
	ds_load_u16 v85, v193 offset:8544
	ds_load_u16 v46, v193 offset:8576
	ds_load_u16_d16_hi v22, v193 offset:8624
	ds_load_u16 v141, v193 offset:8480
	s_wait_dscnt 0x6
	ds_load_u16_d16_hi v26, v193 offset:5936
	ds_load_u16_d16_hi v39, v193 offset:6192
	ds_load_u16 v144, v88 offset:8480
	ds_load_u16 v140, v88 offset:8512
	;; [unrolled: 1-line block ×3, first 2 shown]
	ds_load_u16_d16_hi v37, v108 offset:5696
	ds_load_u16_d16_hi v33, v108 offset:5728
	;; [unrolled: 1-line block ×4, first 2 shown]
	s_wait_dscnt 0x6
	ds_load_u16_d16_hi v144, v108 offset:8480
	s_wait_dscnt 0x6
	ds_load_u16_d16_hi v140, v108 offset:8512
	;; [unrolled: 2-line block ×3, first 2 shown]
	ds_load_u16_d16_hi v49, v108 offset:8576
	ds_load_u16 v35, v193 offset:6048
	ds_load_u16 v32, v193 offset:6432
	v_sub_f32_e32 v23, v98, v89
	s_wait_dscnt 0x7
	v_wmma_f16_16x16x16_f16 v[4:7], v[26:29], v[50:53], v[4:7]
	v_wmma_f16_16x16x16_f16 v[0:3], v[38:41], v[50:53], v[0:3]
	;; [unrolled: 1-line block ×3, first 2 shown]
	v_mul_f32_e32 v26, 0x3fb8aa3b, v23
	v_cmp_ngt_f32_e64 s5, 0xc2ce8ed0, v23
	s_delay_alu instid0(VALU_DEP_2) | instskip(SKIP_1) | instid1(VALU_DEP_1)
	v_fma_f32 v27, 0x3fb8aa3b, v23, -v26
	v_rndne_f32_e32 v28, v26
	v_dual_fmac_f32 v27, 0x32a5705f, v23 :: v_dual_sub_f32 v26, v26, v28
	v_cvt_i32_f32_e32 v28, v28
	s_wait_dscnt 0x1
	ds_load_u16_d16_hi v35, v193 offset:6224
	s_wait_dscnt 0x1
	ds_load_u16_d16_hi v32, v193 offset:6608
	v_dual_add_f32 v26, v26, v27 :: v_dual_sub_f32 v27, v97, v89
	s_delay_alu instid0(VALU_DEP_1) | instskip(NEXT) | instid1(VALU_DEP_1)
	v_exp_f32_e32 v26, v26
	v_mul_f32_e32 v29, 0x3fb8aa3b, v27
	v_cmp_ngt_f32_e32 vcc_lo, 0xc2ce8ed0, v27
	s_delay_alu instid0(TRANS32_DEP_1)
	v_ldexp_f32 v26, v26, v28
	s_wait_dscnt 0x1
	v_wmma_f16_16x16x16_f16 v[12:15], v[34:37], v[50:53], v[12:15]
	s_wait_dscnt 0x0
	v_wmma_f16_16x16x16_f16 v[8:11], v[30:33], v[50:53], v[8:11]
	v_fma_f32 v30, 0x3fb8aa3b, v27, -v29
	v_rndne_f32_e32 v31, v29
	s_wait_alu 0xf1ff
	v_cndmask_b32_e64 v26, 0, v26, s5
	v_cmp_nlt_f32_e64 s5, 0x42b17218, v23
	v_fmac_f32_e32 v30, 0x32a5705f, v27
	v_sub_f32_e32 v29, v29, v31
	s_delay_alu instid0(VALU_DEP_1) | instskip(NEXT) | instid1(VALU_DEP_1)
	v_add_f32_e32 v29, v29, v30
	v_exp_f32_e32 v28, v29
	v_cvt_i32_f32_e32 v29, v31
	s_delay_alu instid0(TRANS32_DEP_1) | instid1(VALU_DEP_1)
	v_ldexp_f32 v28, v28, v29
	s_wait_alu 0xfffd
	s_delay_alu instid0(VALU_DEP_1) | instskip(NEXT) | instid1(VALU_DEP_1)
	v_dual_sub_f32 v29, v96, v89 :: v_dual_cndmask_b32 v28, 0, v28
	v_mul_f32_e32 v30, 0x3fb8aa3b, v29
	v_cmp_nlt_f32_e32 vcc_lo, 0x42b17218, v27
	v_cmp_ngt_f32_e64 s3, 0xc2ce8ed0, v29
	s_delay_alu instid0(VALU_DEP_3) | instskip(SKIP_1) | instid1(VALU_DEP_1)
	v_fma_f32 v31, 0x3fb8aa3b, v29, -v30
	v_rndne_f32_e32 v32, v30
	v_dual_fmac_f32 v31, 0x32a5705f, v29 :: v_dual_sub_f32 v30, v30, v32
	s_delay_alu instid0(VALU_DEP_1) | instskip(NEXT) | instid1(VALU_DEP_1)
	v_dual_add_f32 v30, v30, v31 :: v_dual_sub_f32 v31, v95, v89
	v_exp_f32_e32 v27, v30
	s_delay_alu instid0(VALU_DEP_1) | instskip(SKIP_2) | instid1(VALU_DEP_3)
	v_mul_f32_e32 v33, 0x3fb8aa3b, v31
	v_cvt_i32_f32_e32 v30, v32
	v_cmp_ngt_f32_e64 s4, 0xc2ce8ed0, v31
	v_fma_f32 v34, 0x3fb8aa3b, v31, -v33
	v_rndne_f32_e32 v35, v33
	s_delay_alu instid0(TRANS32_DEP_1) | instid1(VALU_DEP_4)
	v_ldexp_f32 v27, v27, v30
	s_delay_alu instid0(VALU_DEP_3) | instskip(NEXT) | instid1(VALU_DEP_3)
	v_fmac_f32_e32 v34, 0x32a5705f, v31
	v_sub_f32_e32 v33, v33, v35
	v_cvt_i32_f32_e32 v32, v35
	s_wait_alu 0xf1ff
	v_cndmask_b32_e64 v27, 0, v27, s3
	v_cmp_nlt_f32_e64 s3, 0x42b17218, v29
	v_add_f32_e32 v33, v33, v34
	s_delay_alu instid0(VALU_DEP_1) | instskip(SKIP_2) | instid1(VALU_DEP_1)
	v_exp_f32_e32 v30, v33
	s_wait_alu 0xfffd
	v_cndmask_b32_e32 v33, 0x7f800000, v28, vcc_lo
	v_cvt_f16_f32_e32 v28, v33
	s_delay_alu instid0(TRANS32_DEP_1) | instskip(NEXT) | instid1(VALU_DEP_1)
	v_ldexp_f32 v30, v30, v32
	v_cndmask_b32_e64 v29, 0, v30, s4
	v_cmp_nlt_f32_e64 s4, 0x42b17218, v31
	v_cndmask_b32_e64 v30, 0x7f800000, v26, s5
	s_wait_alu 0xf1ff
	v_cndmask_b32_e64 v31, 0x7f800000, v27, s3
	s_delay_alu instid0(VALU_DEP_3) | instskip(NEXT) | instid1(VALU_DEP_3)
	v_cndmask_b32_e64 v32, 0x7f800000, v29, s4
	v_cvt_f16_f32_e32 v23, v30
	s_delay_alu instid0(VALU_DEP_3) | instskip(NEXT) | instid1(VALU_DEP_3)
	v_cvt_f16_f32_e32 v26, v31
	v_cvt_f16_f32_e32 v27, v32
	s_delay_alu instid0(VALU_DEP_3) | instskip(SKIP_1) | instid1(VALU_DEP_3)
	v_pack_b32_f16 v28, v23, v28
	v_sub_f32_e32 v23, v94, v89
	v_pack_b32_f16 v29, v26, v27
	s_delay_alu instid0(VALU_DEP_2) | instskip(SKIP_1) | instid1(VALU_DEP_2)
	v_mul_f32_e32 v26, 0x3fb8aa3b, v23
	v_cmp_ngt_f32_e32 vcc_lo, 0xc2ce8ed0, v23
	v_fma_f32 v27, 0x3fb8aa3b, v23, -v26
	v_rndne_f32_e32 v34, v26
	s_delay_alu instid0(VALU_DEP_1) | instskip(SKIP_1) | instid1(VALU_DEP_2)
	v_dual_fmac_f32 v27, 0x32a5705f, v23 :: v_dual_sub_f32 v26, v26, v34
	v_cvt_i32_f32_e32 v34, v34
	v_dual_add_f32 v26, v26, v27 :: v_dual_sub_f32 v27, v93, v89
	s_delay_alu instid0(VALU_DEP_1) | instskip(NEXT) | instid1(VALU_DEP_1)
	v_exp_f32_e32 v26, v26
	v_mul_f32_e32 v35, 0x3fb8aa3b, v27
	v_cmp_ngt_f32_e64 s3, 0xc2ce8ed0, v27
	s_delay_alu instid0(VALU_DEP_2) | instskip(SKIP_1) | instid1(TRANS32_DEP_1)
	v_fma_f32 v36, 0x3fb8aa3b, v27, -v35
	v_rndne_f32_e32 v37, v35
	v_ldexp_f32 v26, v26, v34
	s_delay_alu instid0(VALU_DEP_2) | instskip(SKIP_1) | instid1(VALU_DEP_2)
	v_dual_fmac_f32 v36, 0x32a5705f, v27 :: v_dual_sub_f32 v35, v35, v37
	s_wait_alu 0xfffd
	v_cndmask_b32_e32 v26, 0, v26, vcc_lo
	v_cmp_nlt_f32_e32 vcc_lo, 0x42b17218, v23
	s_delay_alu instid0(VALU_DEP_3) | instskip(NEXT) | instid1(VALU_DEP_1)
	v_add_f32_e32 v35, v35, v36
	v_exp_f32_e32 v34, v35
	v_cvt_i32_f32_e32 v35, v37
	s_delay_alu instid0(TRANS32_DEP_1) | instid1(VALU_DEP_1)
	v_ldexp_f32 v34, v34, v35
	s_wait_alu 0xfffd
	v_cndmask_b32_e32 v35, 0x7f800000, v26, vcc_lo
	s_wait_alu 0xf1ff
	s_delay_alu instid0(VALU_DEP_2) | instskip(SKIP_1) | instid1(VALU_DEP_3)
	v_cndmask_b32_e64 v23, 0, v34, s3
	v_cmp_nlt_f32_e64 s3, 0x42b17218, v27
	v_cvt_f16_f32_e32 v26, v35
	s_wait_alu 0xf1ff
	s_delay_alu instid0(VALU_DEP_2) | instskip(NEXT) | instid1(VALU_DEP_1)
	v_cndmask_b32_e64 v34, 0x7f800000, v23, s3
	v_cvt_f16_f32_e32 v23, v34
	s_delay_alu instid0(VALU_DEP_1) | instskip(SKIP_1) | instid1(VALU_DEP_1)
	v_pack_b32_f16 v27, v23, v26
	v_sub_f32_e32 v23, v91, v89
	v_mul_f32_e32 v26, 0x3fb8aa3b, v23
	v_cmp_ngt_f32_e32 vcc_lo, 0xc2ce8ed0, v23
	s_delay_alu instid0(VALU_DEP_2) | instskip(SKIP_1) | instid1(VALU_DEP_2)
	v_fma_f32 v36, 0x3fb8aa3b, v23, -v26
	v_rndne_f32_e32 v37, v26
	v_fmac_f32_e32 v36, 0x32a5705f, v23
	s_delay_alu instid0(VALU_DEP_2) | instskip(SKIP_1) | instid1(VALU_DEP_2)
	v_sub_f32_e32 v26, v26, v37
	v_cvt_i32_f32_e32 v37, v37
	v_add_f32_e32 v26, v26, v36
	v_sub_f32_e32 v36, v90, v89
	s_delay_alu instid0(VALU_DEP_2) | instskip(NEXT) | instid1(VALU_DEP_1)
	v_exp_f32_e32 v26, v26
	v_mul_f32_e32 v38, 0x3fb8aa3b, v36
	v_cmp_ngt_f32_e64 s3, 0xc2ce8ed0, v36
	s_delay_alu instid0(VALU_DEP_2) | instskip(SKIP_1) | instid1(TRANS32_DEP_1)
	v_fma_f32 v39, 0x3fb8aa3b, v36, -v38
	v_rndne_f32_e32 v40, v38
	v_ldexp_f32 v26, v26, v37
	s_delay_alu instid0(VALU_DEP_3) | instskip(NEXT) | instid1(VALU_DEP_3)
	v_fmac_f32_e32 v39, 0x32a5705f, v36
	v_sub_f32_e32 v38, v38, v40
	s_wait_alu 0xfffd
	s_delay_alu instid0(VALU_DEP_3) | instskip(SKIP_1) | instid1(VALU_DEP_3)
	v_cndmask_b32_e32 v26, 0, v26, vcc_lo
	v_cmp_nlt_f32_e32 vcc_lo, 0x42b17218, v23
	v_add_f32_e32 v38, v38, v39
	s_delay_alu instid0(VALU_DEP_1)
	v_exp_f32_e32 v37, v38
	v_cvt_i32_f32_e32 v38, v40
	s_delay_alu instid0(TRANS32_DEP_1) | instid1(VALU_DEP_1)
	v_ldexp_f32 v37, v37, v38
	s_wait_alu 0xf1ff
	s_delay_alu instid0(VALU_DEP_1) | instskip(SKIP_4) | instid1(VALU_DEP_2)
	v_cndmask_b32_e64 v23, 0, v37, s3
	v_cmp_nlt_f32_e64 s3, 0x42b17218, v36
	s_wait_alu 0xfffd
	v_cndmask_b32_e32 v37, 0x7f800000, v26, vcc_lo
	s_wait_alu 0xf1ff
	v_cndmask_b32_e64 v36, 0x7f800000, v23, s3
	s_delay_alu instid0(VALU_DEP_2) | instskip(NEXT) | instid1(VALU_DEP_2)
	v_cvt_f16_f32_e32 v26, v37
	v_cvt_f16_f32_e32 v23, v36
	s_delay_alu instid0(VALU_DEP_1)
	v_pack_b32_f16 v26, v23, v26
	ds_load_u16 v23, v193 offset:8800
	ds_load_u16 v142, v193 offset:8832
	ds_load_u16_d16_hi v46, v193 offset:8752
	s_wait_dscnt 0x2
	ds_load_u16_d16_hi v23, v193 offset:8976
	s_wait_dscnt 0x2
	ds_load_u16_d16_hi v142, v193 offset:9008
	ds_load_u16_d16_hi v138, v193 offset:9040
	ds_load_u16 v47, v193 offset:8928
	ds_load_u16 v137, v193 offset:8512
	s_wait_dscnt 0x1
	ds_load_u16_d16_hi v47, v193 offset:9104
	ds_load_u16_d16_hi v143, v193 offset:9360
	;; [unrolled: 1-line block ×3, first 2 shown]
	v_wmma_f16_16x16x16_f16 v[16:19], v[22:25], v[26:29], v[16:19]
	v_add_f32_e32 v22, v106, v107
	s_wait_dscnt 0x3
	ds_load_u16_d16_hi v137, v193 offset:8688
	ds_load_u16_d16_hi v85, v193 offset:8720
	v_add_f32_e32 v22, v104, v22
	ds_load_u16 v139, v193 offset:9216
	s_wait_dscnt 0x3
	v_wmma_f16_16x16x16_f16 v[0:3], v[141:144], v[26:29], v[0:3]
	v_wmma_f16_16x16x16_f16 v[4:7], v[46:49], v[26:29], v[4:7]
	v_add_f32_e32 v22, v105, v22
	s_delay_alu instid0(VALU_DEP_1) | instskip(NEXT) | instid1(VALU_DEP_1)
	v_add_f32_e32 v22, v102, v22
	v_add_f32_e32 v22, v103, v22
	s_wait_dscnt 0x1
	v_wmma_f16_16x16x16_f16 v[8:11], v[85:88], v[26:29], v[8:11]
	s_delay_alu instid0(VALU_DEP_2)
	v_add_f32_e32 v22, v100, v22
	s_wait_dscnt 0x0
	ds_load_u16_d16_hi v139, v193 offset:9392
	s_wait_loadcnt_dscnt 0x0
	s_barrier_signal -1
	s_barrier_wait -1
	v_add_f32_e32 v22, v101, v22
	global_inv scope:SCOPE_SE
	v_add_f32_e32 v22, v76, v22
	s_delay_alu instid0(VALU_DEP_1) | instskip(NEXT) | instid1(VALU_DEP_1)
	v_add_f32_e32 v22, v77, v22
	v_add_f32_e32 v22, v74, v22
	v_wmma_f16_16x16x16_f16 v[12:15], v[137:140], v[26:29], v[12:15]
	s_delay_alu instid0(VALU_DEP_2) | instskip(NEXT) | instid1(VALU_DEP_1)
	v_add_f32_e32 v22, v75, v22
	v_add_f32_e32 v22, v70, v22
	s_delay_alu instid0(VALU_DEP_1) | instskip(NEXT) | instid1(VALU_DEP_1)
	v_add_f32_e32 v22, v73, v22
	v_add_f32_e32 v22, v71, v22
	s_delay_alu instid0(VALU_DEP_1) | instskip(NEXT) | instid1(VALU_DEP_1)
	;; [unrolled: 3-line block ×10, first 2 shown]
	v_add_f32_e32 v20, v32, v20
	v_fmac_f32_e32 v20, v209, v99
	ds_bpermute_b32 v21, v92, v20
	s_wait_dscnt 0x0
	v_add_f32_e32 v20, v20, v21
	s_cbranch_scc1 .LBB9_291
; %bb.290:                              ;   in Loop: Header=BB9_9 Depth=1
	scratch_load_b32 v21, off, off offset:72 ; 4-byte Folded Reload
	v_max_num_f32_e32 v22, v89, v89
	s_wait_loadcnt 0x0
	v_lshlrev_b32_e32 v21, 2, v21
	global_load_b32 v21, v21, s[74:75]
	s_wait_loadcnt 0x0
	v_max_num_f32_e32 v23, v21, v21
	s_delay_alu instid0(VALU_DEP_1) | instskip(NEXT) | instid1(VALU_DEP_1)
	v_max_num_f32_e32 v22, v22, v23
	v_sub_f32_e32 v23, v89, v22
	v_sub_f32_e32 v21, v21, v22
	s_delay_alu instid0(VALU_DEP_2) | instskip(NEXT) | instid1(VALU_DEP_1)
	v_dual_mov_b32 v89, v22 :: v_dual_mul_f32 v24, 0x3fb8aa3b, v23
	v_fma_f32 v25, 0x3fb8aa3b, v23, -v24
	v_rndne_f32_e32 v26, v24
	s_delay_alu instid0(VALU_DEP_1) | instskip(SKIP_1) | instid1(VALU_DEP_2)
	v_dual_fmac_f32 v25, 0x32a5705f, v23 :: v_dual_sub_f32 v24, v24, v26
	v_cvt_i32_f32_e32 v26, v26
	v_add_f32_e32 v24, v24, v25
	v_cmp_ngt_f32_e32 vcc_lo, 0xc2ce8ed0, v23
	s_delay_alu instid0(VALU_DEP_2) | instskip(NEXT) | instid1(TRANS32_DEP_1)
	v_exp_f32_e32 v24, v24
	v_ldexp_f32 v24, v24, v26
	s_wait_alu 0xfffd
	s_delay_alu instid0(VALU_DEP_1) | instskip(SKIP_1) | instid1(VALU_DEP_2)
	v_dual_mul_f32 v25, 0x3fb8aa3b, v21 :: v_dual_cndmask_b32 v24, 0, v24
	v_cmp_nlt_f32_e32 vcc_lo, 0x42b17218, v23
	v_fma_f32 v27, 0x3fb8aa3b, v21, -v25
	v_rndne_f32_e32 v28, v25
	s_wait_alu 0xfffd
	v_cndmask_b32_e32 v24, 0x7f800000, v24, vcc_lo
	v_cmp_le_f32_e32 vcc_lo, 0xc1a00000, v23
	s_delay_alu instid0(VALU_DEP_3)
	v_sub_f32_e32 v25, v25, v28
	v_cvt_i32_f32_e32 v26, v28
	s_wait_alu 0xfffd
	v_cndmask_b32_e32 v23, 0, v24, vcc_lo
	v_cmp_ngt_f32_e32 vcc_lo, 0xc2ce8ed0, v21
	v_fmac_f32_e32 v27, 0x32a5705f, v21
	s_delay_alu instid0(VALU_DEP_1) | instskip(NEXT) | instid1(VALU_DEP_1)
	v_add_f32_e32 v25, v25, v27
	v_exp_f32_e32 v25, v25
	s_delay_alu instid0(TRANS32_DEP_1) | instskip(SKIP_1) | instid1(VALU_DEP_1)
	v_ldexp_f32 v24, v25, v26
	s_wait_alu 0xfffd
	v_cndmask_b32_e32 v24, 0, v24, vcc_lo
	v_cmp_nlt_f32_e32 vcc_lo, 0x42b17218, v21
	s_wait_alu 0xfffd
	s_delay_alu instid0(VALU_DEP_2) | instskip(NEXT) | instid1(VALU_DEP_1)
	v_cndmask_b32_e32 v21, 0x7f800000, v24, vcc_lo
	v_fmac_f32_e32 v21, v20, v23
	s_delay_alu instid0(VALU_DEP_1) | instskip(SKIP_1) | instid1(VALU_DEP_1)
	v_mov_b32_e32 v20, v21
	v_cvt_f16_f32_e32 v25, v23
	v_and_b32_e32 v25, 0xffff, v25
	s_delay_alu instid0(VALU_DEP_1) | instskip(NEXT) | instid1(VALU_DEP_1)
	v_mul_u32_u24_e32 v24, 0x10001, v25
	v_pk_mul_f16 v16, v16, v24
	v_pk_mul_f16 v17, v17, v24
	;; [unrolled: 1-line block ×20, first 2 shown]
.LBB9_291:                              ;   in Loop: Header=BB9_9 Depth=1
	scratch_load_b64 v[22:23], off, off offset:20 ; 8-byte Folded Reload
	s_mov_b32 s3, exec_lo
	s_wait_loadcnt 0x0
	scratch_load_b64 v[23:24], off, off offset:60 ; 8-byte Folded Reload
	s_wait_alu 0xfffe
	s_and_b32 s4, s3, s2
	s_wait_alu 0xfffe
	s_mov_b32 exec_lo, s4
	s_cbranch_execz .LBB9_293
; %bb.292:                              ;   in Loop: Header=BB9_9 Depth=1
	scratch_load_b32 v21, off, off offset:280 ; 4-byte Folded Reload
	s_wait_loadcnt 0x0
	ds_store_2addr_b32 v21, v89, v20 offset0:40 offset1:41
.LBB9_293:                              ;   in Loop: Header=BB9_9 Depth=1
	s_or_b32 exec_lo, exec_lo, s3
	v_add_nc_u32_e32 v20, v163, v182
	s_wait_loadcnt_dscnt 0x0
	s_barrier_signal -1
	s_barrier_wait -1
	global_inv scope:SCOPE_SE
	ds_store_2addr_b32 v20, v16, v17 offset1:1
	ds_store_2addr_b32 v20, v18, v19 offset0:2 offset1:3
	ds_store_2addr_b32 v20, v0, v1 offset0:8 offset1:9
	;; [unrolled: 1-line block ×9, first 2 shown]
	v_mov_b32_e32 v0, 50
	s_wait_loadcnt_dscnt 0x0
	s_barrier_signal -1
	s_barrier_wait -1
	global_inv scope:SCOPE_SE
	s_and_saveexec_b32 s4, s59
	s_cbranch_execz .LBB9_295
; %bb.294:                              ;   in Loop: Header=BB9_9 Depth=1
	scratch_load_b32 v1, off, off offset:284 ; 4-byte Folded Reload
	s_wait_loadcnt 0x0
	v_add_nc_u32_e32 v0, v1, v176
	ds_load_b32 v0, v0
	ds_load_b32 v3, v1 offset:164
	s_wait_dscnt 0x1
	v_lshrrev_b32_e32 v1, 16, v0
	v_cvt_f32_f16_e32 v0, v0
	s_delay_alu instid0(VALU_DEP_2) | instskip(NEXT) | instid1(VALU_DEP_2)
	v_cvt_f32_f16_e32 v1, v1
	v_add_f32_e32 v2, 0, v0
	s_wait_dscnt 0x0
	s_delay_alu instid0(VALU_DEP_1) | instskip(NEXT) | instid1(VALU_DEP_1)
	v_div_scale_f32 v5, null, v3, v3, v2
	v_rcp_f32_e32 v7, v5
	s_delay_alu instid0(TRANS32_DEP_1) | instskip(NEXT) | instid1(VALU_DEP_1)
	v_fma_f32 v0, -v5, v7, 1.0
	v_fmac_f32_e32 v7, v0, v7
	v_div_scale_f32 v9, vcc_lo, v2, v3, v2
	s_delay_alu instid0(VALU_DEP_1) | instskip(NEXT) | instid1(VALU_DEP_1)
	v_dual_add_f32 v4, 0, v1 :: v_dual_mul_f32 v11, v9, v7
	v_div_scale_f32 v6, null, v3, v3, v4
	v_div_scale_f32 v10, s3, v4, v3, v4
	s_delay_alu instid0(VALU_DEP_3) | instskip(NEXT) | instid1(VALU_DEP_3)
	v_fma_f32 v13, -v5, v11, v9
	v_rcp_f32_e32 v8, v6
	s_delay_alu instid0(VALU_DEP_1) | instskip(NEXT) | instid1(VALU_DEP_1)
	v_fmac_f32_e32 v11, v13, v7
	v_fma_f32 v5, -v5, v11, v9
	s_delay_alu instid0(TRANS32_DEP_1) | instskip(SKIP_1) | instid1(VALU_DEP_2)
	v_fma_f32 v1, -v6, v8, 1.0
	s_wait_alu 0xfffd
	v_div_fmas_f32 v5, v5, v7, v11
	s_delay_alu instid0(VALU_DEP_2)
	v_fmac_f32_e32 v8, v1, v8
	v_mad_co_u64_u32 v[0:1], null, v158, s25, v[229:230]
	s_mov_b32 vcc_lo, s3
	v_div_fixup_f32 v2, v5, v3, v2
	v_mul_f32_e32 v12, v10, v8
	v_mad_co_u64_u32 v[0:1], null, v0, 40, v[246:247]
	s_delay_alu instid0(VALU_DEP_2) | instskip(NEXT) | instid1(VALU_DEP_1)
	v_fma_f32 v14, -v6, v12, v10
	v_fmac_f32_e32 v12, v14, v8
	s_delay_alu instid0(VALU_DEP_3) | instskip(NEXT) | instid1(VALU_DEP_2)
	v_ashrrev_i32_e32 v1, 31, v0
	v_fma_f32 v6, -v6, v12, v10
	s_delay_alu instid0(VALU_DEP_2) | instskip(SKIP_1) | instid1(VALU_DEP_2)
	v_lshlrev_b64_e32 v[0:1], 3, v[0:1]
	s_wait_alu 0xfffe
	v_div_fmas_f32 v6, v6, v8, v12
	s_delay_alu instid0(VALU_DEP_1) | instskip(NEXT) | instid1(VALU_DEP_3)
	v_div_fixup_f32 v3, v6, v3, v4
	v_add_co_u32 v4, vcc_lo, s72, v0
	s_wait_alu 0xfffd
	v_add_co_ci_u32_e64 v5, null, s73, v1, vcc_lo
	v_mov_b32_e32 v0, 0
	global_store_b64 v[4:5], v[2:3], off
.LBB9_295:                              ;   in Loop: Header=BB9_9 Depth=1
	s_wait_alu 0xfffe
	s_or_b32 exec_lo, exec_lo, s4
	s_mov_b32 s3, -1
	s_mov_b32 s4, exec_lo
	v_cmpx_gt_i32_e32 50, v0
; %bb.296:                              ;   in Loop: Header=BB9_9 Depth=1
	v_cmp_eq_u32_e32 vcc_lo, 0, v0
	s_or_not1_b32 s3, vcc_lo, exec_lo
; %bb.297:                              ;   in Loop: Header=BB9_9 Depth=1
	s_wait_alu 0xfffe
	s_or_b32 exec_lo, exec_lo, s4
	s_and_saveexec_b32 s4, s3
	s_cbranch_execz .LBB9_370
; %bb.298:                              ;   in Loop: Header=BB9_9 Depth=1
	v_mov_b32_e32 v0, 50
	s_and_saveexec_b32 s5, s58
	s_cbranch_execz .LBB9_300
; %bb.299:                              ;   in Loop: Header=BB9_9 Depth=1
	scratch_load_b32 v1, off, off offset:364 ; 4-byte Folded Reload
	s_wait_loadcnt 0x0
	v_add_nc_u32_e32 v0, v1, v176
	ds_load_b32 v0, v0
	ds_load_b32 v3, v1 offset:164
	s_wait_dscnt 0x1
	v_lshrrev_b32_e32 v1, 16, v0
	v_cvt_f32_f16_e32 v0, v0
	s_delay_alu instid0(VALU_DEP_2) | instskip(NEXT) | instid1(VALU_DEP_2)
	v_cvt_f32_f16_e32 v1, v1
	v_add_f32_e32 v2, 0, v0
	s_wait_dscnt 0x0
	s_delay_alu instid0(VALU_DEP_1) | instskip(NEXT) | instid1(VALU_DEP_1)
	v_div_scale_f32 v5, null, v3, v3, v2
	v_rcp_f32_e32 v7, v5
	s_delay_alu instid0(TRANS32_DEP_1) | instskip(NEXT) | instid1(VALU_DEP_1)
	v_fma_f32 v0, -v5, v7, 1.0
	v_fmac_f32_e32 v7, v0, v7
	v_div_scale_f32 v9, vcc_lo, v2, v3, v2
	s_delay_alu instid0(VALU_DEP_1) | instskip(NEXT) | instid1(VALU_DEP_1)
	v_dual_add_f32 v4, 0, v1 :: v_dual_mul_f32 v11, v9, v7
	v_div_scale_f32 v6, null, v3, v3, v4
	v_div_scale_f32 v10, s3, v4, v3, v4
	s_delay_alu instid0(VALU_DEP_3) | instskip(NEXT) | instid1(VALU_DEP_3)
	v_fma_f32 v13, -v5, v11, v9
	v_rcp_f32_e32 v8, v6
	s_delay_alu instid0(VALU_DEP_1) | instskip(NEXT) | instid1(VALU_DEP_1)
	v_fmac_f32_e32 v11, v13, v7
	v_fma_f32 v5, -v5, v11, v9
	s_delay_alu instid0(TRANS32_DEP_1) | instskip(SKIP_1) | instid1(VALU_DEP_2)
	v_fma_f32 v1, -v6, v8, 1.0
	s_wait_alu 0xfffd
	v_div_fmas_f32 v5, v5, v7, v11
	s_delay_alu instid0(VALU_DEP_2)
	v_fmac_f32_e32 v8, v1, v8
	v_mad_co_u64_u32 v[0:1], null, v157, s25, v[229:230]
	s_mov_b32 vcc_lo, s3
	v_div_fixup_f32 v2, v5, v3, v2
	v_mul_f32_e32 v12, v10, v8
	v_mad_co_u64_u32 v[0:1], null, v0, 40, v[246:247]
	s_delay_alu instid0(VALU_DEP_2) | instskip(NEXT) | instid1(VALU_DEP_1)
	v_fma_f32 v14, -v6, v12, v10
	v_fmac_f32_e32 v12, v14, v8
	s_delay_alu instid0(VALU_DEP_3) | instskip(NEXT) | instid1(VALU_DEP_2)
	v_ashrrev_i32_e32 v1, 31, v0
	v_fma_f32 v6, -v6, v12, v10
	s_delay_alu instid0(VALU_DEP_2) | instskip(SKIP_1) | instid1(VALU_DEP_2)
	v_lshlrev_b64_e32 v[0:1], 3, v[0:1]
	s_wait_alu 0xfffe
	v_div_fmas_f32 v6, v6, v8, v12
	s_delay_alu instid0(VALU_DEP_1) | instskip(NEXT) | instid1(VALU_DEP_3)
	v_div_fixup_f32 v3, v6, v3, v4
	v_add_co_u32 v4, vcc_lo, s72, v0
	s_wait_alu 0xfffd
	v_add_co_ci_u32_e64 v5, null, s73, v1, vcc_lo
	v_mov_b32_e32 v0, 0
	global_store_b64 v[4:5], v[2:3], off
.LBB9_300:                              ;   in Loop: Header=BB9_9 Depth=1
	s_wait_alu 0xfffe
	s_or_b32 exec_lo, exec_lo, s5
	s_mov_b32 s3, -1
	s_mov_b32 s5, exec_lo
	v_cmpx_gt_i32_e32 50, v0
; %bb.301:                              ;   in Loop: Header=BB9_9 Depth=1
	v_cmp_eq_u32_e32 vcc_lo, 0, v0
	s_or_not1_b32 s3, vcc_lo, exec_lo
; %bb.302:                              ;   in Loop: Header=BB9_9 Depth=1
	s_wait_alu 0xfffe
	s_or_b32 exec_lo, exec_lo, s5
	s_delay_alu instid0(SALU_CYCLE_1)
	s_and_b32 exec_lo, exec_lo, s3
	s_cbranch_execz .LBB9_370
; %bb.303:                              ;   in Loop: Header=BB9_9 Depth=1
	v_mov_b32_e32 v0, 50
	s_and_saveexec_b32 s5, s45
	s_cbranch_execz .LBB9_305
; %bb.304:                              ;   in Loop: Header=BB9_9 Depth=1
	scratch_load_b32 v1, off, off offset:380 ; 4-byte Folded Reload
	s_wait_loadcnt 0x0
	v_add_nc_u32_e32 v0, v1, v176
	ds_load_b32 v0, v0
	ds_load_b32 v3, v1 offset:164
	s_wait_dscnt 0x1
	v_lshrrev_b32_e32 v1, 16, v0
	v_cvt_f32_f16_e32 v0, v0
	s_delay_alu instid0(VALU_DEP_2) | instskip(NEXT) | instid1(VALU_DEP_2)
	v_cvt_f32_f16_e32 v1, v1
	v_add_f32_e32 v2, 0, v0
	s_wait_dscnt 0x0
	s_delay_alu instid0(VALU_DEP_1) | instskip(NEXT) | instid1(VALU_DEP_1)
	v_div_scale_f32 v5, null, v3, v3, v2
	v_rcp_f32_e32 v7, v5
	s_delay_alu instid0(TRANS32_DEP_1) | instskip(NEXT) | instid1(VALU_DEP_1)
	v_fma_f32 v0, -v5, v7, 1.0
	v_fmac_f32_e32 v7, v0, v7
	v_div_scale_f32 v9, vcc_lo, v2, v3, v2
	s_delay_alu instid0(VALU_DEP_1) | instskip(NEXT) | instid1(VALU_DEP_1)
	v_dual_add_f32 v4, 0, v1 :: v_dual_mul_f32 v11, v9, v7
	v_div_scale_f32 v6, null, v3, v3, v4
	v_div_scale_f32 v10, s3, v4, v3, v4
	s_delay_alu instid0(VALU_DEP_3) | instskip(NEXT) | instid1(VALU_DEP_3)
	v_fma_f32 v13, -v5, v11, v9
	v_rcp_f32_e32 v8, v6
	s_delay_alu instid0(VALU_DEP_1) | instskip(NEXT) | instid1(VALU_DEP_1)
	v_fmac_f32_e32 v11, v13, v7
	v_fma_f32 v5, -v5, v11, v9
	s_delay_alu instid0(TRANS32_DEP_1) | instskip(SKIP_1) | instid1(VALU_DEP_2)
	v_fma_f32 v1, -v6, v8, 1.0
	s_wait_alu 0xfffd
	v_div_fmas_f32 v5, v5, v7, v11
	s_delay_alu instid0(VALU_DEP_2)
	v_fmac_f32_e32 v8, v1, v8
	v_mad_co_u64_u32 v[0:1], null, v179, s25, v[229:230]
	s_mov_b32 vcc_lo, s3
	v_div_fixup_f32 v2, v5, v3, v2
	v_mul_f32_e32 v12, v10, v8
	v_mad_co_u64_u32 v[0:1], null, v0, 40, v[246:247]
	s_delay_alu instid0(VALU_DEP_2) | instskip(NEXT) | instid1(VALU_DEP_1)
	v_fma_f32 v14, -v6, v12, v10
	v_fmac_f32_e32 v12, v14, v8
	s_delay_alu instid0(VALU_DEP_3) | instskip(NEXT) | instid1(VALU_DEP_2)
	v_ashrrev_i32_e32 v1, 31, v0
	v_fma_f32 v6, -v6, v12, v10
	s_delay_alu instid0(VALU_DEP_2) | instskip(SKIP_1) | instid1(VALU_DEP_2)
	v_lshlrev_b64_e32 v[0:1], 3, v[0:1]
	s_wait_alu 0xfffe
	v_div_fmas_f32 v6, v6, v8, v12
	s_delay_alu instid0(VALU_DEP_1) | instskip(NEXT) | instid1(VALU_DEP_3)
	v_div_fixup_f32 v3, v6, v3, v4
	v_add_co_u32 v4, vcc_lo, s72, v0
	s_wait_alu 0xfffd
	v_add_co_ci_u32_e64 v5, null, s73, v1, vcc_lo
	v_mov_b32_e32 v0, 0
	global_store_b64 v[4:5], v[2:3], off
.LBB9_305:                              ;   in Loop: Header=BB9_9 Depth=1
	s_wait_alu 0xfffe
	s_or_b32 exec_lo, exec_lo, s5
	s_mov_b32 s3, -1
	s_mov_b32 s5, exec_lo
	v_cmpx_gt_i32_e32 50, v0
; %bb.306:                              ;   in Loop: Header=BB9_9 Depth=1
	v_cmp_eq_u32_e32 vcc_lo, 0, v0
	s_or_not1_b32 s3, vcc_lo, exec_lo
; %bb.307:                              ;   in Loop: Header=BB9_9 Depth=1
	s_wait_alu 0xfffe
	s_or_b32 exec_lo, exec_lo, s5
	s_delay_alu instid0(SALU_CYCLE_1)
	s_and_b32 exec_lo, exec_lo, s3
	s_cbranch_execz .LBB9_370
; %bb.308:                              ;   in Loop: Header=BB9_9 Depth=1
	v_mov_b32_e32 v0, 50
	s_and_saveexec_b32 s5, s99
	s_cbranch_execz .LBB9_310
; %bb.309:                              ;   in Loop: Header=BB9_9 Depth=1
	scratch_load_b32 v1, off, off offset:396 ; 4-byte Folded Reload
	s_wait_loadcnt 0x0
	v_add_nc_u32_e32 v0, v1, v176
	ds_load_b32 v0, v0
	ds_load_b32 v3, v1 offset:164
	s_wait_dscnt 0x1
	v_lshrrev_b32_e32 v1, 16, v0
	v_cvt_f32_f16_e32 v0, v0
	s_delay_alu instid0(VALU_DEP_2) | instskip(NEXT) | instid1(VALU_DEP_2)
	v_cvt_f32_f16_e32 v1, v1
	v_add_f32_e32 v2, 0, v0
	s_wait_dscnt 0x0
	s_delay_alu instid0(VALU_DEP_1) | instskip(NEXT) | instid1(VALU_DEP_1)
	v_div_scale_f32 v5, null, v3, v3, v2
	v_rcp_f32_e32 v7, v5
	s_delay_alu instid0(TRANS32_DEP_1) | instskip(NEXT) | instid1(VALU_DEP_1)
	v_fma_f32 v0, -v5, v7, 1.0
	v_fmac_f32_e32 v7, v0, v7
	v_div_scale_f32 v9, vcc_lo, v2, v3, v2
	s_delay_alu instid0(VALU_DEP_1) | instskip(NEXT) | instid1(VALU_DEP_1)
	v_dual_add_f32 v4, 0, v1 :: v_dual_mul_f32 v11, v9, v7
	v_div_scale_f32 v6, null, v3, v3, v4
	v_div_scale_f32 v10, s3, v4, v3, v4
	s_delay_alu instid0(VALU_DEP_3) | instskip(NEXT) | instid1(VALU_DEP_3)
	v_fma_f32 v13, -v5, v11, v9
	v_rcp_f32_e32 v8, v6
	s_delay_alu instid0(VALU_DEP_1) | instskip(NEXT) | instid1(VALU_DEP_1)
	v_fmac_f32_e32 v11, v13, v7
	v_fma_f32 v5, -v5, v11, v9
	s_delay_alu instid0(TRANS32_DEP_1) | instskip(SKIP_1) | instid1(VALU_DEP_2)
	v_fma_f32 v1, -v6, v8, 1.0
	s_wait_alu 0xfffd
	v_div_fmas_f32 v5, v5, v7, v11
	s_delay_alu instid0(VALU_DEP_2)
	v_fmac_f32_e32 v8, v1, v8
	v_mad_co_u64_u32 v[0:1], null, v135, s25, v[229:230]
	s_mov_b32 vcc_lo, s3
	v_div_fixup_f32 v2, v5, v3, v2
	v_mul_f32_e32 v12, v10, v8
	v_mad_co_u64_u32 v[0:1], null, v0, 40, v[246:247]
	s_delay_alu instid0(VALU_DEP_2) | instskip(NEXT) | instid1(VALU_DEP_1)
	v_fma_f32 v14, -v6, v12, v10
	v_fmac_f32_e32 v12, v14, v8
	s_delay_alu instid0(VALU_DEP_3) | instskip(NEXT) | instid1(VALU_DEP_2)
	v_ashrrev_i32_e32 v1, 31, v0
	v_fma_f32 v6, -v6, v12, v10
	s_delay_alu instid0(VALU_DEP_2) | instskip(SKIP_1) | instid1(VALU_DEP_2)
	v_lshlrev_b64_e32 v[0:1], 3, v[0:1]
	s_wait_alu 0xfffe
	v_div_fmas_f32 v6, v6, v8, v12
	s_delay_alu instid0(VALU_DEP_1) | instskip(NEXT) | instid1(VALU_DEP_3)
	v_div_fixup_f32 v3, v6, v3, v4
	v_add_co_u32 v4, vcc_lo, s72, v0
	s_wait_alu 0xfffd
	v_add_co_ci_u32_e64 v5, null, s73, v1, vcc_lo
	v_mov_b32_e32 v0, 0
	global_store_b64 v[4:5], v[2:3], off
.LBB9_310:                              ;   in Loop: Header=BB9_9 Depth=1
	s_wait_alu 0xfffe
	s_or_b32 exec_lo, exec_lo, s5
	s_mov_b32 s3, -1
	s_mov_b32 s5, exec_lo
	v_cmpx_gt_i32_e32 50, v0
; %bb.311:                              ;   in Loop: Header=BB9_9 Depth=1
	v_cmp_eq_u32_e32 vcc_lo, 0, v0
	s_or_not1_b32 s3, vcc_lo, exec_lo
; %bb.312:                              ;   in Loop: Header=BB9_9 Depth=1
	s_wait_alu 0xfffe
	s_or_b32 exec_lo, exec_lo, s5
	s_delay_alu instid0(SALU_CYCLE_1)
	s_and_b32 exec_lo, exec_lo, s3
	s_cbranch_execz .LBB9_370
; %bb.313:                              ;   in Loop: Header=BB9_9 Depth=1
	v_mov_b32_e32 v0, 50
	s_and_saveexec_b32 s5, s50
	s_cbranch_execz .LBB9_315
; %bb.314:                              ;   in Loop: Header=BB9_9 Depth=1
	scratch_load_b32 v1, off, off offset:404 ; 4-byte Folded Reload
	s_wait_loadcnt 0x0
	v_add_nc_u32_e32 v0, v1, v176
	ds_load_b32 v0, v0
	ds_load_b32 v3, v1 offset:164
	s_wait_dscnt 0x1
	v_lshrrev_b32_e32 v1, 16, v0
	v_cvt_f32_f16_e32 v0, v0
	s_delay_alu instid0(VALU_DEP_2) | instskip(NEXT) | instid1(VALU_DEP_2)
	v_cvt_f32_f16_e32 v1, v1
	v_add_f32_e32 v2, 0, v0
	s_wait_dscnt 0x0
	s_delay_alu instid0(VALU_DEP_1) | instskip(NEXT) | instid1(VALU_DEP_1)
	v_div_scale_f32 v5, null, v3, v3, v2
	v_rcp_f32_e32 v7, v5
	s_delay_alu instid0(TRANS32_DEP_1) | instskip(NEXT) | instid1(VALU_DEP_1)
	v_fma_f32 v0, -v5, v7, 1.0
	v_fmac_f32_e32 v7, v0, v7
	v_div_scale_f32 v9, vcc_lo, v2, v3, v2
	s_delay_alu instid0(VALU_DEP_1) | instskip(NEXT) | instid1(VALU_DEP_1)
	v_dual_add_f32 v4, 0, v1 :: v_dual_mul_f32 v11, v9, v7
	v_div_scale_f32 v6, null, v3, v3, v4
	v_div_scale_f32 v10, s3, v4, v3, v4
	s_delay_alu instid0(VALU_DEP_3) | instskip(NEXT) | instid1(VALU_DEP_3)
	v_fma_f32 v13, -v5, v11, v9
	v_rcp_f32_e32 v8, v6
	s_delay_alu instid0(VALU_DEP_1) | instskip(NEXT) | instid1(VALU_DEP_1)
	v_fmac_f32_e32 v11, v13, v7
	v_fma_f32 v5, -v5, v11, v9
	s_delay_alu instid0(TRANS32_DEP_1) | instskip(SKIP_1) | instid1(VALU_DEP_2)
	v_fma_f32 v1, -v6, v8, 1.0
	s_wait_alu 0xfffd
	v_div_fmas_f32 v5, v5, v7, v11
	s_delay_alu instid0(VALU_DEP_2)
	v_fmac_f32_e32 v8, v1, v8
	v_mad_co_u64_u32 v[0:1], null, v159, s25, v[229:230]
	s_mov_b32 vcc_lo, s3
	v_div_fixup_f32 v2, v5, v3, v2
	v_mul_f32_e32 v12, v10, v8
	v_mad_co_u64_u32 v[0:1], null, v0, 40, v[246:247]
	s_delay_alu instid0(VALU_DEP_2) | instskip(NEXT) | instid1(VALU_DEP_1)
	v_fma_f32 v14, -v6, v12, v10
	v_fmac_f32_e32 v12, v14, v8
	s_delay_alu instid0(VALU_DEP_3) | instskip(NEXT) | instid1(VALU_DEP_2)
	v_ashrrev_i32_e32 v1, 31, v0
	v_fma_f32 v6, -v6, v12, v10
	s_delay_alu instid0(VALU_DEP_2) | instskip(SKIP_1) | instid1(VALU_DEP_2)
	v_lshlrev_b64_e32 v[0:1], 3, v[0:1]
	s_wait_alu 0xfffe
	v_div_fmas_f32 v6, v6, v8, v12
	s_delay_alu instid0(VALU_DEP_1) | instskip(NEXT) | instid1(VALU_DEP_3)
	v_div_fixup_f32 v3, v6, v3, v4
	v_add_co_u32 v4, vcc_lo, s72, v0
	s_wait_alu 0xfffd
	v_add_co_ci_u32_e64 v5, null, s73, v1, vcc_lo
	v_mov_b32_e32 v0, 0
	global_store_b64 v[4:5], v[2:3], off
.LBB9_315:                              ;   in Loop: Header=BB9_9 Depth=1
	s_wait_alu 0xfffe
	s_or_b32 exec_lo, exec_lo, s5
	s_mov_b32 s3, -1
	s_mov_b32 s5, exec_lo
	v_cmpx_gt_i32_e32 50, v0
; %bb.316:                              ;   in Loop: Header=BB9_9 Depth=1
	v_cmp_eq_u32_e32 vcc_lo, 0, v0
	s_or_not1_b32 s3, vcc_lo, exec_lo
; %bb.317:                              ;   in Loop: Header=BB9_9 Depth=1
	s_wait_alu 0xfffe
	s_or_b32 exec_lo, exec_lo, s5
	s_delay_alu instid0(SALU_CYCLE_1)
	s_and_b32 exec_lo, exec_lo, s3
	s_cbranch_execz .LBB9_370
; %bb.318:                              ;   in Loop: Header=BB9_9 Depth=1
	v_mov_b32_e32 v0, 50
	s_and_saveexec_b32 s5, s30
	s_cbranch_execz .LBB9_320
; %bb.319:                              ;   in Loop: Header=BB9_9 Depth=1
	scratch_load_b32 v1, off, off offset:408 ; 4-byte Folded Reload
	s_wait_loadcnt 0x0
	v_add_nc_u32_e32 v0, v1, v176
	ds_load_b32 v0, v0
	ds_load_b32 v3, v1 offset:164
	s_wait_dscnt 0x1
	v_lshrrev_b32_e32 v1, 16, v0
	v_cvt_f32_f16_e32 v0, v0
	s_delay_alu instid0(VALU_DEP_2) | instskip(NEXT) | instid1(VALU_DEP_2)
	v_cvt_f32_f16_e32 v1, v1
	v_add_f32_e32 v2, 0, v0
	s_wait_dscnt 0x0
	s_delay_alu instid0(VALU_DEP_1) | instskip(NEXT) | instid1(VALU_DEP_1)
	v_div_scale_f32 v5, null, v3, v3, v2
	v_rcp_f32_e32 v7, v5
	s_delay_alu instid0(TRANS32_DEP_1) | instskip(NEXT) | instid1(VALU_DEP_1)
	v_fma_f32 v0, -v5, v7, 1.0
	v_fmac_f32_e32 v7, v0, v7
	v_div_scale_f32 v9, vcc_lo, v2, v3, v2
	s_delay_alu instid0(VALU_DEP_1) | instskip(NEXT) | instid1(VALU_DEP_1)
	v_dual_add_f32 v4, 0, v1 :: v_dual_mul_f32 v11, v9, v7
	v_div_scale_f32 v6, null, v3, v3, v4
	v_div_scale_f32 v10, s3, v4, v3, v4
	s_delay_alu instid0(VALU_DEP_3) | instskip(NEXT) | instid1(VALU_DEP_3)
	v_fma_f32 v13, -v5, v11, v9
	v_rcp_f32_e32 v8, v6
	s_delay_alu instid0(VALU_DEP_1) | instskip(NEXT) | instid1(VALU_DEP_1)
	v_fmac_f32_e32 v11, v13, v7
	v_fma_f32 v5, -v5, v11, v9
	s_delay_alu instid0(TRANS32_DEP_1) | instskip(SKIP_1) | instid1(VALU_DEP_2)
	v_fma_f32 v1, -v6, v8, 1.0
	s_wait_alu 0xfffd
	v_div_fmas_f32 v5, v5, v7, v11
	s_delay_alu instid0(VALU_DEP_2)
	v_fmac_f32_e32 v8, v1, v8
	v_mad_co_u64_u32 v[0:1], null, v241, s25, v[229:230]
	s_mov_b32 vcc_lo, s3
	v_div_fixup_f32 v2, v5, v3, v2
	v_mul_f32_e32 v12, v10, v8
	v_mad_co_u64_u32 v[0:1], null, v0, 40, v[246:247]
	s_delay_alu instid0(VALU_DEP_2) | instskip(NEXT) | instid1(VALU_DEP_1)
	v_fma_f32 v14, -v6, v12, v10
	v_fmac_f32_e32 v12, v14, v8
	s_delay_alu instid0(VALU_DEP_3) | instskip(NEXT) | instid1(VALU_DEP_2)
	v_ashrrev_i32_e32 v1, 31, v0
	v_fma_f32 v6, -v6, v12, v10
	s_delay_alu instid0(VALU_DEP_2) | instskip(SKIP_1) | instid1(VALU_DEP_2)
	v_lshlrev_b64_e32 v[0:1], 3, v[0:1]
	s_wait_alu 0xfffe
	v_div_fmas_f32 v6, v6, v8, v12
	s_delay_alu instid0(VALU_DEP_1) | instskip(NEXT) | instid1(VALU_DEP_3)
	v_div_fixup_f32 v3, v6, v3, v4
	v_add_co_u32 v4, vcc_lo, s72, v0
	s_wait_alu 0xfffd
	v_add_co_ci_u32_e64 v5, null, s73, v1, vcc_lo
	v_mov_b32_e32 v0, 0
	global_store_b64 v[4:5], v[2:3], off
.LBB9_320:                              ;   in Loop: Header=BB9_9 Depth=1
	s_wait_alu 0xfffe
	s_or_b32 exec_lo, exec_lo, s5
	s_mov_b32 s3, -1
	s_mov_b32 s5, exec_lo
	v_cmpx_gt_i32_e32 50, v0
; %bb.321:                              ;   in Loop: Header=BB9_9 Depth=1
	v_cmp_eq_u32_e32 vcc_lo, 0, v0
	s_or_not1_b32 s3, vcc_lo, exec_lo
; %bb.322:                              ;   in Loop: Header=BB9_9 Depth=1
	s_wait_alu 0xfffe
	s_or_b32 exec_lo, exec_lo, s5
	s_delay_alu instid0(SALU_CYCLE_1)
	s_and_b32 exec_lo, exec_lo, s3
	s_cbranch_execz .LBB9_370
; %bb.323:                              ;   in Loop: Header=BB9_9 Depth=1
	v_mov_b32_e32 v0, 50
	s_and_saveexec_b32 s5, vcc_hi
	s_cbranch_execz .LBB9_325
; %bb.324:                              ;   in Loop: Header=BB9_9 Depth=1
	scratch_load_b32 v1, off, off offset:412 ; 4-byte Folded Reload
	s_wait_loadcnt 0x0
	v_add_nc_u32_e32 v0, v1, v176
	ds_load_b32 v0, v0
	ds_load_b32 v3, v1 offset:164
	s_wait_dscnt 0x1
	v_lshrrev_b32_e32 v1, 16, v0
	v_cvt_f32_f16_e32 v0, v0
	s_delay_alu instid0(VALU_DEP_2) | instskip(NEXT) | instid1(VALU_DEP_2)
	v_cvt_f32_f16_e32 v1, v1
	v_add_f32_e32 v2, 0, v0
	s_wait_dscnt 0x0
	s_delay_alu instid0(VALU_DEP_1) | instskip(NEXT) | instid1(VALU_DEP_1)
	v_div_scale_f32 v5, null, v3, v3, v2
	v_rcp_f32_e32 v7, v5
	s_delay_alu instid0(TRANS32_DEP_1) | instskip(NEXT) | instid1(VALU_DEP_1)
	v_fma_f32 v0, -v5, v7, 1.0
	v_fmac_f32_e32 v7, v0, v7
	v_div_scale_f32 v9, vcc_lo, v2, v3, v2
	s_delay_alu instid0(VALU_DEP_1) | instskip(NEXT) | instid1(VALU_DEP_1)
	v_dual_add_f32 v4, 0, v1 :: v_dual_mul_f32 v11, v9, v7
	v_div_scale_f32 v6, null, v3, v3, v4
	v_div_scale_f32 v10, s3, v4, v3, v4
	s_delay_alu instid0(VALU_DEP_3) | instskip(NEXT) | instid1(VALU_DEP_3)
	v_fma_f32 v13, -v5, v11, v9
	v_rcp_f32_e32 v8, v6
	s_delay_alu instid0(VALU_DEP_1) | instskip(NEXT) | instid1(VALU_DEP_1)
	v_fmac_f32_e32 v11, v13, v7
	v_fma_f32 v5, -v5, v11, v9
	s_delay_alu instid0(TRANS32_DEP_1) | instskip(SKIP_1) | instid1(VALU_DEP_2)
	v_fma_f32 v1, -v6, v8, 1.0
	s_wait_alu 0xfffd
	v_div_fmas_f32 v5, v5, v7, v11
	s_delay_alu instid0(VALU_DEP_2)
	v_fmac_f32_e32 v8, v1, v8
	v_mad_co_u64_u32 v[0:1], null, v243, s25, v[229:230]
	s_mov_b32 vcc_lo, s3
	v_div_fixup_f32 v2, v5, v3, v2
	v_mul_f32_e32 v12, v10, v8
	v_mad_co_u64_u32 v[0:1], null, v0, 40, v[246:247]
	s_delay_alu instid0(VALU_DEP_2) | instskip(NEXT) | instid1(VALU_DEP_1)
	v_fma_f32 v14, -v6, v12, v10
	v_fmac_f32_e32 v12, v14, v8
	s_delay_alu instid0(VALU_DEP_3) | instskip(NEXT) | instid1(VALU_DEP_2)
	v_ashrrev_i32_e32 v1, 31, v0
	v_fma_f32 v6, -v6, v12, v10
	s_delay_alu instid0(VALU_DEP_2) | instskip(SKIP_1) | instid1(VALU_DEP_2)
	v_lshlrev_b64_e32 v[0:1], 3, v[0:1]
	s_wait_alu 0xfffe
	v_div_fmas_f32 v6, v6, v8, v12
	s_delay_alu instid0(VALU_DEP_1) | instskip(NEXT) | instid1(VALU_DEP_3)
	v_div_fixup_f32 v3, v6, v3, v4
	v_add_co_u32 v4, vcc_lo, s72, v0
	s_wait_alu 0xfffd
	v_add_co_ci_u32_e64 v5, null, s73, v1, vcc_lo
	v_mov_b32_e32 v0, 0
	global_store_b64 v[4:5], v[2:3], off
.LBB9_325:                              ;   in Loop: Header=BB9_9 Depth=1
	s_wait_alu 0xfffe
	s_or_b32 exec_lo, exec_lo, s5
	s_mov_b32 s3, -1
	s_mov_b32 s5, exec_lo
	v_cmpx_gt_i32_e32 50, v0
; %bb.326:                              ;   in Loop: Header=BB9_9 Depth=1
	v_cmp_eq_u32_e32 vcc_lo, 0, v0
	s_or_not1_b32 s3, vcc_lo, exec_lo
; %bb.327:                              ;   in Loop: Header=BB9_9 Depth=1
	s_wait_alu 0xfffe
	s_or_b32 exec_lo, exec_lo, s5
	s_delay_alu instid0(SALU_CYCLE_1)
	s_and_b32 exec_lo, exec_lo, s3
	s_cbranch_execz .LBB9_370
; %bb.328:                              ;   in Loop: Header=BB9_9 Depth=1
	v_mov_b32_e32 v0, 50
	s_and_saveexec_b32 s5, s43
	s_cbranch_execz .LBB9_330
; %bb.329:                              ;   in Loop: Header=BB9_9 Depth=1
	scratch_load_b32 v1, off, off offset:416 ; 4-byte Folded Reload
	s_wait_loadcnt 0x0
	v_add_nc_u32_e32 v0, v1, v176
	ds_load_b32 v0, v0
	ds_load_b32 v3, v1 offset:164
	s_wait_dscnt 0x1
	v_lshrrev_b32_e32 v1, 16, v0
	v_cvt_f32_f16_e32 v0, v0
	s_delay_alu instid0(VALU_DEP_2) | instskip(NEXT) | instid1(VALU_DEP_2)
	v_cvt_f32_f16_e32 v1, v1
	v_add_f32_e32 v2, 0, v0
	s_wait_dscnt 0x0
	s_delay_alu instid0(VALU_DEP_1) | instskip(NEXT) | instid1(VALU_DEP_1)
	v_div_scale_f32 v5, null, v3, v3, v2
	v_rcp_f32_e32 v7, v5
	s_delay_alu instid0(TRANS32_DEP_1) | instskip(NEXT) | instid1(VALU_DEP_1)
	v_fma_f32 v0, -v5, v7, 1.0
	v_fmac_f32_e32 v7, v0, v7
	v_div_scale_f32 v9, vcc_lo, v2, v3, v2
	s_delay_alu instid0(VALU_DEP_1) | instskip(NEXT) | instid1(VALU_DEP_1)
	v_dual_add_f32 v4, 0, v1 :: v_dual_mul_f32 v11, v9, v7
	v_div_scale_f32 v6, null, v3, v3, v4
	v_div_scale_f32 v10, s3, v4, v3, v4
	s_delay_alu instid0(VALU_DEP_3) | instskip(NEXT) | instid1(VALU_DEP_3)
	v_fma_f32 v13, -v5, v11, v9
	v_rcp_f32_e32 v8, v6
	s_delay_alu instid0(VALU_DEP_1) | instskip(NEXT) | instid1(VALU_DEP_1)
	v_fmac_f32_e32 v11, v13, v7
	v_fma_f32 v5, -v5, v11, v9
	s_delay_alu instid0(TRANS32_DEP_1) | instskip(SKIP_1) | instid1(VALU_DEP_2)
	v_fma_f32 v1, -v6, v8, 1.0
	s_wait_alu 0xfffd
	v_div_fmas_f32 v5, v5, v7, v11
	s_delay_alu instid0(VALU_DEP_2)
	v_fmac_f32_e32 v8, v1, v8
	v_mad_co_u64_u32 v[0:1], null, v245, s25, v[229:230]
	s_mov_b32 vcc_lo, s3
	v_div_fixup_f32 v2, v5, v3, v2
	v_mul_f32_e32 v12, v10, v8
	v_mad_co_u64_u32 v[0:1], null, v0, 40, v[246:247]
	s_delay_alu instid0(VALU_DEP_2) | instskip(NEXT) | instid1(VALU_DEP_1)
	v_fma_f32 v14, -v6, v12, v10
	v_fmac_f32_e32 v12, v14, v8
	s_delay_alu instid0(VALU_DEP_3) | instskip(NEXT) | instid1(VALU_DEP_2)
	v_ashrrev_i32_e32 v1, 31, v0
	v_fma_f32 v6, -v6, v12, v10
	s_delay_alu instid0(VALU_DEP_2) | instskip(SKIP_1) | instid1(VALU_DEP_2)
	v_lshlrev_b64_e32 v[0:1], 3, v[0:1]
	s_wait_alu 0xfffe
	v_div_fmas_f32 v6, v6, v8, v12
	s_delay_alu instid0(VALU_DEP_1) | instskip(NEXT) | instid1(VALU_DEP_3)
	v_div_fixup_f32 v3, v6, v3, v4
	v_add_co_u32 v4, vcc_lo, s72, v0
	s_wait_alu 0xfffd
	v_add_co_ci_u32_e64 v5, null, s73, v1, vcc_lo
	v_mov_b32_e32 v0, 0
	global_store_b64 v[4:5], v[2:3], off
.LBB9_330:                              ;   in Loop: Header=BB9_9 Depth=1
	s_wait_alu 0xfffe
	s_or_b32 exec_lo, exec_lo, s5
	s_mov_b32 s3, -1
	s_mov_b32 s5, exec_lo
	v_cmpx_gt_i32_e32 50, v0
; %bb.331:                              ;   in Loop: Header=BB9_9 Depth=1
	v_cmp_eq_u32_e32 vcc_lo, 0, v0
	s_or_not1_b32 s3, vcc_lo, exec_lo
; %bb.332:                              ;   in Loop: Header=BB9_9 Depth=1
	s_wait_alu 0xfffe
	s_or_b32 exec_lo, exec_lo, s5
	s_delay_alu instid0(SALU_CYCLE_1)
	s_and_b32 exec_lo, exec_lo, s3
	s_cbranch_execz .LBB9_370
; %bb.333:                              ;   in Loop: Header=BB9_9 Depth=1
	v_mov_b32_e32 v0, 50
	s_and_saveexec_b32 s5, s42
	s_cbranch_execz .LBB9_335
; %bb.334:                              ;   in Loop: Header=BB9_9 Depth=1
	scratch_load_b32 v1, off, off offset:424 ; 4-byte Folded Reload
	s_wait_loadcnt 0x0
	v_add_nc_u32_e32 v0, v1, v176
	ds_load_b32 v0, v0
	ds_load_b32 v3, v1 offset:164
	s_wait_dscnt 0x1
	v_lshrrev_b32_e32 v1, 16, v0
	v_cvt_f32_f16_e32 v0, v0
	s_delay_alu instid0(VALU_DEP_2) | instskip(NEXT) | instid1(VALU_DEP_2)
	v_cvt_f32_f16_e32 v1, v1
	v_add_f32_e32 v2, 0, v0
	s_wait_dscnt 0x0
	s_delay_alu instid0(VALU_DEP_1) | instskip(NEXT) | instid1(VALU_DEP_1)
	v_div_scale_f32 v5, null, v3, v3, v2
	v_rcp_f32_e32 v7, v5
	s_delay_alu instid0(TRANS32_DEP_1) | instskip(NEXT) | instid1(VALU_DEP_1)
	v_fma_f32 v0, -v5, v7, 1.0
	v_fmac_f32_e32 v7, v0, v7
	v_div_scale_f32 v9, vcc_lo, v2, v3, v2
	s_delay_alu instid0(VALU_DEP_1) | instskip(NEXT) | instid1(VALU_DEP_1)
	v_dual_add_f32 v4, 0, v1 :: v_dual_mul_f32 v11, v9, v7
	v_div_scale_f32 v6, null, v3, v3, v4
	v_div_scale_f32 v10, s3, v4, v3, v4
	s_delay_alu instid0(VALU_DEP_3) | instskip(NEXT) | instid1(VALU_DEP_3)
	v_fma_f32 v13, -v5, v11, v9
	v_rcp_f32_e32 v8, v6
	s_delay_alu instid0(VALU_DEP_1) | instskip(NEXT) | instid1(VALU_DEP_1)
	v_fmac_f32_e32 v11, v13, v7
	v_fma_f32 v5, -v5, v11, v9
	s_delay_alu instid0(TRANS32_DEP_1) | instskip(SKIP_1) | instid1(VALU_DEP_2)
	v_fma_f32 v1, -v6, v8, 1.0
	s_wait_alu 0xfffd
	v_div_fmas_f32 v5, v5, v7, v11
	s_delay_alu instid0(VALU_DEP_2)
	v_fmac_f32_e32 v8, v1, v8
	v_mad_co_u64_u32 v[0:1], null, v187, s25, v[229:230]
	s_mov_b32 vcc_lo, s3
	v_div_fixup_f32 v2, v5, v3, v2
	v_mul_f32_e32 v12, v10, v8
	v_mad_co_u64_u32 v[0:1], null, v0, 40, v[246:247]
	s_delay_alu instid0(VALU_DEP_2) | instskip(NEXT) | instid1(VALU_DEP_1)
	v_fma_f32 v14, -v6, v12, v10
	v_fmac_f32_e32 v12, v14, v8
	s_delay_alu instid0(VALU_DEP_3) | instskip(NEXT) | instid1(VALU_DEP_2)
	v_ashrrev_i32_e32 v1, 31, v0
	v_fma_f32 v6, -v6, v12, v10
	s_delay_alu instid0(VALU_DEP_2) | instskip(SKIP_1) | instid1(VALU_DEP_2)
	v_lshlrev_b64_e32 v[0:1], 3, v[0:1]
	s_wait_alu 0xfffe
	v_div_fmas_f32 v6, v6, v8, v12
	s_delay_alu instid0(VALU_DEP_1) | instskip(NEXT) | instid1(VALU_DEP_3)
	v_div_fixup_f32 v3, v6, v3, v4
	v_add_co_u32 v4, vcc_lo, s72, v0
	s_wait_alu 0xfffd
	v_add_co_ci_u32_e64 v5, null, s73, v1, vcc_lo
	v_mov_b32_e32 v0, 0
	global_store_b64 v[4:5], v[2:3], off
.LBB9_335:                              ;   in Loop: Header=BB9_9 Depth=1
	s_wait_alu 0xfffe
	s_or_b32 exec_lo, exec_lo, s5
	s_mov_b32 s3, -1
	s_mov_b32 s5, exec_lo
	v_cmpx_gt_i32_e32 50, v0
; %bb.336:                              ;   in Loop: Header=BB9_9 Depth=1
	v_cmp_eq_u32_e32 vcc_lo, 0, v0
	s_or_not1_b32 s3, vcc_lo, exec_lo
; %bb.337:                              ;   in Loop: Header=BB9_9 Depth=1
	s_wait_alu 0xfffe
	s_or_b32 exec_lo, exec_lo, s5
	s_delay_alu instid0(SALU_CYCLE_1)
	s_and_b32 exec_lo, exec_lo, s3
	s_cbranch_execz .LBB9_370
; %bb.338:                              ;   in Loop: Header=BB9_9 Depth=1
	v_mov_b32_e32 v0, 50
	s_and_saveexec_b32 s5, s41
	s_cbranch_execz .LBB9_340
; %bb.339:                              ;   in Loop: Header=BB9_9 Depth=1
	scratch_load_b32 v1, off, off offset:428 ; 4-byte Folded Reload
	s_wait_loadcnt 0x0
	v_add_nc_u32_e32 v0, v1, v176
	ds_load_b32 v0, v0
	ds_load_b32 v3, v1 offset:164
	s_wait_dscnt 0x1
	v_lshrrev_b32_e32 v1, 16, v0
	v_cvt_f32_f16_e32 v0, v0
	s_delay_alu instid0(VALU_DEP_2) | instskip(NEXT) | instid1(VALU_DEP_2)
	v_cvt_f32_f16_e32 v1, v1
	v_add_f32_e32 v2, 0, v0
	s_wait_dscnt 0x0
	s_delay_alu instid0(VALU_DEP_1) | instskip(NEXT) | instid1(VALU_DEP_1)
	v_div_scale_f32 v5, null, v3, v3, v2
	v_rcp_f32_e32 v7, v5
	s_delay_alu instid0(TRANS32_DEP_1) | instskip(NEXT) | instid1(VALU_DEP_1)
	v_fma_f32 v0, -v5, v7, 1.0
	v_fmac_f32_e32 v7, v0, v7
	v_div_scale_f32 v9, vcc_lo, v2, v3, v2
	s_delay_alu instid0(VALU_DEP_1) | instskip(NEXT) | instid1(VALU_DEP_1)
	v_dual_add_f32 v4, 0, v1 :: v_dual_mul_f32 v11, v9, v7
	v_div_scale_f32 v6, null, v3, v3, v4
	v_div_scale_f32 v10, s3, v4, v3, v4
	s_delay_alu instid0(VALU_DEP_3) | instskip(NEXT) | instid1(VALU_DEP_3)
	v_fma_f32 v13, -v5, v11, v9
	v_rcp_f32_e32 v8, v6
	s_delay_alu instid0(VALU_DEP_1) | instskip(NEXT) | instid1(VALU_DEP_1)
	v_fmac_f32_e32 v11, v13, v7
	v_fma_f32 v5, -v5, v11, v9
	s_delay_alu instid0(TRANS32_DEP_1) | instskip(SKIP_1) | instid1(VALU_DEP_2)
	v_fma_f32 v1, -v6, v8, 1.0
	s_wait_alu 0xfffd
	v_div_fmas_f32 v5, v5, v7, v11
	s_delay_alu instid0(VALU_DEP_2)
	v_fmac_f32_e32 v8, v1, v8
	v_mad_co_u64_u32 v[0:1], null, v214, s25, v[229:230]
	s_mov_b32 vcc_lo, s3
	v_div_fixup_f32 v2, v5, v3, v2
	v_mul_f32_e32 v12, v10, v8
	v_mad_co_u64_u32 v[0:1], null, v0, 40, v[246:247]
	s_delay_alu instid0(VALU_DEP_2) | instskip(NEXT) | instid1(VALU_DEP_1)
	v_fma_f32 v14, -v6, v12, v10
	v_fmac_f32_e32 v12, v14, v8
	s_delay_alu instid0(VALU_DEP_3) | instskip(NEXT) | instid1(VALU_DEP_2)
	v_ashrrev_i32_e32 v1, 31, v0
	v_fma_f32 v6, -v6, v12, v10
	s_delay_alu instid0(VALU_DEP_2) | instskip(SKIP_1) | instid1(VALU_DEP_2)
	v_lshlrev_b64_e32 v[0:1], 3, v[0:1]
	s_wait_alu 0xfffe
	v_div_fmas_f32 v6, v6, v8, v12
	s_delay_alu instid0(VALU_DEP_1) | instskip(NEXT) | instid1(VALU_DEP_3)
	v_div_fixup_f32 v3, v6, v3, v4
	v_add_co_u32 v4, vcc_lo, s72, v0
	s_wait_alu 0xfffd
	v_add_co_ci_u32_e64 v5, null, s73, v1, vcc_lo
	v_mov_b32_e32 v0, 0
	global_store_b64 v[4:5], v[2:3], off
.LBB9_340:                              ;   in Loop: Header=BB9_9 Depth=1
	s_wait_alu 0xfffe
	s_or_b32 exec_lo, exec_lo, s5
	s_mov_b32 s3, -1
	s_mov_b32 s5, exec_lo
	v_cmpx_gt_i32_e32 50, v0
; %bb.341:                              ;   in Loop: Header=BB9_9 Depth=1
	v_cmp_eq_u32_e32 vcc_lo, 0, v0
	s_or_not1_b32 s3, vcc_lo, exec_lo
; %bb.342:                              ;   in Loop: Header=BB9_9 Depth=1
	s_wait_alu 0xfffe
	s_or_b32 exec_lo, exec_lo, s5
	s_delay_alu instid0(SALU_CYCLE_1)
	s_and_b32 exec_lo, exec_lo, s3
	s_cbranch_execz .LBB9_370
; %bb.343:                              ;   in Loop: Header=BB9_9 Depth=1
	v_mov_b32_e32 v0, 50
	s_and_saveexec_b32 s5, s40
	s_cbranch_execz .LBB9_345
; %bb.344:                              ;   in Loop: Header=BB9_9 Depth=1
	scratch_load_b32 v1, off, off offset:432 ; 4-byte Folded Reload
	s_wait_loadcnt 0x0
	v_add_nc_u32_e32 v0, v1, v176
	ds_load_b32 v0, v0
	ds_load_b32 v3, v1 offset:164
	s_wait_dscnt 0x1
	v_lshrrev_b32_e32 v1, 16, v0
	v_cvt_f32_f16_e32 v0, v0
	s_delay_alu instid0(VALU_DEP_2) | instskip(NEXT) | instid1(VALU_DEP_2)
	v_cvt_f32_f16_e32 v1, v1
	v_add_f32_e32 v2, 0, v0
	s_wait_dscnt 0x0
	s_delay_alu instid0(VALU_DEP_1) | instskip(NEXT) | instid1(VALU_DEP_1)
	v_div_scale_f32 v5, null, v3, v3, v2
	v_rcp_f32_e32 v7, v5
	s_delay_alu instid0(TRANS32_DEP_1) | instskip(NEXT) | instid1(VALU_DEP_1)
	v_fma_f32 v0, -v5, v7, 1.0
	v_fmac_f32_e32 v7, v0, v7
	v_div_scale_f32 v9, vcc_lo, v2, v3, v2
	s_delay_alu instid0(VALU_DEP_1) | instskip(NEXT) | instid1(VALU_DEP_1)
	v_dual_add_f32 v4, 0, v1 :: v_dual_mul_f32 v11, v9, v7
	v_div_scale_f32 v6, null, v3, v3, v4
	v_div_scale_f32 v10, s3, v4, v3, v4
	s_delay_alu instid0(VALU_DEP_3) | instskip(NEXT) | instid1(VALU_DEP_3)
	v_fma_f32 v13, -v5, v11, v9
	v_rcp_f32_e32 v8, v6
	s_delay_alu instid0(VALU_DEP_1) | instskip(NEXT) | instid1(VALU_DEP_1)
	v_fmac_f32_e32 v11, v13, v7
	v_fma_f32 v5, -v5, v11, v9
	s_delay_alu instid0(TRANS32_DEP_1) | instskip(SKIP_1) | instid1(VALU_DEP_2)
	v_fma_f32 v1, -v6, v8, 1.0
	s_wait_alu 0xfffd
	v_div_fmas_f32 v5, v5, v7, v11
	s_delay_alu instid0(VALU_DEP_2)
	v_fmac_f32_e32 v8, v1, v8
	v_mad_co_u64_u32 v[0:1], null, v111, s25, v[229:230]
	s_mov_b32 vcc_lo, s3
	v_div_fixup_f32 v2, v5, v3, v2
	v_mul_f32_e32 v12, v10, v8
	v_mad_co_u64_u32 v[0:1], null, v0, 40, v[246:247]
	s_delay_alu instid0(VALU_DEP_2) | instskip(NEXT) | instid1(VALU_DEP_1)
	v_fma_f32 v14, -v6, v12, v10
	v_fmac_f32_e32 v12, v14, v8
	s_delay_alu instid0(VALU_DEP_3) | instskip(NEXT) | instid1(VALU_DEP_2)
	v_ashrrev_i32_e32 v1, 31, v0
	v_fma_f32 v6, -v6, v12, v10
	s_delay_alu instid0(VALU_DEP_2) | instskip(SKIP_1) | instid1(VALU_DEP_2)
	v_lshlrev_b64_e32 v[0:1], 3, v[0:1]
	s_wait_alu 0xfffe
	v_div_fmas_f32 v6, v6, v8, v12
	s_delay_alu instid0(VALU_DEP_1) | instskip(NEXT) | instid1(VALU_DEP_3)
	v_div_fixup_f32 v3, v6, v3, v4
	v_add_co_u32 v4, vcc_lo, s72, v0
	s_wait_alu 0xfffd
	v_add_co_ci_u32_e64 v5, null, s73, v1, vcc_lo
	v_mov_b32_e32 v0, 0
	global_store_b64 v[4:5], v[2:3], off
.LBB9_345:                              ;   in Loop: Header=BB9_9 Depth=1
	s_wait_alu 0xfffe
	s_or_b32 exec_lo, exec_lo, s5
	s_mov_b32 s3, -1
	s_mov_b32 s5, exec_lo
	v_cmpx_gt_i32_e32 50, v0
; %bb.346:                              ;   in Loop: Header=BB9_9 Depth=1
	v_cmp_eq_u32_e32 vcc_lo, 0, v0
	s_or_not1_b32 s3, vcc_lo, exec_lo
; %bb.347:                              ;   in Loop: Header=BB9_9 Depth=1
	s_wait_alu 0xfffe
	s_or_b32 exec_lo, exec_lo, s5
	s_delay_alu instid0(SALU_CYCLE_1)
	s_and_b32 exec_lo, exec_lo, s3
	s_cbranch_execz .LBB9_370
; %bb.348:                              ;   in Loop: Header=BB9_9 Depth=1
	v_mov_b32_e32 v0, 50
	s_and_saveexec_b32 s5, s51
	s_cbranch_execz .LBB9_350
; %bb.349:                              ;   in Loop: Header=BB9_9 Depth=1
	scratch_load_b32 v1, off, off offset:436 ; 4-byte Folded Reload
	s_wait_loadcnt 0x0
	v_add_nc_u32_e32 v0, v1, v176
	ds_load_b32 v0, v0
	ds_load_b32 v3, v1 offset:164
	s_wait_dscnt 0x1
	v_lshrrev_b32_e32 v1, 16, v0
	v_cvt_f32_f16_e32 v0, v0
	s_delay_alu instid0(VALU_DEP_2) | instskip(NEXT) | instid1(VALU_DEP_2)
	v_cvt_f32_f16_e32 v1, v1
	v_add_f32_e32 v2, 0, v0
	s_wait_dscnt 0x0
	s_delay_alu instid0(VALU_DEP_1) | instskip(NEXT) | instid1(VALU_DEP_1)
	v_div_scale_f32 v5, null, v3, v3, v2
	v_rcp_f32_e32 v7, v5
	s_delay_alu instid0(TRANS32_DEP_1) | instskip(NEXT) | instid1(VALU_DEP_1)
	v_fma_f32 v0, -v5, v7, 1.0
	v_fmac_f32_e32 v7, v0, v7
	v_div_scale_f32 v9, vcc_lo, v2, v3, v2
	s_delay_alu instid0(VALU_DEP_1) | instskip(NEXT) | instid1(VALU_DEP_1)
	v_dual_add_f32 v4, 0, v1 :: v_dual_mul_f32 v11, v9, v7
	v_div_scale_f32 v6, null, v3, v3, v4
	v_div_scale_f32 v10, s3, v4, v3, v4
	s_delay_alu instid0(VALU_DEP_3) | instskip(NEXT) | instid1(VALU_DEP_3)
	v_fma_f32 v13, -v5, v11, v9
	v_rcp_f32_e32 v8, v6
	s_delay_alu instid0(VALU_DEP_1) | instskip(NEXT) | instid1(VALU_DEP_1)
	v_fmac_f32_e32 v11, v13, v7
	v_fma_f32 v5, -v5, v11, v9
	s_delay_alu instid0(TRANS32_DEP_1) | instskip(SKIP_1) | instid1(VALU_DEP_2)
	v_fma_f32 v1, -v6, v8, 1.0
	s_wait_alu 0xfffd
	v_div_fmas_f32 v5, v5, v7, v11
	s_delay_alu instid0(VALU_DEP_2)
	v_fmac_f32_e32 v8, v1, v8
	v_mad_co_u64_u32 v[0:1], null, v110, s25, v[229:230]
	s_mov_b32 vcc_lo, s3
	v_div_fixup_f32 v2, v5, v3, v2
	v_mul_f32_e32 v12, v10, v8
	v_mad_co_u64_u32 v[0:1], null, v0, 40, v[246:247]
	s_delay_alu instid0(VALU_DEP_2) | instskip(NEXT) | instid1(VALU_DEP_1)
	v_fma_f32 v14, -v6, v12, v10
	v_fmac_f32_e32 v12, v14, v8
	s_delay_alu instid0(VALU_DEP_3) | instskip(NEXT) | instid1(VALU_DEP_2)
	v_ashrrev_i32_e32 v1, 31, v0
	v_fma_f32 v6, -v6, v12, v10
	s_delay_alu instid0(VALU_DEP_2) | instskip(SKIP_1) | instid1(VALU_DEP_2)
	v_lshlrev_b64_e32 v[0:1], 3, v[0:1]
	s_wait_alu 0xfffe
	v_div_fmas_f32 v6, v6, v8, v12
	s_delay_alu instid0(VALU_DEP_1) | instskip(NEXT) | instid1(VALU_DEP_3)
	v_div_fixup_f32 v3, v6, v3, v4
	v_add_co_u32 v4, vcc_lo, s72, v0
	s_wait_alu 0xfffd
	v_add_co_ci_u32_e64 v5, null, s73, v1, vcc_lo
	v_mov_b32_e32 v0, 0
	global_store_b64 v[4:5], v[2:3], off
.LBB9_350:                              ;   in Loop: Header=BB9_9 Depth=1
	s_wait_alu 0xfffe
	s_or_b32 exec_lo, exec_lo, s5
	s_mov_b32 s3, -1
	s_mov_b32 s5, exec_lo
	v_cmpx_gt_i32_e32 50, v0
; %bb.351:                              ;   in Loop: Header=BB9_9 Depth=1
	v_cmp_eq_u32_e32 vcc_lo, 0, v0
	s_or_not1_b32 s3, vcc_lo, exec_lo
; %bb.352:                              ;   in Loop: Header=BB9_9 Depth=1
	s_wait_alu 0xfffe
	s_or_b32 exec_lo, exec_lo, s5
	s_delay_alu instid0(SALU_CYCLE_1)
	s_and_b32 exec_lo, exec_lo, s3
	s_cbranch_execz .LBB9_370
; %bb.353:                              ;   in Loop: Header=BB9_9 Depth=1
	v_mov_b32_e32 v0, 50
	s_and_saveexec_b32 s5, s0
	s_cbranch_execz .LBB9_355
; %bb.354:                              ;   in Loop: Header=BB9_9 Depth=1
	scratch_load_b32 v1, off, off offset:444 ; 4-byte Folded Reload
	s_wait_loadcnt 0x0
	v_add_nc_u32_e32 v0, v1, v176
	ds_load_b32 v0, v0
	ds_load_b32 v3, v1 offset:164
	s_wait_dscnt 0x1
	v_lshrrev_b32_e32 v1, 16, v0
	v_cvt_f32_f16_e32 v0, v0
	s_delay_alu instid0(VALU_DEP_2) | instskip(NEXT) | instid1(VALU_DEP_2)
	v_cvt_f32_f16_e32 v1, v1
	v_add_f32_e32 v2, 0, v0
	s_wait_dscnt 0x0
	s_delay_alu instid0(VALU_DEP_1) | instskip(NEXT) | instid1(VALU_DEP_1)
	v_div_scale_f32 v5, null, v3, v3, v2
	v_rcp_f32_e32 v7, v5
	s_delay_alu instid0(TRANS32_DEP_1) | instskip(NEXT) | instid1(VALU_DEP_1)
	v_fma_f32 v0, -v5, v7, 1.0
	v_fmac_f32_e32 v7, v0, v7
	v_div_scale_f32 v9, vcc_lo, v2, v3, v2
	s_delay_alu instid0(VALU_DEP_1) | instskip(NEXT) | instid1(VALU_DEP_1)
	v_dual_add_f32 v4, 0, v1 :: v_dual_mul_f32 v11, v9, v7
	v_div_scale_f32 v6, null, v3, v3, v4
	v_div_scale_f32 v10, s3, v4, v3, v4
	s_delay_alu instid0(VALU_DEP_3) | instskip(NEXT) | instid1(VALU_DEP_3)
	v_fma_f32 v13, -v5, v11, v9
	v_rcp_f32_e32 v8, v6
	s_delay_alu instid0(VALU_DEP_1) | instskip(NEXT) | instid1(VALU_DEP_1)
	v_fmac_f32_e32 v11, v13, v7
	v_fma_f32 v5, -v5, v11, v9
	s_delay_alu instid0(TRANS32_DEP_1) | instskip(SKIP_1) | instid1(VALU_DEP_2)
	v_fma_f32 v1, -v6, v8, 1.0
	s_wait_alu 0xfffd
	v_div_fmas_f32 v5, v5, v7, v11
	s_delay_alu instid0(VALU_DEP_2)
	v_fmac_f32_e32 v8, v1, v8
	v_mad_co_u64_u32 v[0:1], null, v226, s25, v[229:230]
	s_mov_b32 vcc_lo, s3
	v_div_fixup_f32 v2, v5, v3, v2
	v_mul_f32_e32 v12, v10, v8
	v_mad_co_u64_u32 v[0:1], null, v0, 40, v[246:247]
	s_delay_alu instid0(VALU_DEP_2) | instskip(NEXT) | instid1(VALU_DEP_1)
	v_fma_f32 v14, -v6, v12, v10
	v_fmac_f32_e32 v12, v14, v8
	s_delay_alu instid0(VALU_DEP_3) | instskip(NEXT) | instid1(VALU_DEP_2)
	v_ashrrev_i32_e32 v1, 31, v0
	v_fma_f32 v6, -v6, v12, v10
	s_delay_alu instid0(VALU_DEP_2) | instskip(SKIP_1) | instid1(VALU_DEP_2)
	v_lshlrev_b64_e32 v[0:1], 3, v[0:1]
	s_wait_alu 0xfffe
	v_div_fmas_f32 v6, v6, v8, v12
	s_delay_alu instid0(VALU_DEP_1) | instskip(NEXT) | instid1(VALU_DEP_3)
	v_div_fixup_f32 v3, v6, v3, v4
	v_add_co_u32 v4, vcc_lo, s72, v0
	s_wait_alu 0xfffd
	v_add_co_ci_u32_e64 v5, null, s73, v1, vcc_lo
	v_mov_b32_e32 v0, 0
	global_store_b64 v[4:5], v[2:3], off
.LBB9_355:                              ;   in Loop: Header=BB9_9 Depth=1
	s_wait_alu 0xfffe
	s_or_b32 exec_lo, exec_lo, s5
	s_mov_b32 s0, -1
	s_mov_b32 s3, exec_lo
	v_cmpx_gt_i32_e32 50, v0
; %bb.356:                              ;   in Loop: Header=BB9_9 Depth=1
	v_cmp_eq_u32_e32 vcc_lo, 0, v0
	s_or_not1_b32 s0, vcc_lo, exec_lo
; %bb.357:                              ;   in Loop: Header=BB9_9 Depth=1
	s_wait_alu 0xfffe
	s_or_b32 exec_lo, exec_lo, s3
	s_delay_alu instid0(SALU_CYCLE_1)
	s_and_b32 exec_lo, exec_lo, s0
	s_cbranch_execz .LBB9_370
; %bb.358:                              ;   in Loop: Header=BB9_9 Depth=1
	v_mov_b32_e32 v0, 50
	s_and_saveexec_b32 s0, s1
	s_cbranch_execz .LBB9_360
; %bb.359:                              ;   in Loop: Header=BB9_9 Depth=1
	scratch_load_b32 v1, off, off offset:448 ; 4-byte Folded Reload
	s_wait_loadcnt 0x0
	v_add_nc_u32_e32 v0, v1, v176
	ds_load_b32 v0, v0
	ds_load_b32 v3, v1 offset:164
	s_wait_dscnt 0x1
	v_lshrrev_b32_e32 v1, 16, v0
	v_cvt_f32_f16_e32 v0, v0
	s_delay_alu instid0(VALU_DEP_2) | instskip(NEXT) | instid1(VALU_DEP_2)
	v_cvt_f32_f16_e32 v1, v1
	v_add_f32_e32 v2, 0, v0
	s_wait_dscnt 0x0
	s_delay_alu instid0(VALU_DEP_1) | instskip(NEXT) | instid1(VALU_DEP_1)
	v_div_scale_f32 v5, null, v3, v3, v2
	v_rcp_f32_e32 v7, v5
	s_delay_alu instid0(TRANS32_DEP_1) | instskip(NEXT) | instid1(VALU_DEP_1)
	v_fma_f32 v0, -v5, v7, 1.0
	v_fmac_f32_e32 v7, v0, v7
	v_div_scale_f32 v9, vcc_lo, v2, v3, v2
	s_delay_alu instid0(VALU_DEP_1) | instskip(NEXT) | instid1(VALU_DEP_1)
	v_dual_add_f32 v4, 0, v1 :: v_dual_mul_f32 v11, v9, v7
	v_div_scale_f32 v6, null, v3, v3, v4
	v_div_scale_f32 v10, s3, v4, v3, v4
	s_delay_alu instid0(VALU_DEP_3) | instskip(NEXT) | instid1(VALU_DEP_3)
	v_fma_f32 v13, -v5, v11, v9
	v_rcp_f32_e32 v8, v6
	s_delay_alu instid0(VALU_DEP_1) | instskip(NEXT) | instid1(VALU_DEP_1)
	v_fmac_f32_e32 v11, v13, v7
	v_fma_f32 v5, -v5, v11, v9
	s_delay_alu instid0(TRANS32_DEP_1) | instskip(SKIP_1) | instid1(VALU_DEP_2)
	v_fma_f32 v1, -v6, v8, 1.0
	s_wait_alu 0xfffd
	v_div_fmas_f32 v5, v5, v7, v11
	s_delay_alu instid0(VALU_DEP_2)
	v_fmac_f32_e32 v8, v1, v8
	v_mad_co_u64_u32 v[0:1], null, v188, s25, v[229:230]
	s_mov_b32 vcc_lo, s3
	v_div_fixup_f32 v2, v5, v3, v2
	v_mul_f32_e32 v12, v10, v8
	v_mad_co_u64_u32 v[0:1], null, v0, 40, v[246:247]
	s_delay_alu instid0(VALU_DEP_2) | instskip(NEXT) | instid1(VALU_DEP_1)
	v_fma_f32 v14, -v6, v12, v10
	v_fmac_f32_e32 v12, v14, v8
	s_delay_alu instid0(VALU_DEP_3) | instskip(NEXT) | instid1(VALU_DEP_2)
	v_ashrrev_i32_e32 v1, 31, v0
	v_fma_f32 v6, -v6, v12, v10
	s_delay_alu instid0(VALU_DEP_2) | instskip(SKIP_1) | instid1(VALU_DEP_2)
	v_lshlrev_b64_e32 v[0:1], 3, v[0:1]
	s_wait_alu 0xfffe
	v_div_fmas_f32 v6, v6, v8, v12
	s_delay_alu instid0(VALU_DEP_1) | instskip(NEXT) | instid1(VALU_DEP_3)
	v_div_fixup_f32 v3, v6, v3, v4
	v_add_co_u32 v4, vcc_lo, s72, v0
	s_wait_alu 0xfffd
	v_add_co_ci_u32_e64 v5, null, s73, v1, vcc_lo
	v_mov_b32_e32 v0, 0
	global_store_b64 v[4:5], v[2:3], off
.LBB9_360:                              ;   in Loop: Header=BB9_9 Depth=1
	s_wait_alu 0xfffe
	s_or_b32 exec_lo, exec_lo, s0
	s_mov_b32 s0, -1
	s_mov_b32 s1, exec_lo
	v_cmpx_gt_i32_e32 50, v0
; %bb.361:                              ;   in Loop: Header=BB9_9 Depth=1
	v_cmp_eq_u32_e32 vcc_lo, 0, v0
	s_or_not1_b32 s0, vcc_lo, exec_lo
; %bb.362:                              ;   in Loop: Header=BB9_9 Depth=1
	s_wait_alu 0xfffe
	s_or_b32 exec_lo, exec_lo, s1
	s_delay_alu instid0(SALU_CYCLE_1)
	s_and_b32 exec_lo, exec_lo, s0
	s_cbranch_execz .LBB9_370
; %bb.363:                              ;   in Loop: Header=BB9_9 Depth=1
	v_mov_b32_e32 v0, 50
	s_and_saveexec_b32 s0, s44
	s_cbranch_execz .LBB9_365
; %bb.364:                              ;   in Loop: Header=BB9_9 Depth=1
	scratch_load_b32 v1, off, off offset:452 ; 4-byte Folded Reload
	s_wait_loadcnt 0x0
	v_add_nc_u32_e32 v0, v1, v176
	ds_load_b32 v0, v0
	ds_load_b32 v3, v1 offset:164
	s_wait_dscnt 0x1
	v_lshrrev_b32_e32 v1, 16, v0
	v_cvt_f32_f16_e32 v0, v0
	s_delay_alu instid0(VALU_DEP_2) | instskip(NEXT) | instid1(VALU_DEP_2)
	v_cvt_f32_f16_e32 v1, v1
	v_add_f32_e32 v2, 0, v0
	s_wait_dscnt 0x0
	s_delay_alu instid0(VALU_DEP_1) | instskip(NEXT) | instid1(VALU_DEP_1)
	v_div_scale_f32 v5, null, v3, v3, v2
	v_rcp_f32_e32 v7, v5
	s_delay_alu instid0(TRANS32_DEP_1) | instskip(NEXT) | instid1(VALU_DEP_1)
	v_fma_f32 v0, -v5, v7, 1.0
	v_fmac_f32_e32 v7, v0, v7
	v_div_scale_f32 v9, vcc_lo, v2, v3, v2
	s_delay_alu instid0(VALU_DEP_1) | instskip(NEXT) | instid1(VALU_DEP_1)
	v_dual_add_f32 v4, 0, v1 :: v_dual_mul_f32 v11, v9, v7
	v_div_scale_f32 v6, null, v3, v3, v4
	v_div_scale_f32 v10, s3, v4, v3, v4
	s_delay_alu instid0(VALU_DEP_3) | instskip(NEXT) | instid1(VALU_DEP_3)
	v_fma_f32 v13, -v5, v11, v9
	v_rcp_f32_e32 v8, v6
	s_delay_alu instid0(VALU_DEP_1) | instskip(NEXT) | instid1(VALU_DEP_1)
	v_fmac_f32_e32 v11, v13, v7
	v_fma_f32 v5, -v5, v11, v9
	s_delay_alu instid0(TRANS32_DEP_1) | instskip(SKIP_1) | instid1(VALU_DEP_2)
	v_fma_f32 v1, -v6, v8, 1.0
	s_wait_alu 0xfffd
	v_div_fmas_f32 v5, v5, v7, v11
	s_delay_alu instid0(VALU_DEP_2)
	v_fmac_f32_e32 v8, v1, v8
	v_mad_co_u64_u32 v[0:1], null, v134, s25, v[229:230]
	s_mov_b32 vcc_lo, s3
	v_div_fixup_f32 v2, v5, v3, v2
	v_mul_f32_e32 v12, v10, v8
	v_mad_co_u64_u32 v[0:1], null, v0, 40, v[246:247]
	s_delay_alu instid0(VALU_DEP_2) | instskip(NEXT) | instid1(VALU_DEP_1)
	v_fma_f32 v14, -v6, v12, v10
	v_fmac_f32_e32 v12, v14, v8
	s_delay_alu instid0(VALU_DEP_3) | instskip(NEXT) | instid1(VALU_DEP_2)
	v_ashrrev_i32_e32 v1, 31, v0
	v_fma_f32 v6, -v6, v12, v10
	s_delay_alu instid0(VALU_DEP_2) | instskip(SKIP_1) | instid1(VALU_DEP_2)
	v_lshlrev_b64_e32 v[0:1], 3, v[0:1]
	s_wait_alu 0xfffe
	v_div_fmas_f32 v6, v6, v8, v12
	s_delay_alu instid0(VALU_DEP_1) | instskip(NEXT) | instid1(VALU_DEP_3)
	v_div_fixup_f32 v3, v6, v3, v4
	v_add_co_u32 v4, vcc_lo, s72, v0
	s_wait_alu 0xfffd
	v_add_co_ci_u32_e64 v5, null, s73, v1, vcc_lo
	v_mov_b32_e32 v0, 0
	global_store_b64 v[4:5], v[2:3], off
.LBB9_365:                              ;   in Loop: Header=BB9_9 Depth=1
	s_wait_alu 0xfffe
	s_or_b32 exec_lo, exec_lo, s0
	s_mov_b32 s0, -1
	s_mov_b32 s1, exec_lo
	v_cmpx_gt_i32_e32 50, v0
; %bb.366:                              ;   in Loop: Header=BB9_9 Depth=1
	v_cmp_eq_u32_e32 vcc_lo, 0, v0
	s_or_not1_b32 s0, vcc_lo, exec_lo
; %bb.367:                              ;   in Loop: Header=BB9_9 Depth=1
	s_wait_alu 0xfffe
	s_or_b32 exec_lo, exec_lo, s1
	s_delay_alu instid0(SALU_CYCLE_1)
	s_and_b32 exec_lo, exec_lo, s0
	s_cbranch_execz .LBB9_370
; %bb.368:                              ;   in Loop: Header=BB9_9 Depth=1
	s_and_b32 exec_lo, exec_lo, s94
	s_cbranch_execz .LBB9_370
; %bb.369:                              ;   in Loop: Header=BB9_9 Depth=1
	scratch_load_b32 v1, off, off offset:456 ; 4-byte Folded Reload
	s_wait_loadcnt 0x0
	v_add_nc_u32_e32 v0, v1, v176
	ds_load_b32 v0, v0
	ds_load_b32 v3, v1 offset:164
	s_wait_dscnt 0x1
	v_lshrrev_b32_e32 v1, 16, v0
	v_cvt_f32_f16_e32 v0, v0
	s_delay_alu instid0(VALU_DEP_2) | instskip(NEXT) | instid1(VALU_DEP_2)
	v_cvt_f32_f16_e32 v1, v1
	v_add_f32_e32 v2, 0, v0
	s_wait_dscnt 0x0
	s_delay_alu instid0(VALU_DEP_1) | instskip(NEXT) | instid1(VALU_DEP_1)
	v_div_scale_f32 v5, null, v3, v3, v2
	v_rcp_f32_e32 v7, v5
	s_delay_alu instid0(TRANS32_DEP_1) | instskip(NEXT) | instid1(VALU_DEP_1)
	v_fma_f32 v0, -v5, v7, 1.0
	v_fmac_f32_e32 v7, v0, v7
	v_div_scale_f32 v9, vcc_lo, v2, v3, v2
	s_delay_alu instid0(VALU_DEP_1) | instskip(NEXT) | instid1(VALU_DEP_1)
	v_dual_add_f32 v4, 0, v1 :: v_dual_mul_f32 v11, v9, v7
	v_div_scale_f32 v6, null, v3, v3, v4
	v_div_scale_f32 v10, s3, v4, v3, v4
	s_delay_alu instid0(VALU_DEP_3) | instskip(NEXT) | instid1(VALU_DEP_3)
	v_fma_f32 v13, -v5, v11, v9
	v_rcp_f32_e32 v8, v6
	s_delay_alu instid0(VALU_DEP_1) | instskip(NEXT) | instid1(VALU_DEP_1)
	v_fmac_f32_e32 v11, v13, v7
	v_fma_f32 v5, -v5, v11, v9
	s_delay_alu instid0(TRANS32_DEP_1) | instskip(SKIP_1) | instid1(VALU_DEP_2)
	v_fma_f32 v1, -v6, v8, 1.0
	s_wait_alu 0xfffd
	v_div_fmas_f32 v5, v5, v7, v11
	s_delay_alu instid0(VALU_DEP_2)
	v_fmac_f32_e32 v8, v1, v8
	v_mad_co_u64_u32 v[0:1], null, v228, s25, v[229:230]
	s_mov_b32 vcc_lo, s3
	v_div_fixup_f32 v2, v5, v3, v2
	v_mul_f32_e32 v12, v10, v8
	v_mad_co_u64_u32 v[0:1], null, v0, 40, v[246:247]
	s_delay_alu instid0(VALU_DEP_2) | instskip(NEXT) | instid1(VALU_DEP_1)
	v_fma_f32 v14, -v6, v12, v10
	v_fmac_f32_e32 v12, v14, v8
	s_delay_alu instid0(VALU_DEP_3) | instskip(NEXT) | instid1(VALU_DEP_2)
	v_ashrrev_i32_e32 v1, 31, v0
	v_fma_f32 v6, -v6, v12, v10
	s_delay_alu instid0(VALU_DEP_2) | instskip(SKIP_1) | instid1(VALU_DEP_2)
	v_lshlrev_b64_e32 v[0:1], 3, v[0:1]
	s_wait_alu 0xfffe
	v_div_fmas_f32 v6, v6, v8, v12
	s_delay_alu instid0(VALU_DEP_2) | instskip(SKIP_1) | instid1(VALU_DEP_3)
	v_add_co_u32 v0, vcc_lo, s72, v0
	s_wait_alu 0xfffd
	v_add_co_ci_u32_e64 v1, null, s73, v1, vcc_lo
	s_delay_alu instid0(VALU_DEP_3)
	v_div_fixup_f32 v3, v6, v3, v4
	global_store_b64 v[0:1], v[2:3], off
.LBB9_370:                              ;   in Loop: Header=BB9_9 Depth=1
	s_wait_alu 0xfffe
	s_or_b32 exec_lo, exec_lo, s4
	v_mov_b32_e32 v0, 50
	s_and_saveexec_b32 s0, s93
	s_cbranch_execz .LBB9_372
; %bb.371:                              ;   in Loop: Header=BB9_9 Depth=1
	s_clause 0x1
	scratch_load_b32 v0, off, off offset:68
	scratch_load_b32 v1, off, off offset:260
	s_wait_loadcnt 0x1
	ds_load_b32 v0, v0 offset:128
	s_wait_loadcnt 0x0
	ds_load_b32 v3, v1 offset:164
	s_wait_dscnt 0x1
	v_lshrrev_b32_e32 v1, 16, v0
	v_cvt_f32_f16_e32 v0, v0
	s_delay_alu instid0(VALU_DEP_2) | instskip(NEXT) | instid1(VALU_DEP_2)
	v_cvt_f32_f16_e32 v1, v1
	v_add_f32_e32 v2, 0, v0
	s_wait_dscnt 0x0
	s_delay_alu instid0(VALU_DEP_1) | instskip(NEXT) | instid1(VALU_DEP_1)
	v_div_scale_f32 v5, null, v3, v3, v2
	v_rcp_f32_e32 v7, v5
	s_delay_alu instid0(TRANS32_DEP_1) | instskip(NEXT) | instid1(VALU_DEP_1)
	v_fma_f32 v0, -v5, v7, 1.0
	v_fmac_f32_e32 v7, v0, v7
	v_div_scale_f32 v9, vcc_lo, v2, v3, v2
	s_delay_alu instid0(VALU_DEP_1) | instskip(NEXT) | instid1(VALU_DEP_1)
	v_dual_add_f32 v4, 0, v1 :: v_dual_mul_f32 v11, v9, v7
	v_div_scale_f32 v6, null, v3, v3, v4
	v_div_scale_f32 v10, s3, v4, v3, v4
	s_delay_alu instid0(VALU_DEP_2) | instskip(NEXT) | instid1(TRANS32_DEP_1)
	v_rcp_f32_e32 v8, v6
	v_fma_f32 v1, -v6, v8, 1.0
	s_delay_alu instid0(VALU_DEP_1) | instskip(SKIP_2) | instid1(VALU_DEP_1)
	v_fmac_f32_e32 v8, v1, v8
	v_mad_co_u64_u32 v[0:1], null, v218, s25, v[22:23]
	v_fma_f32 v1, -v5, v11, v9
	v_dual_mul_f32 v12, v10, v8 :: v_dual_fmac_f32 v11, v1, v7
	s_delay_alu instid0(VALU_DEP_3) | instskip(NEXT) | instid1(VALU_DEP_2)
	v_mul_lo_u32 v0, v0, 40
	v_fma_f32 v13, -v6, v12, v10
	s_delay_alu instid0(VALU_DEP_3) | instskip(NEXT) | instid1(VALU_DEP_2)
	v_fma_f32 v5, -v5, v11, v9
	v_fmac_f32_e32 v12, v13, v8
	s_delay_alu instid0(VALU_DEP_4)
	v_ashrrev_i32_e32 v1, 31, v0
	v_or_b32_e32 v0, v0, v254
	s_wait_alu 0xfffd
	v_div_fmas_f32 v5, v5, v7, v11
	v_fma_f32 v6, -v6, v12, v10
	s_mov_b32 vcc_lo, s3
	v_lshlrev_b64_e32 v[0:1], 3, v[0:1]
	s_delay_alu instid0(VALU_DEP_3) | instskip(SKIP_2) | instid1(VALU_DEP_1)
	v_div_fixup_f32 v2, v5, v3, v2
	s_wait_alu 0xfffe
	v_div_fmas_f32 v6, v6, v8, v12
	v_div_fixup_f32 v3, v6, v3, v4
	s_delay_alu instid0(VALU_DEP_4)
	v_add_co_u32 v4, vcc_lo, s72, v0
	s_wait_alu 0xfffd
	v_add_co_ci_u32_e64 v5, null, s73, v1, vcc_lo
	v_mov_b32_e32 v0, 0
	global_store_b64 v[4:5], v[2:3], off offset:256
.LBB9_372:                              ;   in Loop: Header=BB9_9 Depth=1
	s_wait_alu 0xfffe
	s_or_b32 exec_lo, exec_lo, s0
	s_mov_b32 s1, -1
	s_mov_b32 s0, exec_lo
	v_cmpx_gt_i32_e32 50, v0
; %bb.373:                              ;   in Loop: Header=BB9_9 Depth=1
	v_cmp_eq_u32_e32 vcc_lo, 0, v0
	s_or_not1_b32 s1, vcc_lo, exec_lo
; %bb.374:                              ;   in Loop: Header=BB9_9 Depth=1
	s_wait_alu 0xfffe
	s_or_b32 exec_lo, exec_lo, s0
                                        ; implicit-def: $vgpr1
	s_and_saveexec_b32 s0, s1
	s_cbranch_execz .LBB9_390
; %bb.375:                              ;   in Loop: Header=BB9_9 Depth=1
	v_mov_b32_e32 v0, 50
	s_and_saveexec_b32 s1, s92
	s_cbranch_execz .LBB9_377
; %bb.376:                              ;   in Loop: Header=BB9_9 Depth=1
	s_clause 0x1
	scratch_load_b32 v0, off, off offset:360
	scratch_load_b32 v1, off, off offset:356
	s_wait_loadcnt 0x1
	ds_load_b32 v0, v0 offset:128
	s_wait_loadcnt 0x0
	ds_load_b32 v3, v1 offset:164
	s_wait_dscnt 0x1
	v_lshrrev_b32_e32 v1, 16, v0
	v_cvt_f32_f16_e32 v0, v0
	s_delay_alu instid0(VALU_DEP_2) | instskip(NEXT) | instid1(VALU_DEP_2)
	v_cvt_f32_f16_e32 v1, v1
	v_add_f32_e32 v2, 0, v0
	s_wait_dscnt 0x0
	s_delay_alu instid0(VALU_DEP_1) | instskip(NEXT) | instid1(VALU_DEP_1)
	v_div_scale_f32 v5, null, v3, v3, v2
	v_rcp_f32_e32 v7, v5
	s_delay_alu instid0(TRANS32_DEP_1) | instskip(NEXT) | instid1(VALU_DEP_1)
	v_fma_f32 v0, -v5, v7, 1.0
	v_fmac_f32_e32 v7, v0, v7
	v_div_scale_f32 v9, vcc_lo, v2, v3, v2
	s_delay_alu instid0(VALU_DEP_1) | instskip(NEXT) | instid1(VALU_DEP_1)
	v_dual_add_f32 v4, 0, v1 :: v_dual_mul_f32 v11, v9, v7
	v_div_scale_f32 v6, null, v3, v3, v4
	v_div_scale_f32 v10, s3, v4, v3, v4
	s_delay_alu instid0(VALU_DEP_2) | instskip(NEXT) | instid1(TRANS32_DEP_1)
	v_rcp_f32_e32 v8, v6
	v_fma_f32 v1, -v6, v8, 1.0
	s_delay_alu instid0(VALU_DEP_1) | instskip(SKIP_2) | instid1(VALU_DEP_1)
	v_fmac_f32_e32 v8, v1, v8
	v_mad_co_u64_u32 v[0:1], null, v217, s25, v[22:23]
	v_fma_f32 v1, -v5, v11, v9
	v_dual_mul_f32 v12, v10, v8 :: v_dual_fmac_f32 v11, v1, v7
	s_delay_alu instid0(VALU_DEP_3) | instskip(NEXT) | instid1(VALU_DEP_2)
	v_mul_lo_u32 v0, v0, 40
	v_fma_f32 v13, -v6, v12, v10
	s_delay_alu instid0(VALU_DEP_3) | instskip(NEXT) | instid1(VALU_DEP_2)
	v_fma_f32 v5, -v5, v11, v9
	v_fmac_f32_e32 v12, v13, v8
	s_delay_alu instid0(VALU_DEP_4)
	v_ashrrev_i32_e32 v1, 31, v0
	v_or_b32_e32 v0, v0, v254
	s_wait_alu 0xfffd
	v_div_fmas_f32 v5, v5, v7, v11
	v_fma_f32 v6, -v6, v12, v10
	s_mov_b32 vcc_lo, s3
	v_lshlrev_b64_e32 v[0:1], 3, v[0:1]
	s_delay_alu instid0(VALU_DEP_3) | instskip(SKIP_2) | instid1(VALU_DEP_1)
	v_div_fixup_f32 v2, v5, v3, v2
	s_wait_alu 0xfffe
	v_div_fmas_f32 v6, v6, v8, v12
	v_div_fixup_f32 v3, v6, v3, v4
	s_delay_alu instid0(VALU_DEP_4)
	v_add_co_u32 v4, vcc_lo, s72, v0
	s_wait_alu 0xfffd
	v_add_co_ci_u32_e64 v5, null, s73, v1, vcc_lo
	v_mov_b32_e32 v0, 0
	global_store_b64 v[4:5], v[2:3], off offset:256
.LBB9_377:                              ;   in Loop: Header=BB9_9 Depth=1
	s_wait_alu 0xfffe
	s_or_b32 exec_lo, exec_lo, s1
	s_mov_b32 s4, -1
	s_mov_b32 s1, exec_lo
	v_cmpx_gt_i32_e32 50, v0
; %bb.378:                              ;   in Loop: Header=BB9_9 Depth=1
	v_cmp_eq_u32_e32 vcc_lo, 0, v0
	s_or_not1_b32 s4, vcc_lo, exec_lo
; %bb.379:                              ;   in Loop: Header=BB9_9 Depth=1
	s_wait_alu 0xfffe
	s_or_b32 exec_lo, exec_lo, s1
	s_mov_b32 s3, s39
                                        ; implicit-def: $vgpr1
	s_and_saveexec_b32 s1, s4
	s_cbranch_execz .LBB9_389
; %bb.380:                              ;   in Loop: Header=BB9_9 Depth=1
	v_mov_b32_e32 v0, 50
	s_and_saveexec_b32 s4, s67
	s_cbranch_execz .LBB9_382
; %bb.381:                              ;   in Loop: Header=BB9_9 Depth=1
	s_clause 0x1
	scratch_load_b32 v0, off, off offset:376
	scratch_load_b32 v1, off, off offset:372
	s_wait_loadcnt 0x1
	ds_load_b32 v0, v0 offset:128
	s_wait_loadcnt 0x0
	ds_load_b32 v3, v1 offset:164
	s_wait_dscnt 0x1
	v_lshrrev_b32_e32 v1, 16, v0
	v_cvt_f32_f16_e32 v0, v0
	s_delay_alu instid0(VALU_DEP_2) | instskip(NEXT) | instid1(VALU_DEP_2)
	v_cvt_f32_f16_e32 v1, v1
	v_add_f32_e32 v2, 0, v0
	s_wait_dscnt 0x0
	s_delay_alu instid0(VALU_DEP_1) | instskip(NEXT) | instid1(VALU_DEP_1)
	v_div_scale_f32 v5, null, v3, v3, v2
	v_rcp_f32_e32 v7, v5
	s_delay_alu instid0(TRANS32_DEP_1) | instskip(NEXT) | instid1(VALU_DEP_1)
	v_fma_f32 v0, -v5, v7, 1.0
	v_fmac_f32_e32 v7, v0, v7
	v_div_scale_f32 v9, vcc_lo, v2, v3, v2
	s_delay_alu instid0(VALU_DEP_1) | instskip(NEXT) | instid1(VALU_DEP_1)
	v_dual_add_f32 v4, 0, v1 :: v_dual_mul_f32 v11, v9, v7
	v_div_scale_f32 v6, null, v3, v3, v4
	v_div_scale_f32 v10, s3, v4, v3, v4
	s_delay_alu instid0(VALU_DEP_2) | instskip(NEXT) | instid1(TRANS32_DEP_1)
	v_rcp_f32_e32 v8, v6
	v_fma_f32 v1, -v6, v8, 1.0
	s_delay_alu instid0(VALU_DEP_1) | instskip(SKIP_2) | instid1(VALU_DEP_1)
	v_fmac_f32_e32 v8, v1, v8
	v_mad_co_u64_u32 v[0:1], null, v216, s25, v[22:23]
	v_fma_f32 v1, -v5, v11, v9
	v_dual_mul_f32 v12, v10, v8 :: v_dual_fmac_f32 v11, v1, v7
	s_delay_alu instid0(VALU_DEP_3) | instskip(NEXT) | instid1(VALU_DEP_2)
	v_mul_lo_u32 v0, v0, 40
	v_fma_f32 v13, -v6, v12, v10
	s_delay_alu instid0(VALU_DEP_3) | instskip(NEXT) | instid1(VALU_DEP_2)
	v_fma_f32 v5, -v5, v11, v9
	v_fmac_f32_e32 v12, v13, v8
	s_delay_alu instid0(VALU_DEP_4)
	v_ashrrev_i32_e32 v1, 31, v0
	v_or_b32_e32 v0, v0, v254
	s_wait_alu 0xfffd
	v_div_fmas_f32 v5, v5, v7, v11
	v_fma_f32 v6, -v6, v12, v10
	s_wait_alu 0xfffe
	s_mov_b32 vcc_lo, s3
	v_lshlrev_b64_e32 v[0:1], 3, v[0:1]
	v_div_fixup_f32 v2, v5, v3, v2
	s_wait_alu 0xfffe
	v_div_fmas_f32 v6, v6, v8, v12
	s_delay_alu instid0(VALU_DEP_1) | instskip(NEXT) | instid1(VALU_DEP_4)
	v_div_fixup_f32 v3, v6, v3, v4
	v_add_co_u32 v4, vcc_lo, s72, v0
	s_wait_alu 0xfffd
	v_add_co_ci_u32_e64 v5, null, s73, v1, vcc_lo
	v_mov_b32_e32 v0, 0
	global_store_b64 v[4:5], v[2:3], off offset:256
.LBB9_382:                              ;   in Loop: Header=BB9_9 Depth=1
	s_wait_alu 0xfffe
	s_or_b32 exec_lo, exec_lo, s4
	s_mov_b32 s5, -1
	s_mov_b32 s3, exec_lo
	v_cmpx_gt_i32_e32 50, v0
; %bb.383:                              ;   in Loop: Header=BB9_9 Depth=1
	v_cmp_eq_u32_e32 vcc_lo, 0, v0
	s_or_not1_b32 s5, vcc_lo, exec_lo
; %bb.384:                              ;   in Loop: Header=BB9_9 Depth=1
	s_wait_alu 0xfffe
	s_or_b32 exec_lo, exec_lo, s3
	s_mov_b32 s3, s39
                                        ; implicit-def: $vgpr1
	s_and_saveexec_b32 s4, s5
	s_cbranch_execz .LBB9_388
; %bb.385:                              ;   in Loop: Header=BB9_9 Depth=1
	s_mov_b32 s3, s39
                                        ; implicit-def: $vgpr1
	s_and_saveexec_b32 s5, s6
	s_cbranch_execz .LBB9_387
; %bb.386:                              ;   in Loop: Header=BB9_9 Depth=1
	s_clause 0x1
	scratch_load_b32 v0, off, off offset:392
	scratch_load_b32 v1, off, off offset:388
	s_wait_loadcnt 0x1
	ds_load_b32 v0, v0 offset:128
	s_wait_loadcnt 0x0
	ds_load_b32 v1, v1 offset:164
	s_wait_dscnt 0x1
	v_lshrrev_b32_e32 v2, 16, v0
	v_cvt_f32_f16_e32 v0, v0
	s_delay_alu instid0(VALU_DEP_2) | instskip(NEXT) | instid1(VALU_DEP_2)
	v_cvt_f32_f16_e32 v2, v2
	v_add_f32_e32 v0, 0, v0
	s_delay_alu instid0(VALU_DEP_2) | instskip(SKIP_1) | instid1(VALU_DEP_2)
	v_add_f32_e32 v2, 0, v2
	s_wait_dscnt 0x0
	v_div_scale_f32 v3, null, v1, v1, v0
	s_delay_alu instid0(VALU_DEP_2) | instskip(NEXT) | instid1(VALU_DEP_2)
	v_div_scale_f32 v4, null, v1, v1, v2
	v_rcp_f32_e32 v5, v3
	s_delay_alu instid0(VALU_DEP_1) | instskip(NEXT) | instid1(TRANS32_DEP_2)
	v_rcp_f32_e32 v6, v4
	v_fma_f32 v7, -v3, v5, 1.0
	s_delay_alu instid0(TRANS32_DEP_1) | instskip(NEXT) | instid1(VALU_DEP_2)
	v_fma_f32 v8, -v4, v6, 1.0
	v_fmac_f32_e32 v5, v7, v5
	v_div_scale_f32 v9, vcc_lo, v0, v1, v0
	v_div_scale_f32 v7, s3, v2, v1, v2
	s_delay_alu instid0(VALU_DEP_4) | instskip(NEXT) | instid1(VALU_DEP_3)
	v_fmac_f32_e32 v6, v8, v6
	v_mul_f32_e32 v8, v9, v5
	s_delay_alu instid0(VALU_DEP_2) | instskip(NEXT) | instid1(VALU_DEP_2)
	v_mul_f32_e32 v10, v7, v6
	v_fma_f32 v11, -v3, v8, v9
	s_delay_alu instid0(VALU_DEP_2) | instskip(NEXT) | instid1(VALU_DEP_2)
	v_fma_f32 v12, -v4, v10, v7
	v_fmac_f32_e32 v8, v11, v5
	s_delay_alu instid0(VALU_DEP_2) | instskip(NEXT) | instid1(VALU_DEP_2)
	v_fmac_f32_e32 v10, v12, v6
	v_fma_f32 v3, -v3, v8, v9
	s_delay_alu instid0(VALU_DEP_2) | instskip(SKIP_1) | instid1(VALU_DEP_2)
	v_fma_f32 v4, -v4, v10, v7
	s_wait_alu 0xfffd
	v_div_fmas_f32 v3, v3, v5, v8
	s_wait_alu 0xfffe
	s_mov_b32 vcc_lo, s3
	s_or_b32 s3, s39, exec_lo
	s_wait_alu 0xfffe
	v_div_fmas_f32 v4, v4, v6, v10
	v_div_fixup_f32 v0, v3, v1, v0
	s_delay_alu instid0(VALU_DEP_2)
	v_div_fixup_f32 v1, v4, v1, v2
.LBB9_387:                              ;   in Loop: Header=BB9_9 Depth=1
	s_wait_alu 0xfffe
	s_or_b32 exec_lo, exec_lo, s5
	s_delay_alu instid0(SALU_CYCLE_1)
	s_and_not1_b32 s5, s39, exec_lo
	s_and_b32 s3, s3, exec_lo
	s_wait_alu 0xfffe
	s_or_b32 s3, s5, s3
.LBB9_388:                              ;   in Loop: Header=BB9_9 Depth=1
	s_wait_alu 0xfffe
	s_or_b32 exec_lo, exec_lo, s4
	s_delay_alu instid0(SALU_CYCLE_1)
	s_and_not1_b32 s4, s39, exec_lo
	s_and_b32 s3, s3, exec_lo
	s_wait_alu 0xfffe
	s_or_b32 s3, s4, s3
.LBB9_389:                              ;   in Loop: Header=BB9_9 Depth=1
	s_wait_alu 0xfffe
	s_or_b32 exec_lo, exec_lo, s1
	s_delay_alu instid0(SALU_CYCLE_1)
	s_and_not1_b32 s1, s39, exec_lo
	s_and_b32 s3, s3, exec_lo
	s_wait_alu 0xfffe
	s_or_b32 s39, s1, s3
.LBB9_390:                              ;   in Loop: Header=BB9_9 Depth=1
	s_wait_alu 0xfffe
	s_or_b32 exec_lo, exec_lo, s0
.LBB9_391:                              ;   in Loop: Header=BB9_9 Depth=1
	s_wait_alu 0xfffe
	s_and_saveexec_b32 s0, s39
	s_cbranch_execz .LBB9_8
; %bb.392:                              ;   in Loop: Header=BB9_9 Depth=1
	v_mad_co_u64_u32 v[2:3], null, v215, s25, v[22:23]
	s_delay_alu instid0(VALU_DEP_1) | instskip(NEXT) | instid1(VALU_DEP_1)
	v_mul_lo_u32 v2, v2, 40
	v_ashrrev_i32_e32 v3, 31, v2
	v_or_b32_e32 v2, v2, v254
	s_delay_alu instid0(VALU_DEP_1) | instskip(NEXT) | instid1(VALU_DEP_1)
	v_lshlrev_b64_e32 v[2:3], 3, v[2:3]
	v_add_co_u32 v2, vcc_lo, s72, v2
	s_wait_alu 0xfffd
	s_delay_alu instid0(VALU_DEP_2)
	v_add_co_ci_u32_e64 v3, null, s73, v3, vcc_lo
	global_store_b64 v[2:3], v[0:1], off offset:256
	s_branch .LBB9_8
.LBB9_393:
	s_and_not1_b32 vcc_lo, exec_lo, s0
	v_readlane_b32 s0, v255, 11
	s_add_nc_u64 s[4:5], s[60:61], 0xd0
	v_readlane_b32 s1, v255, 12
	s_wait_alu 0xfffe
	s_cbranch_vccnz .LBB9_489
; %bb.394:
	s_mov_b32 s30, s0
	s_abs_i32 s0, s97
	s_abs_i32 s3, s48
	s_wait_alu 0xfffe
	s_cvt_f32_u32 s1, s0
	s_sub_co_i32 s2, 0, s0
	v_mov_b32_e32 v20, s49
	s_wait_alu 0xfffe
	v_rcp_iflag_f32_e32 v0, s1
	s_delay_alu instid0(TRANS32_DEP_1) | instskip(SKIP_2) | instid1(SALU_CYCLE_2)
	v_readfirstlane_b32 s1, v0
	s_mul_f32 s1, s1, 0x4f7ffffe
	s_wait_alu 0xfffe
	s_cvt_u32_f32 s1, s1
	s_wait_alu 0xfffe
	s_delay_alu instid0(SALU_CYCLE_2)
	s_mul_i32 s2, s2, s1
	s_wait_alu 0xfffe
	s_mul_hi_u32 s2, s1, s2
	s_wait_alu 0xfffe
	s_add_co_i32 s1, s1, s2
	s_xor_b32 s2, s48, s97
	s_wait_alu 0xfffe
	s_mul_hi_u32 s1, s3, s1
	s_ashr_i32 s2, s2, 31
	s_wait_alu 0xfffe
	s_mul_i32 s6, s1, s0
	s_wait_alu 0xfffe
	s_sub_co_i32 s3, s3, s6
	s_add_co_i32 s6, s1, 1
	s_wait_alu 0xfffe
	s_sub_co_i32 s16, s3, s0
	s_cmp_ge_u32 s3, s0
	s_cselect_b32 s1, s6, s1
	s_cselect_b32 s3, s16, s3
	s_wait_alu 0xfffe
	s_add_co_i32 s6, s1, 1
	s_cmp_ge_u32 s3, s0
	s_wait_alu 0xfffe
	s_cselect_b32 s0, s6, s1
	s_abs_i32 s1, s96
	s_wait_alu 0xfffe
	s_xor_b32 s0, s0, s2
	s_cvt_f32_u32 s3, s1
	s_wait_alu 0xfffe
	s_sub_co_i32 s2, s0, s2
	s_sub_co_i32 s0, 0, s1
	s_wait_alu 0xfffe
	s_mul_i32 s6, s2, s97
	v_rcp_iflag_f32_e32 v0, s3
	s_wait_alu 0xfffe
	s_sub_co_i32 s6, s48, s6
	s_wait_alu 0xfffe
	s_abs_i32 s16, s6
	s_delay_alu instid0(TRANS32_DEP_1) | instskip(SKIP_2) | instid1(SALU_CYCLE_2)
	v_readfirstlane_b32 s3, v0
	s_mul_f32 s3, s3, 0x4f7ffffe
	s_wait_alu 0xfffe
	s_cvt_u32_f32 s3, s3
	s_wait_alu 0xfffe
	s_delay_alu instid0(SALU_CYCLE_2)
	s_mul_i32 s0, s0, s3
	s_wait_alu 0xfffe
	s_mul_hi_u32 s0, s3, s0
	s_wait_alu 0xfffe
	s_add_co_i32 s3, s3, s0
	s_wait_alu 0xfffe
	s_mul_hi_u32 s0, s16, s3
	s_xor_b32 s3, s6, s96
	s_wait_alu 0xfffe
	s_mul_i32 s17, s0, s1
	s_ashr_i32 s3, s3, 31
	s_sub_co_i32 s16, s16, s17
	s_add_co_i32 s17, s0, 1
	s_sub_co_i32 s20, s16, s1
	s_cmp_ge_u32 s16, s1
	s_cselect_b32 s0, s17, s0
	s_cselect_b32 s16, s20, s16
	s_wait_alu 0xfffe
	s_add_co_i32 s17, s0, 1
	s_cmp_ge_u32 s16, s1
	s_cselect_b32 s0, s17, s0
	s_abs_i32 s1, s95
	s_wait_alu 0xfffe
	s_xor_b32 s0, s0, s3
	s_cvt_f32_u32 s16, s1
	s_wait_alu 0xfffe
	s_sub_co_i32 s20, s0, s3
	s_sub_co_i32 s0, 0, s1
	s_mul_i32 s3, s20, s96
	v_rcp_iflag_f32_e32 v0, s16
	s_wait_alu 0xfffe
	s_sub_co_i32 s3, s6, s3
	s_wait_alu 0xfffe
	s_abs_i32 s6, s3
	s_delay_alu instid0(TRANS32_DEP_1) | instskip(SKIP_2) | instid1(SALU_CYCLE_2)
	v_readfirstlane_b32 s16, v0
	s_mul_f32 s16, s16, 0x4f7ffffe
	s_wait_alu 0xfffe
	s_cvt_u32_f32 s16, s16
	s_wait_alu 0xfffe
	s_delay_alu instid0(SALU_CYCLE_2)
	s_mul_i32 s0, s0, s16
	s_wait_alu 0xfffe
	s_mul_hi_u32 s0, s16, s0
	s_wait_alu 0xfffe
	s_add_co_i32 s16, s16, s0
	s_wait_alu 0xfffe
	s_mul_hi_u32 s0, s6, s16
	s_xor_b32 s16, s3, s95
	s_wait_alu 0xfffe
	s_mul_i32 s17, s0, s1
	s_ashr_i32 s16, s16, 31
	s_wait_alu 0xfffe
	s_sub_co_i32 s6, s6, s17
	s_add_co_i32 s17, s0, 1
	s_wait_alu 0xfffe
	s_sub_co_i32 s21, s6, s1
	s_cmp_ge_u32 s6, s1
	s_cselect_b32 s0, s17, s0
	s_cselect_b32 s6, s21, s6
	s_wait_alu 0xfffe
	s_add_co_i32 s17, s0, 1
	s_cmp_ge_u32 s6, s1
	v_readlane_b32 s6, v255, 7
	s_wait_alu 0xfffe
	s_cselect_b32 s0, s17, s0
	s_mov_b32 s17, 0
	s_wait_alu 0xfffe
	s_xor_b32 s0, s0, s16
	s_wait_alu 0xfffe
	s_sub_co_i32 s0, s0, s16
	s_wait_alu 0xfffe
	s_mul_i32 s1, s0, s95
	s_wait_alu 0xfffe
	s_sub_co_i32 s1, s3, s1
	s_wait_alu 0xfffe
	s_abs_i32 s16, s1
	s_ashr_i32 s1, s1, 31
	s_wait_alu 0xfffe
	s_mul_u64 s[40:41], s[16:17], s[52:53]
	s_xor_b32 s1, s1, s6
	s_wait_alu 0xfffe
	s_mul_i32 s3, s41, s55
	s_add_co_i32 s6, s41, 1
	s_wait_alu 0xfffe
	s_sub_co_i32 s3, s16, s3
	s_wait_alu 0xfffe
	s_sub_co_i32 s16, s3, s55
	s_cmp_ge_u32 s3, s55
	s_cselect_b32 s6, s6, s41
	s_wait_alu 0xfffe
	s_cselect_b32 s3, s16, s3
	s_add_co_i32 s16, s6, 1
	s_wait_alu 0xfffe
	s_cmp_ge_u32 s3, s55
	s_cselect_b32 s3, s16, s6
	s_abs_i32 s21, s30
	s_delay_alu instid0(SALU_CYCLE_1) | instskip(SKIP_1) | instid1(SALU_CYCLE_2)
	s_cvt_f32_u32 s6, s21
	s_wait_alu 0xfffe
	v_rcp_iflag_f32_e32 v0, s6
	s_xor_b32 s6, s3, s1
	s_wait_alu 0xfffe
	s_sub_co_i32 s1, s6, s1
	s_cmp_eq_u64 s[18:19], 0
	s_delay_alu instid0(TRANS32_DEP_1)
	v_readfirstlane_b32 s3, v0
	s_cbranch_scc1 .LBB9_396
; %bb.395:
	v_readlane_b32 s6, v255, 0
	v_mov_b32_e32 v0, 0
	s_mul_i32 s6, s2, s6
	s_wait_alu 0xfffe
	s_add_co_i32 s40, s1, s6
	s_wait_alu 0xfffe
	s_ashr_i32 s41, s40, 31
	s_wait_alu 0xfffe
	s_lshl_b64 s[40:41], s[40:41], 2
	s_wait_alu 0xfffe
	s_add_nc_u64 s[18:19], s[18:19], s[40:41]
	global_load_b32 v0, v0, s[18:19]
	s_wait_loadcnt 0x0
	v_ashrrev_i32_e32 v1, 31, v0
	s_delay_alu instid0(VALU_DEP_1) | instskip(NEXT) | instid1(VALU_DEP_1)
	v_lshrrev_b32_e32 v1, 26, v1
	v_add_nc_u32_e32 v0, v0, v1
	s_delay_alu instid0(VALU_DEP_1) | instskip(NEXT) | instid1(VALU_DEP_1)
	v_ashrrev_i32_e32 v0, 6, v0
	v_min_i32_e32 v20, s49, v0
.LBB9_396:
	v_bfe_u32 v0, v253, 1, 9
	s_mul_i32 s6, s20, s33
	s_lshl_b32 s16, s0, 1
	s_mul_i32 s0, s2, s47
	s_wait_alu 0xfffe
	s_add_co_i32 s18, s16, s6
	s_lshl_b32 s6, s1, 5
	v_or_b32_e32 v1, s16, v229
	s_wait_alu 0xfffe
	v_add_nc_u32_e32 v0, s6, v0
	v_lshl_add_u32 v130, v246, 2, 0
	s_ashr_i32 s1, s0, 31
	v_readlane_b32 s25, v255, 13
	s_wait_alu 0xfffe
	s_add_nc_u64 s[8:9], s[8:9], s[0:1]
	v_cmp_le_i32_e64 s0, s24, v0
	v_cmp_le_i32_e64 s1, s33, v1
	v_mad_u32_u24 v129, 0xb0, v248, v130
	s_mul_i32 s18, s18, s46
	s_and_b32 s25, 0xffff, s25
	s_ashr_i32 s19, s18, 31
	s_or_b32 s0, s0, s1
	v_cmp_gt_i32_e32 vcc_lo, s33, v1
	s_wait_alu 0xfffe
	s_and_saveexec_b32 s1, s0
	s_wait_alu 0xfffe
	s_xor_b32 s0, exec_lo, s1
; %bb.397:
	v_mov_b32_e32 v0, 0
	ds_store_b32 v129, v0
                                        ; implicit-def: $vgpr0
; %bb.398:
	s_wait_alu 0xfffe
	s_or_saveexec_b32 s1, s0
	v_readlane_b32 s27, v255, 10
	s_add_nc_u64 s[8:9], s[8:9], s[18:19]
	s_mul_i32 s18, s25, 0x10001
	s_wait_alu 0xfffe
	s_xor_b32 exec_lo, exec_lo, s1
	s_cbranch_execz .LBB9_400
; %bb.399:
	v_mul_lo_u32 v0, v0, s7
	v_mul_lo_u32 v1, v229, s27
	s_delay_alu instid0(VALU_DEP_1) | instskip(NEXT) | instid1(VALU_DEP_1)
	v_add3_u32 v0, v1, v246, v0
	v_ashrrev_i32_e32 v1, 31, v0
	s_delay_alu instid0(VALU_DEP_1) | instskip(NEXT) | instid1(VALU_DEP_1)
	v_lshlrev_b64_e32 v[0:1], 3, v[0:1]
	v_add_co_u32 v0, s0, s8, v0
	s_wait_alu 0xf1ff
	s_delay_alu instid0(VALU_DEP_2) | instskip(SKIP_4) | instid1(VALU_DEP_1)
	v_add_co_ci_u32_e64 v1, null, s9, v1, s0
	global_load_b64 v[0:1], v[0:1], off
	s_wait_loadcnt 0x0
	v_cvt_f16_f32_e32 v0, v0
	v_cvt_f16_f32_e32 v1, v1
	v_pack_b32_f16 v0, v0, v1
	s_delay_alu instid0(VALU_DEP_1)
	v_pk_mul_f16 v0, v0, s18
	ds_store_b32 v129, v0
.LBB9_400:
	s_or_b32 exec_lo, exec_lo, s1
	v_lshrrev_b32_e32 v0, 1, v224
	s_xor_b32 s1, vcc_lo, -1
	s_delay_alu instid0(VALU_DEP_1) | instskip(NEXT) | instid1(VALU_DEP_1)
	v_add_nc_u32_e32 v0, s6, v0
	v_cmp_le_i32_e64 s0, s24, v0
	s_wait_alu 0xfffe
	s_or_b32 s0, s0, s1
	s_wait_alu 0xfffe
	s_and_saveexec_b32 s19, s0
	s_wait_alu 0xfffe
	s_xor_b32 s0, exec_lo, s19
; %bb.401:
	v_mad_u32_u24 v0, 0xb0, v224, v130
	v_mov_b32_e32 v1, 0
	ds_store_b32 v0, v1
                                        ; implicit-def: $vgpr0
; %bb.402:
	s_wait_alu 0xfffe
	s_and_not1_saveexec_b32 s0, s0
	s_cbranch_execz .LBB9_404
; %bb.403:
	v_mul_lo_u32 v0, v0, s7
	v_mul_lo_u32 v1, v229, s27
	s_delay_alu instid0(VALU_DEP_1) | instskip(NEXT) | instid1(VALU_DEP_1)
	v_add3_u32 v0, v1, v246, v0
	v_ashrrev_i32_e32 v1, 31, v0
	s_delay_alu instid0(VALU_DEP_1) | instskip(NEXT) | instid1(VALU_DEP_1)
	v_lshlrev_b64_e32 v[0:1], 3, v[0:1]
	v_add_co_u32 v0, vcc_lo, s8, v0
	s_wait_alu 0xfffd
	s_delay_alu instid0(VALU_DEP_2) | instskip(SKIP_4) | instid1(VALU_DEP_1)
	v_add_co_ci_u32_e64 v1, null, s9, v1, vcc_lo
	global_load_b64 v[0:1], v[0:1], off
	s_wait_loadcnt 0x0
	v_cvt_f16_f32_e32 v0, v0
	v_cvt_f16_f32_e32 v1, v1
	v_pack_b32_f16 v0, v0, v1
	v_mad_u32_u24 v1, 0xb0, v224, v130
	s_delay_alu instid0(VALU_DEP_2)
	v_pk_mul_f16 v0, v0, s18
	ds_store_b32 v1, v0
.LBB9_404:
	s_wait_alu 0xfffe
	s_or_b32 exec_lo, exec_lo, s0
	v_lshrrev_b32_e32 v0, 1, v222
	s_delay_alu instid0(VALU_DEP_1) | instskip(NEXT) | instid1(VALU_DEP_1)
	v_add_nc_u32_e32 v0, s6, v0
	v_cmp_le_i32_e32 vcc_lo, s24, v0
	s_or_b32 s0, vcc_lo, s1
	s_wait_alu 0xfffe
	s_and_saveexec_b32 s19, s0
	s_wait_alu 0xfffe
	s_xor_b32 s0, exec_lo, s19
; %bb.405:
	v_mad_u32_u24 v0, 0xb0, v222, v130
	v_mov_b32_e32 v1, 0
	ds_store_b32 v0, v1
                                        ; implicit-def: $vgpr0
; %bb.406:
	s_wait_alu 0xfffe
	s_and_not1_saveexec_b32 s0, s0
	s_cbranch_execz .LBB9_408
; %bb.407:
	v_mul_lo_u32 v0, v0, s7
	v_mul_lo_u32 v1, v229, s27
	s_delay_alu instid0(VALU_DEP_1) | instskip(NEXT) | instid1(VALU_DEP_1)
	v_add3_u32 v0, v1, v246, v0
	v_ashrrev_i32_e32 v1, 31, v0
	s_delay_alu instid0(VALU_DEP_1) | instskip(NEXT) | instid1(VALU_DEP_1)
	v_lshlrev_b64_e32 v[0:1], 3, v[0:1]
	v_add_co_u32 v0, vcc_lo, s8, v0
	s_wait_alu 0xfffd
	s_delay_alu instid0(VALU_DEP_2) | instskip(SKIP_4) | instid1(VALU_DEP_1)
	v_add_co_ci_u32_e64 v1, null, s9, v1, vcc_lo
	global_load_b64 v[0:1], v[0:1], off
	s_wait_loadcnt 0x0
	v_cvt_f16_f32_e32 v0, v0
	v_cvt_f16_f32_e32 v1, v1
	v_pack_b32_f16 v0, v0, v1
	v_mad_u32_u24 v1, 0xb0, v222, v130
	s_delay_alu instid0(VALU_DEP_2)
	v_pk_mul_f16 v0, v0, s18
	ds_store_b32 v1, v0
.LBB9_408:
	s_wait_alu 0xfffe
	s_or_b32 exec_lo, exec_lo, s0
	v_lshrrev_b32_e32 v0, 1, v208
	s_delay_alu instid0(VALU_DEP_1) | instskip(NEXT) | instid1(VALU_DEP_1)
	v_add_nc_u32_e32 v0, s6, v0
	v_cmp_le_i32_e32 vcc_lo, s24, v0
	s_or_b32 s0, vcc_lo, s1
	;; [unrolled: 42-line block ×8, first 2 shown]
	s_wait_alu 0xfffe
	s_and_saveexec_b32 s19, s0
	s_wait_alu 0xfffe
	s_xor_b32 s0, exec_lo, s19
; %bb.433:
	v_mad_u32_u24 v0, 0xb0, v252, v130
	v_mov_b32_e32 v1, 0
                                        ; implicit-def: $vgpr252
	ds_store_b32 v0, v1
                                        ; implicit-def: $vgpr0
; %bb.434:
	s_wait_alu 0xfffe
	s_and_not1_saveexec_b32 s0, s0
	s_cbranch_execz .LBB9_436
; %bb.435:
	v_mul_lo_u32 v0, v0, s7
	v_mul_lo_u32 v1, v229, s27
	s_delay_alu instid0(VALU_DEP_1) | instskip(NEXT) | instid1(VALU_DEP_1)
	v_add3_u32 v0, v1, v246, v0
	v_ashrrev_i32_e32 v1, 31, v0
	s_delay_alu instid0(VALU_DEP_1) | instskip(NEXT) | instid1(VALU_DEP_1)
	v_lshlrev_b64_e32 v[0:1], 3, v[0:1]
	v_add_co_u32 v0, vcc_lo, s8, v0
	s_wait_alu 0xfffd
	s_delay_alu instid0(VALU_DEP_2) | instskip(SKIP_4) | instid1(VALU_DEP_1)
	v_add_co_ci_u32_e64 v1, null, s9, v1, vcc_lo
	global_load_b64 v[0:1], v[0:1], off
	s_wait_loadcnt 0x0
	v_cvt_f16_f32_e32 v0, v0
	v_cvt_f16_f32_e32 v1, v1
	v_pack_b32_f16 v0, v0, v1
	v_mad_u32_u24 v1, 0xb0, v252, v130
	s_delay_alu instid0(VALU_DEP_2)
	v_pk_mul_f16 v0, v0, s18
	ds_store_b32 v1, v0
.LBB9_436:
	s_wait_alu 0xfffe
	s_or_b32 exec_lo, exec_lo, s0
	v_lshrrev_b32_e32 v0, 1, v250
	s_delay_alu instid0(VALU_DEP_1) | instskip(NEXT) | instid1(VALU_DEP_1)
	v_add_nc_u32_e32 v0, s6, v0
	v_cmp_le_i32_e32 vcc_lo, s24, v0
	s_or_b32 s0, vcc_lo, s1
	s_wait_alu 0xfffe
	s_and_saveexec_b32 s19, s0
	s_wait_alu 0xfffe
	s_xor_b32 s0, exec_lo, s19
; %bb.437:
	v_mad_u32_u24 v0, 0xb0, v250, v130
	v_mov_b32_e32 v1, 0
                                        ; implicit-def: $vgpr250
	ds_store_b32 v0, v1
                                        ; implicit-def: $vgpr0
; %bb.438:
	s_wait_alu 0xfffe
	s_and_not1_saveexec_b32 s0, s0
	s_cbranch_execz .LBB9_440
; %bb.439:
	v_mul_lo_u32 v0, v0, s7
	v_mul_lo_u32 v1, v229, s27
	s_delay_alu instid0(VALU_DEP_1) | instskip(NEXT) | instid1(VALU_DEP_1)
	v_add3_u32 v0, v1, v246, v0
	v_ashrrev_i32_e32 v1, 31, v0
	s_delay_alu instid0(VALU_DEP_1) | instskip(NEXT) | instid1(VALU_DEP_1)
	v_lshlrev_b64_e32 v[0:1], 3, v[0:1]
	v_add_co_u32 v0, vcc_lo, s8, v0
	s_wait_alu 0xfffd
	s_delay_alu instid0(VALU_DEP_2) | instskip(SKIP_4) | instid1(VALU_DEP_1)
	v_add_co_ci_u32_e64 v1, null, s9, v1, vcc_lo
	global_load_b64 v[0:1], v[0:1], off
	s_wait_loadcnt 0x0
	v_cvt_f16_f32_e32 v0, v0
	v_cvt_f16_f32_e32 v1, v1
	v_pack_b32_f16 v0, v0, v1
	v_mad_u32_u24 v1, 0xb0, v250, v130
	s_delay_alu instid0(VALU_DEP_2)
	v_pk_mul_f16 v0, v0, s18
	ds_store_b32 v1, v0
.LBB9_440:
	s_wait_alu 0xfffe
	s_or_b32 exec_lo, exec_lo, s0
	v_lshrrev_b32_e32 v0, 1, v249
	s_delay_alu instid0(VALU_DEP_1) | instskip(NEXT) | instid1(VALU_DEP_1)
	v_add_nc_u32_e32 v0, s6, v0
	v_cmp_le_i32_e32 vcc_lo, s24, v0
	s_or_b32 s0, vcc_lo, s1
	s_wait_alu 0xfffe
	s_and_saveexec_b32 s19, s0
	s_wait_alu 0xfffe
	s_xor_b32 s0, exec_lo, s19
; %bb.441:
	v_mad_u32_u24 v0, 0xb0, v249, v130
	v_mov_b32_e32 v1, 0
                                        ; implicit-def: $vgpr249
	ds_store_b32 v0, v1
                                        ; implicit-def: $vgpr0
; %bb.442:
	s_wait_alu 0xfffe
	s_and_not1_saveexec_b32 s0, s0
	s_cbranch_execz .LBB9_444
; %bb.443:
	v_mul_lo_u32 v0, v0, s7
	v_mul_lo_u32 v1, v229, s27
	s_delay_alu instid0(VALU_DEP_1) | instskip(NEXT) | instid1(VALU_DEP_1)
	v_add3_u32 v0, v1, v246, v0
	v_ashrrev_i32_e32 v1, 31, v0
	s_delay_alu instid0(VALU_DEP_1) | instskip(NEXT) | instid1(VALU_DEP_1)
	v_lshlrev_b64_e32 v[0:1], 3, v[0:1]
	v_add_co_u32 v0, vcc_lo, s8, v0
	s_wait_alu 0xfffd
	s_delay_alu instid0(VALU_DEP_2) | instskip(SKIP_4) | instid1(VALU_DEP_1)
	v_add_co_ci_u32_e64 v1, null, s9, v1, vcc_lo
	global_load_b64 v[0:1], v[0:1], off
	s_wait_loadcnt 0x0
	v_cvt_f16_f32_e32 v0, v0
	v_cvt_f16_f32_e32 v1, v1
	v_pack_b32_f16 v0, v0, v1
	v_mad_u32_u24 v1, 0xb0, v249, v130
	s_delay_alu instid0(VALU_DEP_2)
	v_pk_mul_f16 v0, v0, s18
	ds_store_b32 v1, v0
.LBB9_444:
	s_wait_alu 0xfffe
	s_or_b32 exec_lo, exec_lo, s0
	v_lshrrev_b32_e32 v0, 1, v244
	s_delay_alu instid0(VALU_DEP_1) | instskip(NEXT) | instid1(VALU_DEP_1)
	v_add_nc_u32_e32 v0, s6, v0
	v_cmp_le_i32_e32 vcc_lo, s24, v0
	s_or_b32 s0, vcc_lo, s1
	s_wait_alu 0xfffe
	s_and_saveexec_b32 s19, s0
	s_wait_alu 0xfffe
	s_xor_b32 s0, exec_lo, s19
; %bb.445:
	v_mad_u32_u24 v0, 0xb0, v244, v130
	v_mov_b32_e32 v1, 0
	ds_store_b32 v0, v1
                                        ; implicit-def: $vgpr0
; %bb.446:
	s_wait_alu 0xfffe
	s_and_not1_saveexec_b32 s0, s0
	s_cbranch_execz .LBB9_448
; %bb.447:
	v_mul_lo_u32 v0, v0, s7
	v_mul_lo_u32 v1, v229, s27
	s_delay_alu instid0(VALU_DEP_1) | instskip(NEXT) | instid1(VALU_DEP_1)
	v_add3_u32 v0, v1, v246, v0
	v_ashrrev_i32_e32 v1, 31, v0
	s_delay_alu instid0(VALU_DEP_1) | instskip(NEXT) | instid1(VALU_DEP_1)
	v_lshlrev_b64_e32 v[0:1], 3, v[0:1]
	v_add_co_u32 v0, vcc_lo, s8, v0
	s_wait_alu 0xfffd
	s_delay_alu instid0(VALU_DEP_2) | instskip(SKIP_4) | instid1(VALU_DEP_1)
	v_add_co_ci_u32_e64 v1, null, s9, v1, vcc_lo
	global_load_b64 v[0:1], v[0:1], off
	s_wait_loadcnt 0x0
	v_cvt_f16_f32_e32 v0, v0
	v_cvt_f16_f32_e32 v1, v1
	v_pack_b32_f16 v0, v0, v1
	v_mad_u32_u24 v1, 0xb0, v244, v130
	s_delay_alu instid0(VALU_DEP_2)
	v_pk_mul_f16 v0, v0, s18
	ds_store_b32 v1, v0
.LBB9_448:
	s_wait_alu 0xfffe
	s_or_b32 exec_lo, exec_lo, s0
	v_lshrrev_b32_e32 v0, 1, v240
	s_delay_alu instid0(VALU_DEP_1) | instskip(NEXT) | instid1(VALU_DEP_1)
	v_add_nc_u32_e32 v0, s6, v0
	v_cmp_le_i32_e32 vcc_lo, s24, v0
	s_or_b32 s0, vcc_lo, s1
	s_wait_alu 0xfffe
	s_and_saveexec_b32 s19, s0
	s_wait_alu 0xfffe
	s_xor_b32 s0, exec_lo, s19
; %bb.449:
	v_mad_u32_u24 v0, 0xb0, v240, v130
	v_mov_b32_e32 v1, 0
                                        ; implicit-def: $vgpr240
	ds_store_b32 v0, v1
                                        ; implicit-def: $vgpr0
; %bb.450:
	s_wait_alu 0xfffe
	s_and_not1_saveexec_b32 s0, s0
	s_cbranch_execz .LBB9_452
; %bb.451:
	v_mul_lo_u32 v0, v0, s7
	v_mul_lo_u32 v1, v229, s27
	s_delay_alu instid0(VALU_DEP_1) | instskip(NEXT) | instid1(VALU_DEP_1)
	v_add3_u32 v0, v1, v246, v0
	v_ashrrev_i32_e32 v1, 31, v0
	s_delay_alu instid0(VALU_DEP_1) | instskip(NEXT) | instid1(VALU_DEP_1)
	v_lshlrev_b64_e32 v[0:1], 3, v[0:1]
	v_add_co_u32 v0, vcc_lo, s8, v0
	s_wait_alu 0xfffd
	s_delay_alu instid0(VALU_DEP_2) | instskip(SKIP_4) | instid1(VALU_DEP_1)
	v_add_co_ci_u32_e64 v1, null, s9, v1, vcc_lo
	global_load_b64 v[0:1], v[0:1], off
	s_wait_loadcnt 0x0
	v_cvt_f16_f32_e32 v0, v0
	v_cvt_f16_f32_e32 v1, v1
	v_pack_b32_f16 v0, v0, v1
	v_mad_u32_u24 v1, 0xb0, v240, v130
	s_delay_alu instid0(VALU_DEP_2)
	v_pk_mul_f16 v0, v0, s18
	ds_store_b32 v1, v0
.LBB9_452:
	s_wait_alu 0xfffe
	s_or_b32 exec_lo, exec_lo, s0
	v_lshrrev_b32_e32 v0, 1, v239
	s_delay_alu instid0(VALU_DEP_1) | instskip(NEXT) | instid1(VALU_DEP_1)
	v_add_nc_u32_e32 v0, s6, v0
	v_cmp_le_i32_e32 vcc_lo, s24, v0
	s_or_b32 s0, vcc_lo, s1
	s_wait_alu 0xfffe
	s_and_saveexec_b32 s19, s0
	s_wait_alu 0xfffe
	s_xor_b32 s0, exec_lo, s19
; %bb.453:
	v_mad_u32_u24 v0, 0xb0, v239, v130
	v_mov_b32_e32 v1, 0
                                        ; implicit-def: $vgpr239
	ds_store_b32 v0, v1
                                        ; implicit-def: $vgpr0
; %bb.454:
	s_wait_alu 0xfffe
	s_and_not1_saveexec_b32 s0, s0
	s_cbranch_execz .LBB9_456
; %bb.455:
	v_mul_lo_u32 v0, v0, s7
	v_mul_lo_u32 v1, v229, s27
	s_delay_alu instid0(VALU_DEP_1) | instskip(NEXT) | instid1(VALU_DEP_1)
	v_add3_u32 v0, v1, v246, v0
	v_ashrrev_i32_e32 v1, 31, v0
	s_delay_alu instid0(VALU_DEP_1) | instskip(NEXT) | instid1(VALU_DEP_1)
	v_lshlrev_b64_e32 v[0:1], 3, v[0:1]
	v_add_co_u32 v0, vcc_lo, s8, v0
	s_wait_alu 0xfffd
	s_delay_alu instid0(VALU_DEP_2) | instskip(SKIP_4) | instid1(VALU_DEP_1)
	v_add_co_ci_u32_e64 v1, null, s9, v1, vcc_lo
	global_load_b64 v[0:1], v[0:1], off
	s_wait_loadcnt 0x0
	v_cvt_f16_f32_e32 v0, v0
	v_cvt_f16_f32_e32 v1, v1
	v_pack_b32_f16 v0, v0, v1
	v_mad_u32_u24 v1, 0xb0, v239, v130
	s_delay_alu instid0(VALU_DEP_2)
	v_pk_mul_f16 v0, v0, s18
	ds_store_b32 v1, v0
.LBB9_456:
	s_wait_alu 0xfffe
	s_or_b32 exec_lo, exec_lo, s0
	v_lshrrev_b32_e32 v0, 1, v238
	s_delay_alu instid0(VALU_DEP_1) | instskip(NEXT) | instid1(VALU_DEP_1)
	v_add_nc_u32_e32 v0, s6, v0
	v_cmp_le_i32_e32 vcc_lo, s24, v0
	s_or_b32 s0, vcc_lo, s1
	s_wait_alu 0xfffe
	s_and_saveexec_b32 s1, s0
	s_wait_alu 0xfffe
	s_xor_b32 s0, exec_lo, s1
; %bb.457:
	v_mad_u32_u24 v0, 0xb0, v238, v130
	v_mov_b32_e32 v1, 0
                                        ; implicit-def: $vgpr229
                                        ; implicit-def: $vgpr238
	ds_store_b32 v0, v1
                                        ; implicit-def: $vgpr0
; %bb.458:
	s_wait_alu 0xfffe
	s_and_not1_saveexec_b32 s0, s0
	s_cbranch_execz .LBB9_460
; %bb.459:
	v_mul_lo_u32 v0, v0, s7
	v_mul_lo_u32 v1, v229, s27
	s_delay_alu instid0(VALU_DEP_1) | instskip(NEXT) | instid1(VALU_DEP_1)
	v_add3_u32 v0, v1, v246, v0
	v_ashrrev_i32_e32 v1, 31, v0
	s_delay_alu instid0(VALU_DEP_1) | instskip(NEXT) | instid1(VALU_DEP_1)
	v_lshlrev_b64_e32 v[0:1], 3, v[0:1]
	v_add_co_u32 v0, vcc_lo, s8, v0
	s_wait_alu 0xfffd
	s_delay_alu instid0(VALU_DEP_2) | instskip(SKIP_4) | instid1(VALU_DEP_1)
	v_add_co_ci_u32_e64 v1, null, s9, v1, vcc_lo
	global_load_b64 v[0:1], v[0:1], off
	s_wait_loadcnt 0x0
	v_cvt_f16_f32_e32 v0, v0
	v_cvt_f16_f32_e32 v1, v1
	v_pack_b32_f16 v0, v0, v1
	v_mad_u32_u24 v1, 0xb0, v238, v130
	s_delay_alu instid0(VALU_DEP_2)
	v_pk_mul_f16 v0, v0, s18
	ds_store_b32 v1, v0
.LBB9_460:
	s_wait_alu 0xfffe
	s_or_b32 exec_lo, exec_lo, s0
	v_lshrrev_b32_e32 v0, 3, v246
	v_and_b32_e32 v132, 7, v246
	s_delay_alu instid0(VALU_DEP_2) | instskip(SKIP_1) | instid1(VALU_DEP_2)
	v_lshl_add_u32 v131, v248, 2, v0
	v_and_b32_e32 v0, 1, v0
	v_lshrrev_b32_e32 v1, 1, v131
	s_delay_alu instid0(VALU_DEP_1) | instskip(NEXT) | instid1(VALU_DEP_3)
	v_add_nc_u32_e32 v2, s6, v1
	v_or_b32_e32 v1, s16, v0
	s_delay_alu instid0(VALU_DEP_2) | instskip(NEXT) | instid1(VALU_DEP_2)
	v_cmp_le_i32_e64 s0, s24, v2
	v_cmp_le_i32_e64 s1, s33, v1
	v_cmp_gt_i32_e32 vcc_lo, s33, v1
	s_or_b32 s0, s0, s1
	s_wait_alu 0xfffe
	s_and_saveexec_b32 s1, s0
	s_wait_alu 0xfffe
	s_xor_b32 s0, exec_lo, s1
	s_cbranch_execz .LBB9_462
; %bb.461:
	v_mul_u32_u24_e32 v1, 0xb0, v131
	v_lshlrev_b32_e32 v2, 2, v132
	s_delay_alu instid0(VALU_DEP_1)
	v_add3_u32 v1, 0, v1, v2
	v_mov_b32_e32 v2, 0
	ds_store_b32 v1, v2 offset:128
                                        ; implicit-def: $vgpr2
.LBB9_462:
	s_wait_alu 0xfffe
	s_or_saveexec_b32 s1, s0
	v_lshl_add_u32 v134, v132, 2, 0
	v_or_b32_e32 v1, 32, v132
	s_mul_f32 s3, s3, 0x4f7ffffe
	s_delay_alu instid0(VALU_DEP_2)
	v_mad_u32_u24 v133, 0xb0, v131, v134
	s_wait_alu 0xfffe
	s_xor_b32 exec_lo, exec_lo, s1
	s_cbranch_execz .LBB9_464
; %bb.463:
	v_mul_lo_u32 v2, v2, s7
	v_mul_lo_u32 v3, v0, s27
	s_delay_alu instid0(VALU_DEP_1) | instskip(NEXT) | instid1(VALU_DEP_1)
	v_add3_u32 v2, v3, v1, v2
	v_ashrrev_i32_e32 v3, 31, v2
	s_delay_alu instid0(VALU_DEP_1) | instskip(NEXT) | instid1(VALU_DEP_1)
	v_lshlrev_b64_e32 v[2:3], 3, v[2:3]
	v_add_co_u32 v2, s0, s8, v2
	s_wait_alu 0xf1ff
	s_delay_alu instid0(VALU_DEP_2) | instskip(SKIP_4) | instid1(VALU_DEP_1)
	v_add_co_ci_u32_e64 v3, null, s9, v3, s0
	global_load_b64 v[2:3], v[2:3], off
	s_wait_loadcnt 0x0
	v_cvt_f16_f32_e32 v2, v2
	v_cvt_f16_f32_e32 v3, v3
	v_pack_b32_f16 v2, v2, v3
	s_delay_alu instid0(VALU_DEP_1)
	v_pk_mul_f16 v2, v2, s18
	ds_store_b32 v133, v2 offset:128
.LBB9_464:
	s_or_b32 exec_lo, exec_lo, s1
	v_add_nc_u32_e32 v135, 16, v131
	s_cvt_u32_f32 s1, s3
	s_xor_b32 s3, vcc_lo, -1
	s_sub_co_i32 s19, 0, s21
	s_delay_alu instid0(VALU_DEP_1) | instskip(NEXT) | instid1(VALU_DEP_1)
	v_lshrrev_b32_e32 v2, 1, v135
	v_add_nc_u32_e32 v2, s6, v2
	s_delay_alu instid0(VALU_DEP_1)
	v_cmp_le_i32_e64 s0, s24, v2
	s_wait_alu 0xfffe
	s_or_b32 s0, s0, s3
	s_wait_alu 0xfffe
	s_and_saveexec_b32 s16, s0
	s_wait_alu 0xfffe
	s_xor_b32 s0, exec_lo, s16
	s_cbranch_execz .LBB9_466
; %bb.465:
	v_mul_u32_u24_e32 v2, 0xb0, v135
	v_lshlrev_b32_e32 v3, 2, v132
	s_delay_alu instid0(VALU_DEP_1)
	v_add3_u32 v2, 0, v2, v3
	v_mov_b32_e32 v3, 0
	ds_store_b32 v2, v3 offset:128
                                        ; implicit-def: $vgpr2
.LBB9_466:
	s_wait_alu 0xfffe
	s_or_saveexec_b32 s16, s0
	s_mul_i32 s0, s19, s1
	s_wait_alu 0xfffe
	s_xor_b32 exec_lo, exec_lo, s16
	s_cbranch_execz .LBB9_468
; %bb.467:
	v_mul_lo_u32 v2, v2, s7
	v_mul_lo_u32 v3, v0, s27
	s_delay_alu instid0(VALU_DEP_1) | instskip(NEXT) | instid1(VALU_DEP_1)
	v_add3_u32 v2, v3, v1, v2
	v_ashrrev_i32_e32 v3, 31, v2
	s_delay_alu instid0(VALU_DEP_1) | instskip(NEXT) | instid1(VALU_DEP_1)
	v_lshlrev_b64_e32 v[2:3], 3, v[2:3]
	v_add_co_u32 v2, vcc_lo, s8, v2
	s_wait_alu 0xfffd
	s_delay_alu instid0(VALU_DEP_2) | instskip(SKIP_4) | instid1(VALU_DEP_1)
	v_add_co_ci_u32_e64 v3, null, s9, v3, vcc_lo
	global_load_b64 v[2:3], v[2:3], off
	s_wait_loadcnt 0x0
	v_cvt_f16_f32_e32 v2, v2
	v_cvt_f16_f32_e32 v3, v3
	v_pack_b32_f16 v2, v2, v3
	v_mad_u32_u24 v3, 0xb0, v135, v134
	s_delay_alu instid0(VALU_DEP_2)
	v_pk_mul_f16 v2, v2, s18
	ds_store_b32 v3, v2 offset:128
.LBB9_468:
	s_or_b32 exec_lo, exec_lo, s16
	v_add_nc_u32_e32 v136, 32, v131
	s_mul_hi_u32 s0, s1, s0
	s_delay_alu instid0(VALU_DEP_1) | instskip(NEXT) | instid1(VALU_DEP_1)
	v_lshrrev_b32_e32 v2, 1, v136
	v_add_nc_u32_e32 v2, s6, v2
	s_delay_alu instid0(VALU_DEP_1)
	v_cmp_le_i32_e32 vcc_lo, s24, v2
	s_or_b32 s16, vcc_lo, s3
	s_wait_alu 0xfffe
	s_and_saveexec_b32 s19, s16
	s_wait_alu 0xfffe
	s_xor_b32 s16, exec_lo, s19
	s_cbranch_execz .LBB9_470
; %bb.469:
	v_mul_u32_u24_e32 v2, 0xb0, v136
	v_lshlrev_b32_e32 v3, 2, v132
	s_delay_alu instid0(VALU_DEP_1)
	v_add3_u32 v2, 0, v2, v3
	v_mov_b32_e32 v3, 0
	ds_store_b32 v2, v3 offset:128
                                        ; implicit-def: $vgpr2
.LBB9_470:
	s_wait_alu 0xfffe
	s_or_saveexec_b32 s19, s16
	s_abs_i32 s16, s2
	s_add_co_i32 s0, s1, s0
	s_wait_alu 0xfffe
	s_xor_b32 exec_lo, exec_lo, s19
	s_cbranch_execz .LBB9_472
; %bb.471:
	v_mul_lo_u32 v2, v2, s7
	v_mul_lo_u32 v3, v0, s27
	s_delay_alu instid0(VALU_DEP_1) | instskip(NEXT) | instid1(VALU_DEP_1)
	v_add3_u32 v2, v3, v1, v2
	v_ashrrev_i32_e32 v3, 31, v2
	s_delay_alu instid0(VALU_DEP_1) | instskip(NEXT) | instid1(VALU_DEP_1)
	v_lshlrev_b64_e32 v[2:3], 3, v[2:3]
	v_add_co_u32 v2, vcc_lo, s8, v2
	s_wait_alu 0xfffd
	s_delay_alu instid0(VALU_DEP_2) | instskip(SKIP_4) | instid1(VALU_DEP_1)
	v_add_co_ci_u32_e64 v3, null, s9, v3, vcc_lo
	global_load_b64 v[2:3], v[2:3], off
	s_wait_loadcnt 0x0
	v_cvt_f16_f32_e32 v2, v2
	v_cvt_f16_f32_e32 v3, v3
	v_pack_b32_f16 v2, v2, v3
	v_mad_u32_u24 v3, 0xb0, v136, v134
	s_delay_alu instid0(VALU_DEP_2)
	v_pk_mul_f16 v2, v2, s18
	ds_store_b32 v3, v2 offset:128
.LBB9_472:
	s_or_b32 exec_lo, exec_lo, s19
	v_add_nc_u32_e32 v137, 48, v131
	s_mov_b32 s1, s17
	s_delay_alu instid0(VALU_DEP_1) | instskip(NEXT) | instid1(VALU_DEP_1)
	v_lshrrev_b32_e32 v2, 1, v137
	v_add_nc_u32_e32 v2, s6, v2
	s_delay_alu instid0(VALU_DEP_1)
	v_cmp_le_i32_e32 vcc_lo, s24, v2
	s_or_b32 s3, vcc_lo, s3
	s_wait_alu 0xfffe
	s_and_saveexec_b32 s19, s3
	s_wait_alu 0xfffe
	s_xor_b32 s3, exec_lo, s19
	s_cbranch_execz .LBB9_474
; %bb.473:
	v_mul_u32_u24_e32 v0, 0xb0, v137
	v_lshlrev_b32_e32 v1, 2, v132
                                        ; implicit-def: $vgpr2
	s_delay_alu instid0(VALU_DEP_1)
	v_add3_u32 v0, 0, v0, v1
	v_mov_b32_e32 v1, 0
	ds_store_b32 v0, v1 offset:128
                                        ; implicit-def: $vgpr0
                                        ; implicit-def: $vgpr1
.LBB9_474:
	s_wait_alu 0xfffe
	s_or_saveexec_b32 s19, s3
	s_mul_u64 s[0:1], s[16:17], s[0:1]
	s_ashr_i32 s3, s2, 31
	s_wait_alu 0xfffe
	s_xor_b32 exec_lo, exec_lo, s19
	s_cbranch_execz .LBB9_476
; %bb.475:
	v_mul_lo_u32 v2, v2, s7
	v_mul_lo_u32 v0, v0, s27
	s_delay_alu instid0(VALU_DEP_1) | instskip(NEXT) | instid1(VALU_DEP_1)
	v_add3_u32 v0, v0, v1, v2
	v_ashrrev_i32_e32 v1, 31, v0
	s_delay_alu instid0(VALU_DEP_1) | instskip(NEXT) | instid1(VALU_DEP_1)
	v_lshlrev_b64_e32 v[0:1], 3, v[0:1]
	v_add_co_u32 v0, vcc_lo, s8, v0
	s_wait_alu 0xfffd
	s_delay_alu instid0(VALU_DEP_2) | instskip(SKIP_4) | instid1(VALU_DEP_1)
	v_add_co_ci_u32_e64 v1, null, s9, v1, vcc_lo
	global_load_b64 v[0:1], v[0:1], off
	s_wait_loadcnt 0x0
	v_cvt_f16_f32_e32 v0, v0
	v_cvt_f16_f32_e32 v1, v1
	v_pack_b32_f16 v0, v0, v1
	v_mad_u32_u24 v1, 0xb0, v137, v134
	s_delay_alu instid0(VALU_DEP_2)
	v_pk_mul_f16 v0, v0, s18
	ds_store_b32 v1, v0 offset:128
.LBB9_476:
	s_or_b32 exec_lo, exec_lo, s19
	v_lshrrev_b32_e32 v21, 2, v246
	v_and_b32_e32 v138, 15, v246
	v_readlane_b32 s8, v255, 8
	v_readlane_b32 s9, v255, 9
	s_mul_i32 s1, s1, s21
	v_and_b32_e32 v0, 0xfc, v21
	v_mul_u32_u24_e32 v182, 0xb0, v138
	s_wait_alu 0xfffe
	s_sub_co_i32 s7, s16, s1
	s_mul_i32 s0, s20, s9
	s_wait_alu 0xfffe
	s_sub_co_i32 s8, s7, s21
	v_dual_mov_b32 v144, 0 :: v_dual_lshlrev_b32 v139, 2, v0
	s_ashr_i32 s1, s0, 31
	s_cmp_ge_u32 s7, s21
	s_wait_storecnt 0x0
	s_wait_loadcnt_dscnt 0x0
	v_add3_u32 v0, v175, v182, v139
	s_wait_alu 0xfffe
	s_cselect_b32 s7, s8, s7
	s_barrier_signal -1
	s_barrier_wait -1
	global_inv scope:SCOPE_SE
	ds_load_b128 v[16:19], v0
	ds_load_b128 v[12:15], v0 offset:32
	ds_load_b128 v[8:11], v0 offset:64
	;; [unrolled: 1-line block ×4, first 2 shown]
	s_wait_alu 0xfffe
	s_sub_co_i32 s8, s7, s21
	s_cmp_ge_u32 s7, s21
	s_mul_u64 s[16:17], s[28:29], s[2:3]
	s_wait_alu 0xfffe
	s_cselect_b32 s7, s8, s7
	s_add_nc_u64 s[10:11], s[10:11], s[16:17]
	s_wait_alu 0xfffe
	s_xor_b32 s7, s7, s3
	v_readlane_b32 s16, v255, 5
	v_readlane_b32 s17, v255, 6
	s_wait_alu 0xfffe
	s_sub_co_i32 s8, s7, s3
	v_add_nc_u32_e32 v164, -1, v20
	s_wait_alu 0xfffe
	s_ashr_i32 s9, s8, 31
	v_lshlrev_b32_e32 v20, 1, v246
	s_wait_alu 0xfffe
	s_mul_u64 s[8:9], s[16:17], s[8:9]
	v_readlane_b32 s16, v255, 3
	v_readlane_b32 s17, v255, 4
	v_cmp_lt_i32_e32 vcc_lo, s94, v164
	s_movk_i32 s7, 0xb0
	s_mov_b32 s18, -1
	s_wait_loadcnt_dscnt 0x0
	s_mul_u64 s[16:17], s[16:17], s[2:3]
	s_mul_i32 s2, s20, s31
	s_wait_alu 0xfffe
	s_add_nc_u64 s[16:17], s[12:13], s[16:17]
	s_ashr_i32 s3, s2, 31
	s_barrier_signal -1
	s_barrier_wait -1
	global_inv scope:SCOPE_SE
	s_cbranch_vccnz .LBB9_480
; %bb.477:
	v_dual_mov_b32 v99, 0 :: v_dual_add_nc_u32 v24, s6, v222
	v_add_nc_u32_e32 v28, s6, v208
	s_ashr_i32 s35, s34, 31
	v_add_nc_u32_e32 v23, s6, v224
	v_dual_mov_b32 v161, 32 :: v_dual_add_nc_u32 v22, s6, v248
	v_mov_b32_e32 v107, v99
	v_mul_hi_u32 v30, s36, v28
	v_mul_hi_u32 v27, s36, v24
	s_delay_alu instid0(VALU_DEP_4)
	v_mul_hi_u32 v25, s36, v22
	s_ashr_i32 s27, s26, 31
	v_add_nc_u32_e32 v29, s6, v247
	s_wait_alu 0xfffe
	v_dual_mov_b32 v61, s35 :: v_dual_mov_b32 v60, s34
	v_mul_hi_u32 v26, s36, v23
	v_add_nc_u32_e32 v30, v28, v30
	v_add_nc_u32_e32 v27, v24, v27
	;; [unrolled: 1-line block ×5, first 2 shown]
	v_lshrrev_b32_e32 v30, s37, v30
	v_lshrrev_b32_e32 v27, s37, v27
	v_dual_mov_b32 v41, s27 :: v_dual_add_nc_u32 v26, v23, v26
	v_lshrrev_b32_e32 v25, s37, v25
	v_mov_b32_e32 v40, s26
	v_mul_hi_u32 v32, s36, v29
	s_delay_alu instid0(VALU_DEP_4)
	v_lshrrev_b32_e32 v26, s37, v26
	v_mul_lo_u32 v27, v27, s24
	v_mul_lo_u32 v25, v25, s24
	v_lshlrev_b32_e32 v140, 4, v248
	s_movk_i32 s12, 0x240
	v_mul_lo_u32 v26, v26, s24
	s_wait_alu 0xfffe
	v_mad_u32_u24 v147, 0x90, v248, s12
	v_add_nc_u32_e32 v32, v29, v32
	s_movk_i32 s12, 0x6c0
	v_sub_nc_u32_e32 v24, v24, v27
	v_sub_nc_u32_e32 v22, v22, v25
	v_mul_lo_u32 v25, v30, s24
	s_wait_alu 0xfffe
	v_mad_u32_u24 v150, 0x90, v248, s12
	v_sub_nc_u32_e32 v23, v23, v26
	v_mad_co_i64_i32 v[104:105], null, v24, s38, 0
	v_lshrrev_b32_e32 v24, s37, v32
	v_add_nc_u32_e32 v26, s6, v205
	s_delay_alu instid0(VALU_DEP_4) | instskip(SKIP_1) | instid1(VALU_DEP_4)
	v_mad_co_i64_i32 v[100:101], null, v23, s38, 0
	v_mul_hi_u32 v23, s36, v33
	v_mul_lo_u32 v24, v24, s24
	s_delay_alu instid0(VALU_DEP_4)
	v_mul_hi_u32 v27, s36, v26
	v_sub_nc_u32_e32 v25, v28, v25
	v_mad_co_i64_i32 v[102:103], null, v22, s38, 0
	v_mul_hi_u32 v22, s36, v31
	s_movk_i32 s12, 0x900
	v_add_nc_u32_e32 v23, v33, v23
	v_mad_co_i64_i32 v[108:109], null, v25, s38, 0
	v_sub_nc_u32_e32 v24, v29, v24
	v_add_nc_u32_e32 v25, v26, v27
	s_delay_alu instid0(VALU_DEP_4)
	v_lshrrev_b32_e32 v23, s37, v23
	v_add_nc_u32_e32 v22, v31, v22
	s_wait_alu 0xfffe
	v_mad_u32_u24 v151, 0x90, v248, s12
	v_mad_co_i64_i32 v[111:112], null, v24, s38, 0
	v_mul_lo_u32 v23, v23, s24
	v_lshrrev_b32_e32 v24, s37, v25
	v_lshrrev_b32_e32 v22, s37, v22
	;; [unrolled: 1-line block ×3, first 2 shown]
	s_movk_i32 s12, 0xb40
	v_mul_lo_u32 v121, s26, v131
	v_mul_lo_u32 v24, v24, s24
	;; [unrolled: 1-line block ×3, first 2 shown]
	v_sub_nc_u32_e32 v23, v33, v23
	v_mul_lo_u32 v90, s34, v131
	s_wait_alu 0xfffe
	v_mad_u32_u24 v152, 0x90, v248, s12
	s_movk_i32 s12, 0xd80
	v_mad_u32_u24 v157, v131, s7, 0xb00
	v_mad_co_i64_i32 v[115:116], null, v23, s38, 0
	v_sub_nc_u32_e32 v23, v26, v24
	v_and_b32_e32 v24, 0x1f8, v25
	v_sub_nc_u32_e32 v22, v31, v22
	s_movk_i32 s7, 0x1600
	s_wait_alu 0xfffe
	v_mad_u32_u24 v153, 0x90, v248, s12
	v_mad_co_i64_i32 v[117:118], null, v23, s38, 0
	v_lshlrev_b32_e32 v23, 2, v246
	v_mad_co_i64_i32 v[119:120], null, v22, s38, 0
	v_add_nc_u32_e32 v22, v25, v140
	v_add_nc_u32_e32 v25, 18, v24
	s_delay_alu instid0(VALU_DEP_4)
	v_and_or_b32 v98, v23, 4, 32
	v_and_b32_e32 v106, 28, v23
	v_and_or_b32 v23, v246, 14, v140
	s_movk_i32 s12, 0xfc0
	v_mad_u32_u24 v158, 0xb0, v131, s7
	s_movk_i32 s7, 0x2100
	s_wait_alu 0xfffe
	v_mad_u32_u24 v154, 0x90, v248, s12
	v_lshrrev_b32_e32 v23, 1, v23
	s_lshl_b32 s12, s26, 4
	v_mad_u32_u24 v167, 0xb0, v131, s7
	s_lshl_b32 s7, s34, 4
	s_wait_alu 0xfffe
	v_add_nc_u32_e32 v123, s12, v121
	v_mul_u32_u24_e32 v165, 0x90, v23
	v_add_nc_u32_e32 v23, 16, v24
	v_add_nc_u32_e32 v26, 20, v24
	;; [unrolled: 1-line block ×3, first 2 shown]
	v_lshrrev_b32_e32 v171, 1, v25
	v_add_nc_u32_e32 v25, 34, v24
	v_lshrrev_b32_e32 v170, 1, v23
	v_add_nc_u32_e32 v23, 22, v24
	v_add_nc_u32_e32 v92, s7, v90
	v_mul_lo_u32 v113, s26, v22
	v_mul_u32_u24_e32 v155, 0xb0, v22
	v_add_nc_u32_e32 v125, s12, v123
	v_lshrrev_b32_e32 v173, 1, v23
	v_add_nc_u32_e32 v23, 36, v24
	v_lshrrev_b32_e32 v169, 1, v24
	v_lshrrev_b32_e32 v172, 1, v26
	;; [unrolled: 1-line block ×3, first 2 shown]
	v_add_nc_u32_e32 v26, 38, v24
	v_lshrrev_b32_e32 v175, 1, v25
	v_add_nc_u32_e32 v25, 48, v24
	v_add_nc_u32_e32 v27, 50, v24
	v_lshrrev_b32_e32 v176, 1, v23
	v_add_nc_u32_e32 v23, 52, v24
	v_add_nc_u32_e32 v24, 54, v24
	v_mul_lo_u32 v94, s34, v22
	v_add_nc_u32_e32 v96, s7, v92
	v_lshlrev_b32_e32 v22, 1, v21
	v_add_nc_u32_e32 v127, s12, v125
	v_mbcnt_lo_u32_b32 v162, -1, 0
	v_lshrrev_b32_e32 v180, 1, v23
	v_lshrrev_b32_e32 v181, 1, v24
	v_add_nc_u32_e32 v88, s7, v96
	v_and_b32_e32 v23, 0x1f8, v22
	v_or_b32_e32 v24, 6, v22
	v_or_b32_e32 v22, 7, v22
	s_movk_i32 s13, 0x480
	v_mul_u32_u24_e32 v146, 0x90, v248
	s_wait_alu 0xfffe
	v_mad_u32_u24 v148, 0x90, v248, s13
	v_ashrrev_i32_e32 v114, 31, v113
	v_mul_u32_u24_e32 v156, 0xb0, v131
	v_ashrrev_i32_e32 v122, 31, v121
	v_ashrrev_i32_e32 v124, 31, v123
	v_ashrrev_i32_e32 v126, 31, v125
	v_ashrrev_i32_e32 v128, 31, v127
	v_or_b32_e32 v168, 3, v21
	v_lshrrev_b32_e32 v177, 1, v26
	v_lshrrev_b32_e32 v178, 1, v25
	;; [unrolled: 1-line block ×3, first 2 shown]
	v_xor_b32_e32 v163, 16, v162
	v_ashrrev_i32_e32 v95, 31, v94
	v_ashrrev_i32_e32 v91, 31, v90
	;; [unrolled: 1-line block ×5, first 2 shown]
	v_mul_u32_u24_e32 v145, 0xb0, v23
	v_mul_u32_u24_e32 v143, 0xb0, v24
	;; [unrolled: 1-line block ×3, first 2 shown]
	s_mov_b32 s18, 0
	s_branch .LBB9_481
.LBB9_478:
                                        ; implicit-def: $sgpr48_sgpr49
	s_load_b64 s[46:47], s[60:61], 0x74
	v_cvt_f32_u32_e32 v1, s22
	s_branch .LBB9_2
.LBB9_479:
                                        ; implicit-def: $sgpr54_sgpr55
	s_load_b64 s[36:37], s[60:61], 0x5c
	s_branch .LBB9_5
.LBB9_480:
                                        ; implicit-def: $vgpr146
                                        ; implicit-def: $vgpr102_vgpr103
                                        ; implicit-def: $vgpr147
                                        ; implicit-def: $vgpr100_vgpr101
                                        ; implicit-def: $vgpr148
                                        ; implicit-def: $vgpr104_vgpr105
                                        ; implicit-def: $vgpr150
                                        ; implicit-def: $vgpr108_vgpr109
                                        ; implicit-def: $vgpr151
                                        ; implicit-def: $vgpr111_vgpr112
                                        ; implicit-def: $vgpr152
                                        ; implicit-def: $vgpr119_vgpr120
                                        ; implicit-def: $vgpr153
                                        ; implicit-def: $vgpr115_vgpr116
                                        ; implicit-def: $vgpr154
                                        ; implicit-def: $vgpr117_vgpr118
                                        ; implicit-def: $vgpr40_vgpr41
                                        ; implicit-def: $vgpr140
                                        ; implicit-def: $vgpr155
                                        ; implicit-def: $vgpr113_vgpr114
                                        ; implicit-def: $vgpr98
                                        ; implicit-def: $vgpr156
                                        ; implicit-def: $vgpr106
                                        ; implicit-def: $vgpr121_vgpr122
                                        ; implicit-def: $vgpr157
                                        ; implicit-def: $vgpr123_vgpr124
                                        ; implicit-def: $vgpr158
                                        ; implicit-def: $vgpr125_vgpr126
                                        ; implicit-def: $vgpr167
                                        ; implicit-def: $vgpr127_vgpr128
                                        ; implicit-def: $vgpr165
                                        ; implicit-def: $vgpr169
                                        ; implicit-def: $vgpr168
                                        ; implicit-def: $vgpr170
                                        ; implicit-def: $vgpr171
                                        ; implicit-def: $vgpr172
                                        ; implicit-def: $vgpr173
                                        ; implicit-def: $vgpr174
                                        ; implicit-def: $vgpr175
                                        ; implicit-def: $vgpr176
                                        ; implicit-def: $vgpr177
                                        ; implicit-def: $vgpr178
                                        ; implicit-def: $vgpr179
                                        ; implicit-def: $vgpr180
                                        ; implicit-def: $vgpr181
                                        ; implicit-def: $vgpr162
                                        ; implicit-def: $vgpr163
                                        ; implicit-def: $vgpr161
                                        ; implicit-def: $vgpr60_vgpr61
                                        ; implicit-def: $vgpr94_vgpr95
                                        ; implicit-def: $vgpr90_vgpr91
                                        ; implicit-def: $vgpr92_vgpr93
                                        ; implicit-def: $vgpr96_vgpr97
                                        ; implicit-def: $vgpr88_vgpr89
                                        ; implicit-def: $vgpr145
                                        ; implicit-def: $vgpr143
                                        ; implicit-def: $vgpr142
.LBB9_481:
	v_lshlrev_b32_e32 v183, 1, v20
	v_lshlrev_b32_e32 v141, 1, v138
	s_add_nc_u64 s[10:11], s[10:11], s[0:1]
	s_add_nc_u64 s[12:13], s[14:15], s[8:9]
	s_wait_alu 0xfffe
	s_and_not1_b32 vcc_lo, exec_lo, s18
	s_add_nc_u64 s[8:9], s[16:17], s[2:3]
	s_wait_alu 0xfffe
	s_cbranch_vccnz .LBB9_485
; %bb.482:
	v_mbcnt_lo_u32_b32 v162, -1, 0
	v_dual_mov_b32 v99, 0 :: v_dual_add_nc_u32 v20, s6, v248
	v_dual_mov_b32 v161, 32 :: v_dual_add_nc_u32 v22, s6, v224
	s_delay_alu instid0(VALU_DEP_3) | instskip(NEXT) | instid1(VALU_DEP_3)
	v_xor_b32_e32 v163, 16, v162
	v_mul_hi_u32 v24, s36, v20
	s_delay_alu instid0(VALU_DEP_4) | instskip(NEXT) | instid1(VALU_DEP_4)
	v_dual_mov_b32 v144, v99 :: v_dual_add_nc_u32 v27, s6, v208
	v_mul_hi_u32 v25, s36, v22
	s_delay_alu instid0(VALU_DEP_4) | instskip(SKIP_1) | instid1(VALU_DEP_4)
	v_cmp_gt_i32_e32 vcc_lo, 32, v163
	v_add_nc_u32_e32 v23, s6, v222
	v_mul_hi_u32 v28, s36, v27
	v_dual_mov_b32 v149, 0xfeffffff :: v_dual_add_nc_u32 v24, v20, v24
	v_mov_b32_e32 v32, v99
	s_delay_alu instid0(VALU_DEP_4) | instskip(SKIP_4) | instid1(VALU_DEP_4)
	v_mul_hi_u32 v26, s36, v23
	v_add_nc_u32_e32 v25, v22, v25
	v_dual_mov_b32 v34, v99 :: v_dual_add_nc_u32 v29, s6, v247
	v_lshrrev_b32_e32 v24, s37, v24
	v_add_nc_u32_e32 v28, v27, v28
	v_lshrrev_b32_e32 v25, s37, v25
	s_delay_alu instid0(VALU_DEP_4) | instskip(SKIP_4) | instid1(VALU_DEP_4)
	v_mul_hi_u32 v30, s36, v29
	v_add_nc_u32_e32 v26, v23, v26
	v_mul_lo_u32 v24, v24, s24
	v_dual_mov_b32 v39, v99 :: v_dual_lshlrev_b32 v140, 4, v248
	v_mul_lo_u32 v25, v25, s24
	v_lshrrev_b32_e32 v26, s37, v26
	v_add_co_u32 v184, s0, s12, v183
	v_mov_b32_e32 v36, v99
	v_sub_nc_u32_e32 v20, v20, v24
	s_delay_alu instid0(VALU_DEP_4)
	v_mul_lo_u32 v26, v26, s24
	v_lshrrev_b32_e32 v24, s37, v28
	v_sub_nc_u32_e32 v22, v22, v25
	v_add_nc_u32_e32 v25, v29, v30
	v_mad_co_i64_i32 v[102:103], null, v20, s38, 0
	v_dual_mov_b32 v33, v99 :: v_dual_add_nc_u32 v20, s6, v207
	v_sub_nc_u32_e32 v23, v23, v26
	v_mad_co_i64_i32 v[100:101], null, v22, s38, 0
	v_mul_lo_u32 v22, v24, s24
	v_dual_mov_b32 v35, v99 :: v_dual_add_nc_u32 v24, s6, v206
	v_mul_hi_u32 v26, s36, v20
	v_mad_co_i64_i32 v[104:105], null, v23, s38, 0
	s_delay_alu instid0(VALU_DEP_3) | instskip(SKIP_4) | instid1(VALU_DEP_4)
	v_mul_hi_u32 v23, s36, v24
	v_lshrrev_b32_e32 v25, s37, v25
	v_sub_nc_u32_e32 v22, v27, v22
	v_dual_mov_b32 v38, v99 :: v_dual_add_nc_u32 v27, s6, v205
	v_dual_mov_b32 v37, v99 :: v_dual_add_nc_u32 v26, v20, v26
	v_mul_lo_u32 v25, v25, s24
	v_add_nc_u32_e32 v23, v24, v23
	v_mad_co_i64_i32 v[108:109], null, v22, s38, 0
	s_delay_alu instid0(VALU_DEP_4) | instskip(SKIP_1) | instid1(VALU_DEP_4)
	v_lshrrev_b32_e32 v26, s37, v26
	v_mul_hi_u32 v28, s36, v27
	v_lshrrev_b32_e32 v22, s37, v23
	s_wait_alu 0xf1ff
	v_add_co_ci_u32_e64 v185, null, s13, 0, s0
	v_sub_nc_u32_e32 v23, v29, v25
	v_mul_lo_u32 v25, v26, s24
	v_mul_lo_u32 v22, v22, s24
	s_movk_i32 s0, 0x240
	v_add_nc_u32_e32 v26, v27, v28
	v_mad_co_i64_i32 v[111:112], null, v23, s38, 0
	v_mul_u32_u24_e32 v156, 0xb0, v131
	s_wait_alu 0xfffe
	v_mad_u32_u24 v147, 0x90, v248, s0
	v_sub_nc_u32_e32 v20, v20, v25
	v_sub_nc_u32_e32 v22, v24, v22
	v_lshrrev_b32_e32 v24, 1, v246
	v_lshrrev_b32_e32 v23, s37, v26
	s_movk_i32 s0, 0x480
	v_mad_co_i64_i32 v[119:120], null, v20, s38, 0
	s_delay_alu instid0(VALU_DEP_3) | instskip(SKIP_3) | instid1(VALU_DEP_4)
	v_add_nc_u32_e32 v20, v24, v140
	v_and_b32_e32 v24, 0x1f8, v24
	v_mul_lo_u32 v23, v23, s24
	v_mad_co_i64_i32 v[115:116], null, v22, s38, 0
	v_mad_u32_u24 v25, 0xb0, v20, 0
	s_delay_alu instid0(VALU_DEP_4)
	v_add_nc_u32_e32 v30, 38, v24
	v_add_nc_u32_e32 v28, 22, v24
	;; [unrolled: 1-line block ×3, first 2 shown]
	s_wait_alu 0xfffe
	v_mad_u32_u24 v148, 0x90, v248, s0
	v_sub_nc_u32_e32 v22, v27, v23
	v_lshlrev_b32_e32 v23, 2, v246
	v_lshrrev_b32_e32 v177, 1, v30
	v_add_nc_u32_e32 v30, 50, v24
	v_add_nc_u32_e32 v27, 20, v24
	v_mad_co_i64_i32 v[117:118], null, v22, s38, 0
	v_lshrrev_b32_e32 v173, 1, v28
	s_delay_alu instid0(VALU_DEP_4)
	v_lshrrev_b32_e32 v179, 1, v30
	v_mov_b32_e32 v30, v99
	v_and_b32_e32 v22, 4, v23
	v_and_b32_e32 v106, 28, v23
	v_lshrrev_b32_e32 v172, 1, v27
	v_add_nc_u32_e32 v28, 34, v24
	s_movk_i32 s0, 0x6c0
	v_lshlrev_b32_e32 v23, 2, v22
	v_lshlrev_b32_e32 v26, 2, v106
	s_wait_alu 0xfffe
	v_mad_u32_u24 v150, 0x90, v248, s0
	s_movk_i32 s0, 0x900
	v_lshrrev_b32_e32 v175, 1, v28
	v_add3_u32 v186, v25, v23, 0x80
	v_and_or_b32 v23, v246, 14, v140
	v_lshrrev_b32_e32 v176, 1, v29
	s_wait_alu 0xfffe
	v_mad_u32_u24 v151, 0x90, v248, s0
	s_movk_i32 s0, 0xb40
	v_mul_lo_u32 v121, s26, v131
	v_lshrrev_b32_e32 v23, 1, v23
	s_wait_alu 0xfffe
	v_mad_u32_u24 v152, 0x90, v248, s0
	s_movk_i32 s0, 0xd80
	v_or_b32_e32 v168, 3, v21
	s_wait_alu 0xfffe
	v_mad_u32_u24 v153, 0x90, v248, s0
	v_mad_u32_u24 v25, 0x90, v23, 0
	s_movk_i32 s0, 0xfc0
	v_lshlrev_b32_e32 v21, 1, v21
	s_wait_alu 0xfffe
	v_mad_u32_u24 v154, 0x90, v248, s0
	s_lshl_b32 s0, s26, 4
	v_lshl_add_u32 v27, v27, 1, v25
	v_lshl_add_u32 v28, v29, 1, v25
	v_add_nc_u32_e32 v29, 48, v24
	s_wait_alu 0xfffe
	v_add_nc_u32_e32 v123, s0, v121
	v_mul_lo_u32 v90, s34, v131
	v_add_nc_u32_e32 v201, 0x2c00, v27
	v_mov_b32_e32 v27, v99
	v_add3_u32 v187, 0, v156, v26
	v_add_nc_u32_e32 v26, 18, v24
	v_lshrrev_b32_e32 v178, 1, v29
	v_lshl_add_u32 v29, v29, 1, v25
	v_mul_u32_u24_e32 v165, 0x90, v23
	v_lshrrev_b32_e32 v169, 1, v24
	v_lshrrev_b32_e32 v171, 1, v26
	v_add_nc_u32_e32 v26, 32, v24
	v_dual_mov_b32 v29, v99 :: v_dual_add_nc_u32 v204, 0x2c00, v29
	v_mul_lo_u32 v113, s26, v20
	v_mul_u32_u24_e32 v155, 0xb0, v20
	s_delay_alu instid0(VALU_DEP_4)
	v_lshrrev_b32_e32 v174, 1, v26
	v_lshl_add_u32 v26, v26, 1, v25
	v_mul_lo_u32 v94, s34, v20
	s_wait_alu 0xfffd
	v_dual_cndmask_b32 v20, v162, v163 :: v_dual_add_nc_u32 v23, 16, v24
	v_lshl_add_u32 v192, v24, 1, v25
	v_add_nc_u32_e32 v202, 0x2c00, v26
	v_dual_mov_b32 v26, v99 :: v_dual_add_nc_u32 v125, s0, v123
	s_delay_alu instid0(VALU_DEP_4)
	v_lshlrev_b32_e32 v194, 2, v20
	v_and_b32_e32 v20, 0x1f8, v21
	v_add_nc_u32_e32 v31, 52, v24
	v_add_nc_u32_e32 v24, 54, v24
	s_movk_i32 s1, 0xb00
	v_lshl_add_u32 v193, v168, 2, v25
	v_mul_u32_u24_e32 v145, 0xb0, v20
	v_dual_mov_b32 v20, v99 :: v_dual_add_nc_u32 v127, s0, v125
	s_lshl_b32 s0, s34, 4
	v_lshrrev_b32_e32 v181, 1, v24
	s_wait_alu 0xfffe
	v_add_nc_u32_e32 v92, s0, v90
	v_or_b32_e32 v24, 6, v21
	v_or_b32_e32 v21, 7, v21
	v_lshrrev_b32_e32 v170, 1, v23
	v_lshl_add_u32 v23, v23, 1, v25
	v_add_nc_u32_e32 v96, s0, v92
	v_lshl_add_u32 v25, v31, 1, v25
	v_mul_u32_u24_e32 v143, 0xb0, v24
	v_mul_u32_u24_e32 v142, 0xb0, v21
	v_mad_u32_u24 v157, 0xb0, v131, s1
	v_add_nc_u32_e32 v88, s0, v96
	s_movk_i32 s1, 0x1600
	v_dual_mov_b32 v107, v99 :: v_dual_add_nc_u32 v166, 0, v183
	s_wait_alu 0xfffe
	v_mad_u32_u24 v158, 0xb0, v131, s1
	s_movk_i32 s1, 0x2100
	v_mul_u32_u24_e32 v146, 0x90, v248
	v_ashrrev_i32_e32 v114, 31, v113
	v_ashrrev_i32_e32 v122, 31, v121
	v_dual_mov_b32 v21, v99 :: v_dual_add_nc_u32 v188, 0xb00, v187
	v_ashrrev_i32_e32 v124, 31, v123
	v_add_nc_u32_e32 v189, 0x1600, v187
	v_ashrrev_i32_e32 v126, 31, v125
	s_wait_alu 0xfffe
	v_mad_u32_u24 v167, 0xb0, v131, s1
	v_add_nc_u32_e32 v190, 0x2100, v187
	v_ashrrev_i32_e32 v128, 31, v127
	v_add3_u32 v191, 0, v182, v139
	v_lshrrev_b32_e32 v180, 1, v31
	v_ashrrev_i32_e32 v95, 31, v94
	v_ashrrev_i32_e32 v91, 31, v90
	;; [unrolled: 1-line block ×5, first 2 shown]
	v_add3_u32 v195, 0, v145, v141
	v_add3_u32 v196, 0, v143, v141
	;; [unrolled: 1-line block ×3, first 2 shown]
	v_add_nc_u32_e32 v200, 0x2c00, v23
	v_add_nc_u32_e32 v203, 0x2c00, v28
	v_dual_mov_b32 v28, v99 :: v_dual_add_nc_u32 v205, 0x2c00, v25
	v_mov_b32_e32 v31, v99
	v_or_b32_e32 v98, 32, v22
	v_lshlrev_b32_e32 v198, 2, v22
	v_dual_mov_b32 v24, v99 :: v_dual_mov_b32 v25, v99
	v_dual_mov_b32 v22, v99 :: v_dual_lshlrev_b32 v199, 2, v106
	v_mov_b32_e32 v23, v99
	s_ashr_i32 s27, s26, 31
	s_ashr_i32 s35, s34, 31
	s_lshl_b32 s14, s94, 6
.LBB9_483:                              ; =>This Inner Loop Header: Depth=1
	s_delay_alu instid0(SALU_CYCLE_1)
	s_ashr_i32 s15, s14, 31
	v_lshlrev_b64_e32 v[40:41], 1, v[102:103]
	s_lshl_b64 s[0:1], s[14:15], 1
	v_lshlrev_b64_e32 v[42:43], 1, v[100:101]
	s_wait_alu 0xfffe
	v_add_co_u32 v56, vcc_lo, v184, s0
	s_wait_alu 0xfffd
	v_add_co_ci_u32_e64 v57, null, s1, v185, vcc_lo
	v_lshlrev_b64_e32 v[44:45], 1, v[104:105]
	s_delay_alu instid0(VALU_DEP_3)
	v_add_co_u32 v40, vcc_lo, v56, v40
	v_lshlrev_b64_e32 v[46:47], 1, v[108:109]
	s_wait_alu 0xfffd
	v_add_co_ci_u32_e64 v41, null, v57, v41, vcc_lo
	v_add_co_u32 v42, vcc_lo, v56, v42
	v_lshlrev_b64_e32 v[48:49], 1, v[111:112]
	s_wait_alu 0xfffd
	v_add_co_ci_u32_e64 v43, null, v57, v43, vcc_lo
	;; [unrolled: 4-line block ×5, first 2 shown]
	v_add_co_u32 v50, vcc_lo, v56, v50
	s_wait_alu 0xfffd
	v_add_co_ci_u32_e64 v51, null, v57, v51, vcc_lo
	v_add_co_u32 v52, vcc_lo, v56, v52
	s_wait_alu 0xfffd
	v_add_co_ci_u32_e64 v53, null, v57, v53, vcc_lo
	v_add_co_u32 v54, vcc_lo, v56, v54
	s_wait_alu 0xfffd
	v_add_co_ci_u32_e64 v55, null, v57, v55, vcc_lo
	s_clause 0x6
	global_load_b32 v40, v[40:41], off
	global_load_b32 v41, v[42:43], off
	;; [unrolled: 1-line block ×7, first 2 shown]
	v_add_nc_u32_e32 v47, v166, v146
	s_mul_u64 s[0:1], s[14:15], s[26:27]
	s_add_co_i32 s94, s94, 1
	s_wait_alu 0xfffe
	s_lshl_b64 s[0:1], s[0:1], 2
	v_add_nc_u32_e32 v48, 0x2c00, v47
	s_wait_alu 0xfffe
	s_add_nc_u64 s[0:1], s[10:11], s[0:1]
	s_wait_loadcnt 0x5
	ds_store_2addr_b32 v48, v40, v41 offset1:144
	v_add_nc_u32_e32 v40, 0x3000, v47
	v_add_nc_u32_e32 v41, v166, v152
	s_wait_loadcnt 0x3
	ds_store_2addr_b32 v40, v42, v43 offset0:32 offset1:176
	global_load_b32 v40, v[50:51], off
	v_add_nc_u32_e32 v42, 0x2c00, v41
	s_wait_loadcnt 0x0
	ds_store_2addr_b32 v42, v40, v44 offset1:144
	ds_store_b32 v47, v46 offset:13568
	ds_store_b32 v41, v45 offset:12416
	v_lshlrev_b64_e32 v[40:41], 2, v[113:114]
	s_wait_alu 0xfffe
	s_delay_alu instid0(VALU_DEP_1) | instskip(SKIP_1) | instid1(VALU_DEP_2)
	v_add_co_u32 v42, vcc_lo, s0, v40
	s_wait_alu 0xfffd
	v_add_co_ci_u32_e64 v43, null, s1, v41, vcc_lo
	v_lshlrev_b64_e32 v[40:41], 2, v[121:122]
	s_delay_alu instid0(VALU_DEP_1) | instskip(SKIP_1) | instid1(VALU_DEP_2)
	v_add_co_u32 v44, vcc_lo, s0, v40
	s_wait_alu 0xfffd
	v_add_co_ci_u32_e64 v45, null, s1, v41, vcc_lo
	v_add_co_u32 v40, vcc_lo, v42, v198
	s_wait_alu 0xfffd
	v_add_co_ci_u32_e64 v41, null, 0, v43, vcc_lo
	;; [unrolled: 3-line block ×3, first 2 shown]
	s_clause 0x1
	global_load_b128 v[40:43], v[40:41], off offset:128
	global_load_b128 v[44:47], v[44:45], off
	s_wait_loadcnt 0x1
	ds_store_b128 v186, v[40:43]
	v_lshlrev_b64_e32 v[40:41], 2, v[123:124]
	s_delay_alu instid0(VALU_DEP_1) | instskip(SKIP_1) | instid1(VALU_DEP_2)
	v_add_co_u32 v42, vcc_lo, s0, v40
	s_wait_alu 0xfffd
	v_add_co_ci_u32_e64 v43, null, s1, v41, vcc_lo
	v_lshlrev_b64_e32 v[40:41], 2, v[125:126]
	s_delay_alu instid0(VALU_DEP_1) | instskip(SKIP_1) | instid1(VALU_DEP_2)
	v_add_co_u32 v48, vcc_lo, s0, v40
	s_wait_alu 0xfffd
	v_add_co_ci_u32_e64 v49, null, s1, v41, vcc_lo
	v_add_co_u32 v40, vcc_lo, v42, v199
	s_wait_alu 0xfffd
	v_add_co_ci_u32_e64 v41, null, 0, v43, vcc_lo
	;; [unrolled: 3-line block ×3, first 2 shown]
	s_clause 0x1
	global_load_b128 v[40:43], v[40:41], off
	global_load_b128 v[48:51], v[48:49], off
	s_wait_loadcnt 0x2
	ds_store_b128 v187, v[44:47]
	s_wait_loadcnt 0x1
	ds_store_b128 v188, v[40:43]
	v_lshlrev_b64_e32 v[40:41], 2, v[127:128]
	s_delay_alu instid0(VALU_DEP_1) | instskip(SKIP_1) | instid1(VALU_DEP_2)
	v_add_co_u32 v40, vcc_lo, s0, v40
	s_wait_alu 0xfffd
	v_add_co_ci_u32_e64 v41, null, s1, v41, vcc_lo
	s_mul_u64 s[0:1], s[14:15], s[34:35]
	v_add_co_u32 v40, vcc_lo, v40, v199
	s_wait_alu 0xfffd
	v_add_co_ci_u32_e64 v41, null, 0, v41, vcc_lo
	s_wait_alu 0xfffe
	s_lshl_b64 s[0:1], s[0:1], 2
	s_add_co_i32 s14, s14, 64
	s_wait_alu 0xfffe
	s_add_nc_u64 s[0:1], s[8:9], s[0:1]
	global_load_b128 v[40:43], v[40:41], off
	s_wait_loadcnt 0x1
	ds_store_b128 v189, v[48:51]
	s_wait_loadcnt 0x0
	ds_store_b128 v190, v[40:43]
	s_wait_dscnt 0x0
	s_barrier_signal -1
	s_barrier_wait -1
	global_inv scope:SCOPE_SE
	ds_load_b128 v[51:54], v191
	ds_load_b128 v[55:58], v191 offset:32
	s_wait_dscnt 0x1
	v_wmma_f32_16x16x16_f16 v[43:50], v[51:54], v[16:19], 0
	s_wait_dscnt 0x0
	s_delay_alu instid0(VALU_DEP_1)
	v_wmma_f32_16x16x16_f16 v[43:50], v[55:58], v[12:15], v[43:50]
	ds_load_b128 v[51:54], v191 offset:64
	ds_load_b128 v[55:58], v191 offset:96
	s_wait_dscnt 0x1
	v_wmma_f32_16x16x16_f16 v[43:50], v[51:54], v[8:11], v[43:50]
	ds_load_b128 v[51:54], v191 offset:128
	ds_load_b128 v[61:64], v191 offset:2816
	;; [unrolled: 1-line block ×16, first 2 shown]
	s_wait_loadcnt_dscnt 0x0
	s_barrier_signal -1
	v_wmma_f32_16x16x16_f16 v[43:50], v[55:58], v[4:7], v[43:50]
	s_barrier_wait -1
	global_inv scope:SCOPE_SE
	v_wmma_f32_16x16x16_f16 v[43:50], v[51:54], v[0:3], v[43:50]
	v_add_nc_u32_e32 v40, 0x2c00, v192
	ds_load_2addr_b32 v[40:41], v40 offset1:1
	ds_load_2addr_b32 v[51:52], v200 offset1:1
	ds_load_b32 v42, v193 offset:11264
	ds_load_b32 v55, v192 offset:11272
	s_wait_dscnt 0x3
	v_cvt_f32_f16_e32 v53, v40
	v_lshrrev_b32_e32 v40, 16, v40
	v_cvt_f32_f16_e32 v54, v41
	v_lshrrev_b32_e32 v41, 16, v41
	s_wait_dscnt 0x0
	v_cvt_f32_f16_e32 v56, v55
	v_lshrrev_b32_e32 v55, 16, v55
	v_lshrrev_b32_e32 v57, 16, v42
	v_cvt_f32_f16_e32 v42, v42
	v_cvt_f32_f16_e32 v58, v40
	;; [unrolled: 1-line block ×5, first 2 shown]
	v_add_f32_e32 v40, v43, v53
	v_add_f32_e32 v44, v44, v58
	;; [unrolled: 1-line block ×5, first 2 shown]
	v_dual_add_f32 v43, v49, v42 :: v_dual_add_f32 v42, v50, v57
	v_cvt_f32_f16_e32 v50, v51
	v_add_f32_e32 v46, v48, v55
	v_wmma_f32_16x16x16_f16 v[53:60], v[61:64], v[16:19], 0
	v_lshrrev_b32_e32 v63, 16, v51
	v_cvt_f32_f16_e32 v64, v52
	s_delay_alu instid0(VALU_DEP_3)
	v_wmma_f32_16x16x16_f16 v[53:60], v[65:68], v[12:15], v[53:60]
	v_lshrrev_b32_e32 v65, 16, v52
	ds_load_2addr_b32 v[48:49], v201 offset1:1
	ds_load_2addr_b32 v[51:52], v202 offset1:1
	;; [unrolled: 1-line block ×4, first 2 shown]
	v_cvt_f32_f16_e32 v63, v63
	v_wmma_f32_16x16x16_f16 v[53:60], v[69:72], v[8:11], v[53:60]
	v_cvt_f32_f16_e32 v65, v65
	s_delay_alu instid0(VALU_DEP_2) | instskip(NEXT) | instid1(VALU_DEP_1)
	v_wmma_f32_16x16x16_f16 v[53:60], v[73:76], v[4:7], v[53:60]
	v_wmma_f32_16x16x16_f16 v[53:60], v[77:80], v[0:3], v[53:60]
	s_wait_dscnt 0x3
	v_cvt_f32_f16_e32 v66, v48
	v_lshrrev_b32_e32 v48, 16, v48
	v_lshrrev_b32_e32 v69, 16, v49
	v_cvt_f32_f16_e32 v71, v49
	v_add_f32_e32 v49, v53, v50
	s_wait_dscnt 0x2
	v_cvt_f32_f16_e32 v53, v52
	v_cvt_f32_f16_e32 v48, v48
	;; [unrolled: 1-line block ×3, first 2 shown]
	v_add_f32_e32 v56, v56, v65
	v_add_f32_e32 v50, v54, v63
	v_lshrrev_b32_e32 v52, 16, v52
	v_add_f32_e32 v69, v58, v48
	s_wait_dscnt 0x1
	v_lshrrev_b32_e32 v58, 16, v62
	v_add_f32_e32 v60, v60, v72
	v_cvt_f32_f16_e32 v48, v51
	v_lshrrev_b32_e32 v51, 16, v51
	v_cvt_f32_f16_e32 v52, v52
	v_cvt_f32_f16_e32 v65, v58
	v_add_f32_e32 v70, v57, v66
	v_lshrrev_b32_e32 v57, 16, v61
	v_cvt_f32_f16_e32 v51, v51
	s_delay_alu instid0(VALU_DEP_2)
	v_cvt_f32_f16_e32 v63, v57
	v_add_f32_e32 v54, v55, v64
	v_add_f32_e32 v64, v59, v71
	v_wmma_f32_16x16x16_f16 v[71:78], v[81:84], v[16:19], 0
	v_cvt_f32_f16_e32 v59, v62
	v_cvt_f32_f16_e32 v55, v61
	s_delay_alu instid0(VALU_DEP_3) | instskip(NEXT) | instid1(VALU_DEP_1)
	v_wmma_f32_16x16x16_f16 v[71:78], v[206:209], v[12:15], v[71:78]
	v_wmma_f32_16x16x16_f16 v[71:78], v[210:213], v[8:11], v[71:78]
	s_delay_alu instid0(VALU_DEP_1) | instskip(NEXT) | instid1(VALU_DEP_1)
	v_wmma_f32_16x16x16_f16 v[71:78], v[214:217], v[4:7], v[71:78]
	v_wmma_f32_16x16x16_f16 v[71:78], v[218:221], v[0:3], v[71:78]
	s_delay_alu instid0(VALU_DEP_1) | instskip(SKIP_1) | instid1(VALU_DEP_3)
	v_dual_add_f32 v66, v77, v59 :: v_dual_add_f32 v65, v78, v65
	v_wmma_f32_16x16x16_f16 v[77:84], v[222:225], v[16:19], 0
	v_add_f32_e32 v61, v73, v53
	s_delay_alu instid0(VALU_DEP_4) | instskip(SKIP_1) | instid1(VALU_DEP_4)
	v_add_f32_e32 v73, v76, v63
	v_add_f32_e32 v57, v71, v48
	v_wmma_f32_16x16x16_f16 v[77:84], v[226:229], v[12:15], v[77:84]
	s_wait_dscnt 0x0
	v_cvt_f32_f16_e32 v48, v67
	v_lshrrev_b32_e32 v53, 16, v67
	v_lshrrev_b32_e32 v59, 16, v68
	v_wmma_f32_16x16x16_f16 v[77:84], v[230:233], v[8:11], v[77:84]
	s_delay_alu instid0(VALU_DEP_3) | instskip(NEXT) | instid1(VALU_DEP_3)
	v_cvt_f32_f16_e32 v53, v53
	v_cvt_f32_f16_e32 v59, v59
	s_delay_alu instid0(VALU_DEP_3) | instskip(NEXT) | instid1(VALU_DEP_1)
	v_wmma_f32_16x16x16_f16 v[77:84], v[234:237], v[4:7], v[77:84]
	v_wmma_f32_16x16x16_f16 v[77:84], v[238:241], v[0:3], v[77:84]
	v_add_f32_e32 v58, v72, v51
	v_add_f32_e32 v62, v74, v52
	ds_load_2addr_b32 v[51:52], v205 offset1:1
	v_dual_add_f32 v74, v75, v55 :: v_dual_add_f32 v77, v77, v48
	v_add_f32_e32 v78, v78, v53
	v_cvt_f32_f16_e32 v55, v68
	v_add_f32_e32 v160, v80, v59
	s_delay_alu instid0(VALU_DEP_2)
	v_add_f32_e32 v85, v79, v55
	s_wait_dscnt 0x0
	v_cvt_f32_f16_e32 v63, v51
	v_lshrrev_b32_e32 v51, 16, v51
	v_lshrrev_b32_e32 v67, 16, v52
	v_cvt_f32_f16_e32 v52, v52
	s_delay_alu instid0(VALU_DEP_4) | instskip(NEXT) | instid1(VALU_DEP_4)
	v_add_f32_e32 v209, v81, v63
	v_cvt_f32_f16_e32 v51, v51
	s_delay_alu instid0(VALU_DEP_4) | instskip(NEXT) | instid1(VALU_DEP_2)
	v_cvt_f32_f16_e32 v67, v67
	v_dual_add_f32 v207, v83, v52 :: v_dual_add_f32 v208, v82, v51
	v_lshlrev_b64_e32 v[51:52], 2, v[94:95]
	s_delay_alu instid0(VALU_DEP_3) | instskip(SKIP_1) | instid1(VALU_DEP_2)
	v_add_f32_e32 v206, v84, v67
	s_wait_alu 0xfffe
	v_add_co_u32 v48, vcc_lo, s0, v51
	s_wait_alu 0xfffd
	s_delay_alu instid0(VALU_DEP_3) | instskip(SKIP_1) | instid1(VALU_DEP_1)
	v_add_co_ci_u32_e64 v51, null, s1, v52, vcc_lo
	v_lshlrev_b64_e32 v[52:53], 2, v[90:91]
	v_add_co_u32 v55, vcc_lo, s0, v52
	s_wait_alu 0xfffd
	s_delay_alu instid0(VALU_DEP_2)
	v_add_co_ci_u32_e64 v59, null, s1, v53, vcc_lo
	v_add_co_u32 v52, vcc_lo, v48, v198
	s_wait_alu 0xfffd
	v_add_co_ci_u32_e64 v53, null, 0, v51, vcc_lo
	v_add_co_u32 v67, vcc_lo, v55, v199
	s_wait_alu 0xfffd
	v_add_co_ci_u32_e64 v68, null, 0, v59, vcc_lo
	s_clause 0x1
	global_load_b128 v[79:82], v[52:53], off offset:128
	global_load_b128 v[210:213], v[67:68], off
	v_lshlrev_b64_e32 v[51:52], 2, v[92:93]
	s_delay_alu instid0(VALU_DEP_1) | instskip(SKIP_1) | instid1(VALU_DEP_2)
	v_add_co_u32 v48, vcc_lo, s0, v51
	s_wait_alu 0xfffd
	v_add_co_ci_u32_e64 v53, null, s1, v52, vcc_lo
	v_lshlrev_b64_e32 v[51:52], 2, v[96:97]
	s_delay_alu instid0(VALU_DEP_1) | instskip(SKIP_1) | instid1(VALU_DEP_2)
	v_add_co_u32 v55, vcc_lo, s0, v51
	s_wait_alu 0xfffd
	v_add_co_ci_u32_e64 v59, null, s1, v52, vcc_lo
	v_add_co_u32 v51, vcc_lo, v48, v199
	s_wait_alu 0xfffd
	v_add_co_ci_u32_e64 v52, null, 0, v53, vcc_lo
	;; [unrolled: 3-line block ×3, first 2 shown]
	v_add_f32_e32 v53, 0x40051340, v45
	s_wait_loadcnt 0x1
	ds_store_b128 v186, v[79:82]
	s_clause 0x1
	global_load_b128 v[79:82], v[51:52], off
	global_load_b128 v[214:217], v[67:68], off
	v_lshlrev_b64_e32 v[51:52], 2, v[88:89]
	s_wait_loadcnt 0x2
	ds_store_b128 v187, v[210:213]
	s_wait_loadcnt 0x1
	ds_store_b128 v188, v[79:82]
	v_add_co_u32 v48, vcc_lo, s0, v51
	s_wait_alu 0xfffd
	v_add_co_ci_u32_e64 v52, null, s1, v52, vcc_lo
	s_delay_alu instid0(VALU_DEP_2) | instskip(SKIP_1) | instid1(VALU_DEP_2)
	v_add_co_u32 v51, vcc_lo, v48, v199
	s_wait_alu 0xfffd
	v_add_co_ci_u32_e64 v52, null, 0, v52, vcc_lo
	v_mov_b32_e32 v48, v149
	global_load_b128 v[79:82], v[51:52], off
	v_add_f32_e32 v51, 0x40051340, v40
	v_add_f32_e32 v52, 0x40051340, v44
	s_wait_loadcnt 0x1
	ds_store_b128 v189, v[214:217]
	s_wait_loadcnt 0x0
	ds_store_b128 v190, v[79:82]
	v_max3_num_f32 v51, v48, v51, v52
	v_add_f32_e32 v52, 0x40051340, v41
	s_wait_dscnt 0x0
	s_barrier_signal -1
	s_barrier_wait -1
	global_inv scope:SCOPE_SE
	v_max3_num_f32 v51, v51, v52, v53
	v_dual_add_f32 v52, 0x40051340, v47 :: v_dual_add_f32 v53, 0x40051340, v46
	s_delay_alu instid0(VALU_DEP_1) | instskip(SKIP_1) | instid1(VALU_DEP_1)
	v_max3_num_f32 v51, v51, v52, v53
	v_dual_add_f32 v52, 0x40051340, v43 :: v_dual_add_f32 v53, 0x40051340, v42
	v_max3_num_f32 v51, v51, v52, v53
	v_dual_add_f32 v52, 0x40051340, v49 :: v_dual_add_f32 v53, 0x40051340, v50
	s_delay_alu instid0(VALU_DEP_1) | instskip(SKIP_1) | instid1(VALU_DEP_1)
	v_max3_num_f32 v51, v51, v52, v53
	v_dual_add_f32 v52, 0x40051340, v54 :: v_dual_add_f32 v53, 0x40051340, v56
	v_max3_num_f32 v51, v51, v52, v53
	v_dual_add_f32 v52, 0x40051340, v70 :: v_dual_add_f32 v53, 0x40051340, v69
	s_delay_alu instid0(VALU_DEP_1) | instskip(SKIP_2) | instid1(VALU_DEP_1)
	v_max3_num_f32 v51, v51, v52, v53
	v_add_f32_e32 v52, 0x40051340, v64
	v_add_f32_e32 v53, 0x40051340, v60
	v_max3_num_f32 v51, v51, v52, v53
	v_dual_add_f32 v52, 0x40051340, v57 :: v_dual_add_f32 v53, 0x40051340, v58
	s_delay_alu instid0(VALU_DEP_1) | instskip(SKIP_1) | instid1(VALU_DEP_1)
	v_max3_num_f32 v51, v51, v52, v53
	v_dual_add_f32 v52, 0x40051340, v61 :: v_dual_add_f32 v53, 0x40051340, v62
	v_max3_num_f32 v51, v51, v52, v53
	v_dual_add_f32 v52, 0x40051340, v74 :: v_dual_add_f32 v53, 0x40051340, v73
	s_delay_alu instid0(VALU_DEP_1) | instskip(SKIP_1) | instid1(VALU_DEP_1)
	v_max3_num_f32 v51, v51, v52, v53
	v_dual_add_f32 v52, 0x40051340, v66 :: v_dual_add_f32 v53, 0x40051340, v65
	;; [unrolled: 5-line block ×4, first 2 shown]
	v_max3_num_f32 v51, v51, v52, v53
	ds_bpermute_b32 v52, v194, v51
	s_wait_dscnt 0x0
	v_max_num_f32_e32 v52, v52, v52
	s_delay_alu instid0(VALU_DEP_1) | instskip(NEXT) | instid1(VALU_DEP_1)
	v_max_num_f32_e32 v149, v51, v52
	v_sub_f32_e32 v47, v47, v149
	s_delay_alu instid0(VALU_DEP_1) | instskip(SKIP_1) | instid1(VALU_DEP_2)
	v_mul_f32_e32 v51, 0x3fb8aa3b, v47
	v_cmp_ngt_f32_e64 s2, 0xc2ce8ed0, v47
	v_fma_f32 v52, 0x3fb8aa3b, v47, -v51
	v_rndne_f32_e32 v53, v51
	s_delay_alu instid0(VALU_DEP_1) | instskip(SKIP_4) | instid1(VALU_DEP_4)
	v_dual_fmac_f32 v52, 0x32a5705f, v47 :: v_dual_sub_f32 v51, v51, v53
	v_sub_f32_e32 v46, v46, v149
	v_sub_f32_e32 v43, v43, v149
	;; [unrolled: 1-line block ×3, first 2 shown]
	v_cvt_i32_f32_e32 v53, v53
	v_dual_add_f32 v51, v51, v52 :: v_dual_mul_f32 v52, 0x3fb8aa3b, v46
	v_cmp_ngt_f32_e32 vcc_lo, 0xc2ce8ed0, v46
	v_sub_f32_e32 v45, v45, v149
	v_cmp_ngt_f32_e64 s0, 0xc2ce8ed0, v43
	s_delay_alu instid0(VALU_DEP_4) | instskip(SKIP_4) | instid1(VALU_DEP_4)
	v_exp_f32_e32 v51, v51
	v_fma_f32 v55, 0x3fb8aa3b, v46, -v52
	v_rndne_f32_e32 v59, v52
	v_sub_f32_e32 v41, v41, v149
	v_sub_f32_e32 v44, v44, v149
	v_dual_sub_f32 v40, v40, v149 :: v_dual_fmac_f32 v55, 0x32a5705f, v46
	s_delay_alu instid0(VALU_DEP_4) | instskip(SKIP_1) | instid1(TRANS32_DEP_1)
	v_sub_f32_e32 v52, v52, v59
	v_sub_f32_e32 v60, v60, v149
	v_ldexp_f32 v51, v51, v53
	s_delay_alu instid0(VALU_DEP_3) | instskip(SKIP_1) | instid1(VALU_DEP_1)
	v_add_f32_e32 v52, v52, v55
	v_mul_f32_e32 v55, 0x3fb8aa3b, v43
	v_fma_f32 v63, 0x3fb8aa3b, v43, -v55
	v_rndne_f32_e32 v67, v55
	s_delay_alu instid0(VALU_DEP_2) | instskip(NEXT) | instid1(VALU_DEP_2)
	v_fmac_f32_e32 v63, 0x32a5705f, v43
	v_sub_f32_e32 v55, v55, v67
	v_cvt_i32_f32_e32 v53, v67
	s_delay_alu instid0(VALU_DEP_2) | instskip(SKIP_2) | instid1(VALU_DEP_2)
	v_add_f32_e32 v55, v55, v63
	v_mul_f32_e32 v63, 0x3fb8aa3b, v42
	v_exp_f32_e32 v52, v52
	v_exp_f32_e32 v55, v55
	s_delay_alu instid0(VALU_DEP_1) | instskip(NEXT) | instid1(TRANS32_DEP_1)
	v_rndne_f32_e32 v71, v63
	v_ldexp_f32 v53, v55, v53
	v_cvt_i32_f32_e32 v55, v59
	s_delay_alu instid0(TRANS32_DEP_2) | instid1(VALU_DEP_1)
	v_ldexp_f32 v52, v52, v55
	s_delay_alu instid0(VALU_DEP_4) | instskip(SKIP_1) | instid1(VALU_DEP_2)
	v_cvt_i32_f32_e32 v55, v71
	s_wait_alu 0xfffd
	v_cndmask_b32_e32 v52, 0, v52, vcc_lo
	v_cmp_nlt_f32_e32 vcc_lo, 0x42b17218, v46
	s_wait_alu 0xf1ff
	v_cndmask_b32_e64 v46, 0, v53, s0
	v_cmp_nlt_f32_e64 s0, 0x42b17218, v43
	s_wait_alu 0xfffd
	v_cndmask_b32_e32 v213, 0x7f800000, v52, vcc_lo
	v_fma_f32 v68, 0x3fb8aa3b, v42, -v63
	v_sub_f32_e32 v63, v63, v71
	v_cmp_ngt_f32_e64 s1, 0xc2ce8ed0, v42
	s_wait_alu 0xf1ff
	v_cndmask_b32_e64 v210, 0x7f800000, v46, s0
	v_cmp_ngt_f32_e32 vcc_lo, 0xc2ce8ed0, v45
	v_fmac_f32_e32 v68, 0x32a5705f, v42
	v_cmp_ngt_f32_e64 s0, 0xc2ce8ed0, v41
	s_delay_alu instid0(VALU_DEP_2) | instskip(NEXT) | instid1(VALU_DEP_1)
	v_add_f32_e32 v63, v63, v68
	v_exp_f32_e32 v59, v63
	s_delay_alu instid0(TRANS32_DEP_1) | instskip(NEXT) | instid1(VALU_DEP_1)
	v_ldexp_f32 v55, v59, v55
	v_cndmask_b32_e64 v43, 0, v55, s1
	v_cmp_nlt_f32_e64 s1, 0x42b17218, v42
	v_cndmask_b32_e64 v42, 0, v51, s2
	v_cmp_nlt_f32_e64 s2, 0x42b17218, v47
	v_cvt_f16_f32_e64 v47, v213
	s_wait_alu 0xf1ff
	v_cndmask_b32_e64 v211, 0x7f800000, v43, s1
	v_cvt_f16_f32_e64 v43, v210
	v_cndmask_b32_e64 v212, 0x7f800000, v42, s2
	v_cmp_ngt_f32_e64 s1, 0xc2ce8ed0, v60
	s_delay_alu instid0(VALU_DEP_4) | instskip(NEXT) | instid1(VALU_DEP_3)
	v_cvt_f16_f32_e64 v46, v211
	v_cvt_f16_f32_e64 v42, v212
	s_delay_alu instid0(VALU_DEP_2) | instskip(SKIP_1) | instid1(VALU_DEP_3)
	v_pack_b32_f16 v43, v43, v46
	v_mul_f32_e32 v46, 0x3fb8aa3b, v45
	v_pack_b32_f16 v42, v42, v47
	s_delay_alu instid0(VALU_DEP_2) | instskip(SKIP_1) | instid1(VALU_DEP_1)
	v_fma_f32 v47, 0x3fb8aa3b, v45, -v46
	v_rndne_f32_e32 v51, v46
	v_dual_fmac_f32 v47, 0x32a5705f, v45 :: v_dual_sub_f32 v46, v46, v51
	v_cvt_i32_f32_e32 v51, v51
	s_delay_alu instid0(VALU_DEP_2) | instskip(NEXT) | instid1(VALU_DEP_1)
	v_add_f32_e32 v46, v46, v47
	v_exp_f32_e32 v46, v46
	s_delay_alu instid0(TRANS32_DEP_1) | instskip(SKIP_1) | instid1(VALU_DEP_1)
	v_ldexp_f32 v46, v46, v51
	s_wait_alu 0xfffd
	v_dual_mul_f32 v47, 0x3fb8aa3b, v41 :: v_dual_cndmask_b32 v46, 0, v46
	s_delay_alu instid0(VALU_DEP_1) | instskip(SKIP_2) | instid1(VALU_DEP_3)
	v_fma_f32 v52, 0x3fb8aa3b, v41, -v47
	v_rndne_f32_e32 v53, v47
	v_cmp_nlt_f32_e32 vcc_lo, 0x42b17218, v45
	v_fmac_f32_e32 v52, 0x32a5705f, v41
	s_delay_alu instid0(VALU_DEP_3)
	v_sub_f32_e32 v47, v47, v53
	s_wait_alu 0xfffd
	v_cndmask_b32_e32 v215, 0x7f800000, v46, vcc_lo
	v_cvt_i32_f32_e32 v51, v53
	v_cmp_ngt_f32_e32 vcc_lo, 0xc2ce8ed0, v44
	v_add_f32_e32 v47, v47, v52
	s_delay_alu instid0(VALU_DEP_1) | instskip(NEXT) | instid1(TRANS32_DEP_1)
	v_exp_f32_e32 v47, v47
	v_ldexp_f32 v47, v47, v51
	s_delay_alu instid0(VALU_DEP_1) | instskip(SKIP_2) | instid1(VALU_DEP_1)
	v_cndmask_b32_e64 v45, 0, v47, s0
	v_cmp_nlt_f32_e64 s0, 0x42b17218, v41
	s_wait_alu 0xf1ff
	v_cndmask_b32_e64 v214, 0x7f800000, v45, s0
	v_cvt_f16_f32_e64 v45, v215
	v_cmp_ngt_f32_e64 s0, 0xc2ce8ed0, v40
	s_delay_alu instid0(VALU_DEP_3) | instskip(NEXT) | instid1(VALU_DEP_1)
	v_cvt_f16_f32_e64 v41, v214
	v_pack_b32_f16 v41, v41, v45
	v_mul_f32_e32 v45, 0x3fb8aa3b, v44
	s_delay_alu instid0(VALU_DEP_1) | instskip(SKIP_1) | instid1(VALU_DEP_1)
	v_fma_f32 v46, 0x3fb8aa3b, v44, -v45
	v_rndne_f32_e32 v47, v45
	v_dual_fmac_f32 v46, 0x32a5705f, v44 :: v_dual_sub_f32 v45, v45, v47
	v_cvt_i32_f32_e32 v47, v47
	s_delay_alu instid0(VALU_DEP_2) | instskip(NEXT) | instid1(VALU_DEP_1)
	v_dual_add_f32 v45, v45, v46 :: v_dual_mul_f32 v46, 0x3fb8aa3b, v40
	v_exp_f32_e32 v45, v45
	s_delay_alu instid0(VALU_DEP_1) | instskip(SKIP_1) | instid1(VALU_DEP_2)
	v_fma_f32 v51, 0x3fb8aa3b, v40, -v46
	v_rndne_f32_e32 v52, v46
	v_fmac_f32_e32 v51, 0x32a5705f, v40
	s_delay_alu instid0(TRANS32_DEP_1) | instskip(NEXT) | instid1(VALU_DEP_3)
	v_ldexp_f32 v45, v45, v47
	v_sub_f32_e32 v46, v46, v52
	v_cvt_i32_f32_e32 v47, v52
	s_wait_alu 0xfffd
	s_delay_alu instid0(VALU_DEP_2) | instskip(SKIP_1) | instid1(VALU_DEP_2)
	v_dual_cndmask_b32 v45, 0, v45 :: v_dual_add_f32 v46, v46, v51
	v_cmp_nlt_f32_e32 vcc_lo, 0x42b17218, v44
	v_exp_f32_e32 v46, v46
	s_wait_alu 0xfffd
	s_delay_alu instid0(VALU_DEP_2) | instskip(NEXT) | instid1(TRANS32_DEP_1)
	v_cndmask_b32_e32 v218, 0x7f800000, v45, vcc_lo
	v_ldexp_f32 v46, v46, v47
	s_wait_alu 0xf1ff
	s_delay_alu instid0(VALU_DEP_1) | instskip(SKIP_2) | instid1(VALU_DEP_1)
	v_cndmask_b32_e64 v44, 0, v46, s0
	v_cmp_nlt_f32_e64 s0, 0x42b17218, v40
	s_wait_alu 0xf1ff
	v_cndmask_b32_e64 v217, 0x7f800000, v44, s0
	v_cvt_f16_f32_e64 v44, v218
	s_delay_alu instid0(VALU_DEP_2) | instskip(NEXT) | instid1(VALU_DEP_1)
	v_cvt_f16_f32_e64 v40, v217
	v_pack_b32_f16 v40, v40, v44
	v_sub_f32_e32 v44, v48, v149
	s_delay_alu instid0(VALU_DEP_1) | instskip(SKIP_1) | instid1(VALU_DEP_2)
	v_mul_f32_e32 v45, 0x3fb8aa3b, v44
	v_cmp_ngt_f32_e32 vcc_lo, 0xc2ce8ed0, v44
	v_fma_f32 v46, 0x3fb8aa3b, v44, -v45
	v_rndne_f32_e32 v47, v45
	s_delay_alu instid0(VALU_DEP_1) | instskip(NEXT) | instid1(VALU_DEP_1)
	v_dual_fmac_f32 v46, 0x32a5705f, v44 :: v_dual_sub_f32 v45, v45, v47
	v_add_f32_e32 v45, v45, v46
	v_cvt_i32_f32_e32 v46, v47
	s_delay_alu instid0(VALU_DEP_2) | instskip(NEXT) | instid1(TRANS32_DEP_1)
	v_exp_f32_e32 v45, v45
	v_ldexp_f32 v45, v45, v46
	s_wait_alu 0xfffd
	s_delay_alu instid0(VALU_DEP_1) | instskip(SKIP_2) | instid1(VALU_DEP_2)
	v_cndmask_b32_e32 v45, 0, v45, vcc_lo
	v_cmp_nlt_f32_e32 vcc_lo, 0x42b17218, v44
	s_wait_alu 0xfffd
	v_cndmask_b32_e32 v45, 0x7f800000, v45, vcc_lo
	v_cmp_le_f32_e32 vcc_lo, 0xc1a00000, v44
	s_wait_alu 0xfffd
	s_delay_alu instid0(VALU_DEP_2) | instskip(NEXT) | instid1(VALU_DEP_1)
	v_cndmask_b32_e32 v216, 0, v45, vcc_lo
	v_cvt_f16_f32_e64 v44, v216
	s_delay_alu instid0(VALU_DEP_1) | instskip(NEXT) | instid1(VALU_DEP_1)
	v_and_b32_e32 v44, 0xffff, v44
	v_mul_u32_u24_e32 v72, 0x10001, v44
	ds_load_u16 v44, v195 offset:128
	ds_load_u16 v45, v195 offset:480
	;; [unrolled: 1-line block ×11, first 2 shown]
	s_wait_dscnt 0xa
	ds_load_u16_d16_hi v44, v195 offset:304
	s_wait_dscnt 0xa
	ds_load_u16_d16_hi v45, v195 offset:656
	ds_load_u16 v225, v195 offset:704
	ds_load_u16 v221, v195 offset:768
	;; [unrolled: 1-line block ×6, first 2 shown]
	s_wait_dscnt 0x8
	ds_load_u16_d16_hi v227, v195 offset:272
	ds_load_u16_d16_hi v47, v197 offset:128
	;; [unrolled: 1-line block ×5, first 2 shown]
	ds_load_u16 v59, v196 offset:5632
	ds_load_u16 v63, v196 offset:5664
	;; [unrolled: 1-line block ×6, first 2 shown]
	s_wait_dscnt 0x5
	ds_load_u16_d16_hi v59, v197 offset:5632
	s_wait_dscnt 0x5
	ds_load_u16_d16_hi v63, v197 offset:5664
	ds_load_u16 v238, v196 offset:2912
	s_wait_dscnt 0x0
	ds_load_u16_d16_hi v238, v197 offset:2912
	ds_load_u16_d16_hi v225, v195 offset:880
	;; [unrolled: 1-line block ×5, first 2 shown]
	ds_load_u16 v68, v195 offset:2880
	ds_load_u16 v48, v195 offset:2816
	ds_load_u16_d16_hi v46, v195 offset:1008
	ds_load_u16_d16_hi v228, v195 offset:624
	ds_load_u16 v53, v195 offset:3200
	ds_load_u16 v52, v195 offset:2848
	;; [unrolled: 1-line block ×3, first 2 shown]
	s_wait_dscnt 0x6
	ds_load_u16_d16_hi v68, v195 offset:3056
	ds_load_u16 v235, v195 offset:2912
	ds_load_u16 v223, v195
	ds_load_u16 v231, v195 offset:32
	ds_load_u16 v219, v195 offset:64
	ds_load_u16 v226, v196
	ds_load_u16 v234, v196 offset:32
	ds_load_u16 v230, v196 offset:96
	ds_load_u16_d16_hi v224, v195 offset:528
	v_pk_mul_f16 v20, v20, v72
	v_pk_mul_f16 v21, v21, v72
	;; [unrolled: 1-line block ×8, first 2 shown]
	s_wait_dscnt 0xd
	v_wmma_f16_16x16x16_f16 v[20:23], v[44:47], v[40:43], v[20:23]
	s_wait_dscnt 0x6
	ds_load_u16_d16_hi v223, v195 offset:176
	s_wait_dscnt 0x6
	ds_load_u16_d16_hi v231, v195 offset:208
	;; [unrolled: 2-line block ×3, first 2 shown]
	ds_load_u16 v44, v195 offset:9216
	ds_load_u16 v86, v195 offset:9280
	s_wait_dscnt 0x1
	ds_load_u16_d16_hi v44, v195 offset:9392
	s_wait_dscnt 0x1
	ds_load_u16_d16_hi v86, v195 offset:9456
	ds_load_u16 v239, v195 offset:9248
	s_wait_dscnt 0x0
	ds_load_u16_d16_hi v239, v195 offset:9424
	ds_load_u16_d16_hi v226, v197
	ds_load_u16_d16_hi v234, v197 offset:32
	ds_load_u16_d16_hi v222, v197 offset:64
	;; [unrolled: 1-line block ×3, first 2 shown]
	ds_load_u16 v87, v196 offset:8576
	ds_load_u16_d16_hi v232, v195 offset:560
	ds_load_u16_d16_hi v220, v195 offset:592
	v_pk_mul_f16 v32, v32, v72
	v_pk_mul_f16 v33, v33, v72
	;; [unrolled: 1-line block ×12, first 2 shown]
	s_wait_dscnt 0x6
	v_wmma_f16_16x16x16_f16 v[36:39], v[223:226], v[40:43], v[36:39]
	s_wait_dscnt 0x3
	s_delay_alu instid0(VALU_DEP_2)
	v_wmma_f16_16x16x16_f16 v[24:27], v[227:230], v[40:43], v[24:27]
	s_wait_dscnt 0x1
	v_wmma_f16_16x16x16_f16 v[32:35], v[231:234], v[40:43], v[32:35]
	s_wait_dscnt 0x0
	v_wmma_f16_16x16x16_f16 v[28:31], v[219:222], v[40:43], v[28:31]
	v_sub_f32_e32 v40, v70, v149
	s_delay_alu instid0(VALU_DEP_1) | instskip(NEXT) | instid1(VALU_DEP_1)
	v_mul_f32_e32 v41, 0x3fb8aa3b, v40
	v_fma_f32 v42, 0x3fb8aa3b, v40, -v41
	v_rndne_f32_e32 v43, v41
	s_delay_alu instid0(VALU_DEP_1) | instskip(SKIP_2) | instid1(VALU_DEP_3)
	v_dual_sub_f32 v41, v41, v43 :: v_dual_fmac_f32 v42, 0x32a5705f, v40
	v_cvt_i32_f32_e32 v43, v43
	v_cmp_ngt_f32_e64 s2, 0xc2ce8ed0, v40
	v_add_f32_e32 v41, v41, v42
	v_sub_f32_e32 v42, v69, v149
	s_delay_alu instid0(VALU_DEP_1) | instskip(NEXT) | instid1(VALU_DEP_1)
	v_mul_f32_e32 v45, 0x3fb8aa3b, v42
	v_fma_f32 v46, 0x3fb8aa3b, v42, -v45
	v_rndne_f32_e32 v47, v45
	s_delay_alu instid0(VALU_DEP_1) | instskip(SKIP_1) | instid1(VALU_DEP_2)
	v_dual_fmac_f32 v46, 0x32a5705f, v42 :: v_dual_sub_f32 v45, v45, v47
	v_cvt_i32_f32_e32 v47, v47
	v_dual_add_f32 v45, v45, v46 :: v_dual_sub_f32 v46, v64, v149
	v_exp_f32_e32 v41, v41
	s_delay_alu instid0(VALU_DEP_1) | instskip(NEXT) | instid1(VALU_DEP_1)
	v_exp_f32_e32 v45, v45
	v_mul_f32_e32 v64, 0x3fb8aa3b, v46
	v_cmp_ngt_f32_e64 s0, 0xc2ce8ed0, v46
	s_delay_alu instid0(VALU_DEP_2) | instskip(SKIP_1) | instid1(TRANS32_DEP_2)
	v_fma_f32 v69, 0x3fb8aa3b, v46, -v64
	v_rndne_f32_e32 v70, v64
	v_ldexp_f32 v41, v41, v43
	s_delay_alu instid0(TRANS32_DEP_1) | instskip(NEXT) | instid1(VALU_DEP_4)
	v_ldexp_f32 v45, v45, v47
	v_fmac_f32_e32 v69, 0x32a5705f, v46
	s_delay_alu instid0(VALU_DEP_4)
	v_sub_f32_e32 v64, v64, v70
	v_cmp_ngt_f32_e32 vcc_lo, 0xc2ce8ed0, v42
	v_cvt_i32_f32_e32 v43, v70
	s_wait_alu 0xf1ff
	v_cndmask_b32_e64 v41, 0, v41, s2
	v_cmp_nlt_f32_e64 s2, 0x42b17218, v40
	v_dual_add_f32 v64, v64, v69 :: v_dual_mul_f32 v69, 0x3fb8aa3b, v60
	s_wait_alu 0xfffd
	v_cndmask_b32_e32 v45, 0, v45, vcc_lo
	v_cmp_nlt_f32_e32 vcc_lo, 0x42b17218, v42
	s_wait_alu 0xf1ff
	v_cndmask_b32_e64 v110, 0x7f800000, v41, s2
	v_exp_f32_e32 v64, v64
	v_fma_f32 v72, 0x3fb8aa3b, v60, -v69
	v_rndne_f32_e32 v76, v69
	s_wait_alu 0xfffd
	v_cndmask_b32_e32 v224, 0x7f800000, v45, vcc_lo
	v_cvt_f16_f32_e32 v40, v110
	v_fmac_f32_e32 v72, 0x32a5705f, v60
	v_sub_f32_e32 v69, v69, v76
	v_cvt_i32_f32_e32 v47, v76
	v_cvt_f16_f32_e64 v45, v224
	v_ldexp_f32 v43, v64, v43
	s_delay_alu instid0(VALU_DEP_4) | instskip(NEXT) | instid1(VALU_DEP_2)
	v_add_f32_e32 v69, v69, v72
	v_cndmask_b32_e64 v42, 0, v43, s0
	v_cmp_nlt_f32_e64 s0, 0x42b17218, v46
	s_delay_alu instid0(VALU_DEP_3) | instskip(SKIP_1) | instid1(VALU_DEP_1)
	v_exp_f32_e32 v64, v69
	s_wait_alu 0xf1ff
	v_cndmask_b32_e64 v159, 0x7f800000, v42, s0
	s_delay_alu instid0(VALU_DEP_1) | instskip(NEXT) | instid1(TRANS32_DEP_1)
	v_cvt_f16_f32_e64 v41, v159
	v_ldexp_f32 v47, v64, v47
	s_delay_alu instid0(VALU_DEP_1) | instskip(SKIP_2) | instid1(VALU_DEP_1)
	v_cndmask_b32_e64 v43, 0, v47, s1
	v_cmp_nlt_f32_e64 s1, 0x42b17218, v60
	s_wait_alu 0xf1ff
	v_cndmask_b32_e64 v223, 0x7f800000, v43, s1
	s_delay_alu instid0(VALU_DEP_1) | instskip(NEXT) | instid1(VALU_DEP_1)
	v_cvt_f16_f32_e64 v42, v223
	v_pack_b32_f16 v43, v41, v42
	v_pack_b32_f16 v42, v40, v45
	v_sub_f32_e32 v40, v56, v149
	s_delay_alu instid0(VALU_DEP_1) | instskip(NEXT) | instid1(VALU_DEP_1)
	v_mul_f32_e32 v41, 0x3fb8aa3b, v40
	v_fma_f32 v45, 0x3fb8aa3b, v40, -v41
	v_rndne_f32_e32 v46, v41
	s_delay_alu instid0(VALU_DEP_1) | instskip(NEXT) | instid1(VALU_DEP_3)
	v_sub_f32_e32 v41, v41, v46
	v_fmac_f32_e32 v45, 0x32a5705f, v40
	v_cvt_i32_f32_e32 v46, v46
	v_cmp_ngt_f32_e32 vcc_lo, 0xc2ce8ed0, v40
	s_delay_alu instid0(VALU_DEP_3) | instskip(SKIP_1) | instid1(VALU_DEP_2)
	v_add_f32_e32 v41, v41, v45
	v_sub_f32_e32 v45, v54, v149
	v_exp_f32_e32 v41, v41
	s_delay_alu instid0(VALU_DEP_1) | instskip(SKIP_1) | instid1(VALU_DEP_2)
	v_mul_f32_e32 v47, 0x3fb8aa3b, v45
	v_cmp_ngt_f32_e64 s0, 0xc2ce8ed0, v45
	v_fma_f32 v54, 0x3fb8aa3b, v45, -v47
	v_rndne_f32_e32 v56, v47
	s_delay_alu instid0(TRANS32_DEP_1) | instskip(NEXT) | instid1(VALU_DEP_2)
	v_ldexp_f32 v41, v41, v46
	v_dual_fmac_f32 v54, 0x32a5705f, v45 :: v_dual_sub_f32 v47, v47, v56
	v_cvt_i32_f32_e32 v46, v56
	s_wait_alu 0xfffd
	s_delay_alu instid0(VALU_DEP_3) | instskip(SKIP_2) | instid1(VALU_DEP_2)
	v_cndmask_b32_e32 v41, 0, v41, vcc_lo
	v_cmp_nlt_f32_e32 vcc_lo, 0x42b17218, v40
	s_wait_alu 0xfffd
	v_dual_add_f32 v47, v47, v54 :: v_dual_cndmask_b32 v226, 0x7f800000, v41
	s_delay_alu instid0(VALU_DEP_1) | instskip(NEXT) | instid1(VALU_DEP_1)
	v_exp_f32_e32 v47, v47
	v_cvt_f16_f32_e64 v41, v226
	s_delay_alu instid0(TRANS32_DEP_1) | instskip(SKIP_1) | instid1(VALU_DEP_1)
	v_ldexp_f32 v46, v47, v46
	s_wait_alu 0xf1ff
	v_cndmask_b32_e64 v40, 0, v46, s0
	v_cmp_nlt_f32_e64 s0, 0x42b17218, v45
	s_wait_alu 0xf1ff
	s_delay_alu instid0(VALU_DEP_1) | instskip(NEXT) | instid1(VALU_DEP_1)
	v_cndmask_b32_e64 v225, 0x7f800000, v40, s0
	v_cvt_f16_f32_e64 v40, v225
	s_delay_alu instid0(VALU_DEP_1) | instskip(SKIP_1) | instid1(VALU_DEP_1)
	v_pack_b32_f16 v41, v40, v41
	v_sub_f32_e32 v40, v50, v149
	v_mul_f32_e32 v45, 0x3fb8aa3b, v40
	v_cmp_ngt_f32_e32 vcc_lo, 0xc2ce8ed0, v40
	s_delay_alu instid0(VALU_DEP_2) | instskip(SKIP_1) | instid1(VALU_DEP_1)
	v_fma_f32 v46, 0x3fb8aa3b, v40, -v45
	v_rndne_f32_e32 v47, v45
	v_dual_fmac_f32 v46, 0x32a5705f, v40 :: v_dual_sub_f32 v45, v45, v47
	v_cvt_i32_f32_e32 v47, v47
	s_delay_alu instid0(VALU_DEP_2) | instskip(SKIP_1) | instid1(VALU_DEP_2)
	v_add_f32_e32 v45, v45, v46
	v_sub_f32_e32 v46, v49, v149
	v_exp_f32_e32 v45, v45
	s_delay_alu instid0(VALU_DEP_1) | instskip(SKIP_1) | instid1(VALU_DEP_2)
	v_mul_f32_e32 v49, 0x3fb8aa3b, v46
	v_cmp_ngt_f32_e64 s0, 0xc2ce8ed0, v46
	v_fma_f32 v50, 0x3fb8aa3b, v46, -v49
	v_rndne_f32_e32 v54, v49
	s_delay_alu instid0(TRANS32_DEP_1) | instskip(NEXT) | instid1(VALU_DEP_3)
	v_ldexp_f32 v45, v45, v47
	v_fmac_f32_e32 v50, 0x32a5705f, v46
	s_delay_alu instid0(VALU_DEP_3) | instskip(SKIP_1) | instid1(VALU_DEP_3)
	v_cvt_i32_f32_e32 v47, v54
	s_wait_alu 0xfffd
	v_cndmask_b32_e32 v45, 0, v45, vcc_lo
	v_cmp_nlt_f32_e32 vcc_lo, 0x42b17218, v40
	s_wait_alu 0xfffd
	s_delay_alu instid0(VALU_DEP_2) | instskip(NEXT) | instid1(VALU_DEP_1)
	v_dual_sub_f32 v49, v49, v54 :: v_dual_cndmask_b32 v228, 0x7f800000, v45
	v_add_f32_e32 v49, v49, v50
	ds_load_u16 v222, v196 offset:2944
	ds_load_u16 v219, v195 offset:2944
	;; [unrolled: 1-line block ×5, first 2 shown]
	s_wait_dscnt 0x4
	ds_load_u16_d16_hi v222, v197 offset:2944
	s_wait_dscnt 0x4
	ds_load_u16_d16_hi v219, v195 offset:3120
	ds_load_u16_d16_hi v53, v195 offset:3376
	;; [unrolled: 1-line block ×3, first 2 shown]
	ds_load_u16 v69, v195 offset:3232
	s_wait_dscnt 0x7
	ds_load_u16_d16_hi v220, v195 offset:3472
	s_wait_dscnt 0x7
	ds_load_u16_d16_hi v50, v195 offset:3696
	ds_load_u16 v237, v195 offset:3616
	s_wait_dscnt 0x8
	ds_load_u16_d16_hi v221, v195 offset:3824
	ds_load_u16 v56, v195 offset:5632
	ds_load_u16 v60, v195 offset:5664
	;; [unrolled: 1-line block ×6, first 2 shown]
	v_exp_f32_e32 v49, v49
	s_wait_dscnt 0xa
	ds_load_u16_d16_hi v69, v195 offset:3408
	s_wait_dscnt 0x8
	ds_load_u16_d16_hi v237, v195 offset:3792
	v_ldexp_f32 v47, v49, v47
	ds_load_u16 v49, v195 offset:3168
	ds_load_u16_d16_hi v48, v195 offset:2992
	ds_load_u16_d16_hi v235, v195 offset:3088
	v_cvt_f16_f32_e64 v45, v228
	s_wait_alu 0xf1ff
	v_cndmask_b32_e64 v40, 0, v47, s0
	v_cmp_nlt_f32_e64 s0, 0x42b17218, v46
	s_wait_alu 0xf1ff
	s_delay_alu instid0(VALU_DEP_1) | instskip(NEXT) | instid1(VALU_DEP_1)
	v_cndmask_b32_e64 v227, 0x7f800000, v40, s0
	v_cvt_f16_f32_e64 v40, v227
	s_wait_dscnt 0x2
	ds_load_u16_d16_hi v49, v195 offset:3344
	ds_load_u16_d16_hi v52, v195 offset:3024
	;; [unrolled: 1-line block ×4, first 2 shown]
	v_pack_b32_f16 v40, v40, v45
	s_delay_alu instid0(VALU_DEP_1)
	v_wmma_f16_16x16x16_f16 v[20:23], v[219:222], v[40:43], v[20:23]
	s_wait_dscnt 0x4
	v_wmma_f16_16x16x16_f16 v[24:27], v[235:238], v[40:43], v[24:27]
	s_wait_dscnt 0x3
	;; [unrolled: 2-line block ×4, first 2 shown]
	v_wmma_f16_16x16x16_f16 v[28:31], v[68:71], v[40:43], v[28:31]
	v_sub_f32_e32 v40, v74, v149
	s_delay_alu instid0(VALU_DEP_1) | instskip(SKIP_1) | instid1(VALU_DEP_2)
	v_mul_f32_e32 v41, 0x3fb8aa3b, v40
	v_cmp_ngt_f32_e64 s2, 0xc2ce8ed0, v40
	v_fma_f32 v42, 0x3fb8aa3b, v40, -v41
	v_rndne_f32_e32 v43, v41
	s_delay_alu instid0(VALU_DEP_1) | instskip(SKIP_1) | instid1(VALU_DEP_2)
	v_dual_fmac_f32 v42, 0x32a5705f, v40 :: v_dual_sub_f32 v41, v41, v43
	v_cvt_i32_f32_e32 v43, v43
	v_add_f32_e32 v41, v41, v42
	v_sub_f32_e32 v42, v73, v149
	s_delay_alu instid0(VALU_DEP_2) | instskip(NEXT) | instid1(VALU_DEP_1)
	v_exp_f32_e32 v41, v41
	v_mul_f32_e32 v45, 0x3fb8aa3b, v42
	v_cmp_ngt_f32_e32 vcc_lo, 0xc2ce8ed0, v42
	s_delay_alu instid0(VALU_DEP_2) | instskip(SKIP_1) | instid1(TRANS32_DEP_1)
	v_fma_f32 v46, 0x3fb8aa3b, v42, -v45
	v_rndne_f32_e32 v47, v45
	v_ldexp_f32 v41, v41, v43
	s_delay_alu instid0(VALU_DEP_2) | instskip(SKIP_2) | instid1(VALU_DEP_3)
	v_dual_fmac_f32 v46, 0x32a5705f, v42 :: v_dual_sub_f32 v45, v45, v47
	v_cvt_i32_f32_e32 v47, v47
	s_wait_alu 0xf1ff
	v_cndmask_b32_e64 v41, 0, v41, s2
	v_cmp_nlt_f32_e64 s2, 0x42b17218, v40
	v_dual_add_f32 v45, v45, v46 :: v_dual_sub_f32 v46, v66, v149
	s_wait_alu 0xf1ff
	s_delay_alu instid0(VALU_DEP_2) | instskip(NEXT) | instid1(VALU_DEP_2)
	v_cndmask_b32_e64 v40, 0x7f800000, v41, s2
	v_exp_f32_e32 v45, v45
	s_delay_alu instid0(VALU_DEP_2) | instskip(SKIP_1) | instid1(VALU_DEP_2)
	v_mul_f32_e32 v48, 0x3fb8aa3b, v46
	v_cmp_ngt_f32_e64 s0, 0xc2ce8ed0, v46
	v_fma_f32 v49, 0x3fb8aa3b, v46, -v48
	v_rndne_f32_e32 v50, v48
	s_delay_alu instid0(TRANS32_DEP_1) | instskip(NEXT) | instid1(VALU_DEP_3)
	v_ldexp_f32 v45, v45, v47
	v_fmac_f32_e32 v49, 0x32a5705f, v46
	s_delay_alu instid0(VALU_DEP_3)
	v_sub_f32_e32 v48, v48, v50
	v_cvt_i32_f32_e32 v43, v50
	s_wait_alu 0xfffd
	v_cndmask_b32_e32 v45, 0, v45, vcc_lo
	v_cmp_nlt_f32_e32 vcc_lo, 0x42b17218, v42
	v_add_f32_e32 v48, v48, v49
	v_sub_f32_e32 v49, v65, v149
	s_wait_alu 0xfffd
	v_cndmask_b32_e32 v55, 0x7f800000, v45, vcc_lo
	s_delay_alu instid0(VALU_DEP_3) | instskip(NEXT) | instid1(VALU_DEP_2)
	v_exp_f32_e32 v48, v48
	v_mul_f32_e32 v51, 0x3fb8aa3b, v49
	v_cmp_ngt_f32_e64 s1, 0xc2ce8ed0, v49
	s_delay_alu instid0(VALU_DEP_2) | instskip(SKIP_1) | instid1(TRANS32_DEP_1)
	v_fma_f32 v52, 0x3fb8aa3b, v49, -v51
	v_rndne_f32_e32 v53, v51
	v_ldexp_f32 v43, v48, v43
	s_delay_alu instid0(VALU_DEP_3) | instskip(NEXT) | instid1(VALU_DEP_3)
	v_fmac_f32_e32 v52, 0x32a5705f, v49
	v_sub_f32_e32 v51, v51, v53
	v_cvt_i32_f32_e32 v47, v53
	s_wait_alu 0xf1ff
	v_cndmask_b32_e64 v42, 0, v43, s0
	v_cmp_nlt_f32_e64 s0, 0x42b17218, v46
	v_add_f32_e32 v51, v51, v52
	v_cvt_f16_f32_e32 v46, v55
	s_wait_alu 0xf1ff
	s_delay_alu instid0(VALU_DEP_3) | instskip(NEXT) | instid1(VALU_DEP_3)
	v_cndmask_b32_e64 v41, 0x7f800000, v42, s0
	v_exp_f32_e32 v48, v51
	v_cvt_f16_f32_e32 v42, v40
	s_delay_alu instid0(TRANS32_DEP_1) | instskip(NEXT) | instid1(VALU_DEP_2)
	v_ldexp_f32 v47, v48, v47
	v_pack_b32_f16 v48, v42, v46
	v_sub_f32_e32 v42, v62, v149
	s_delay_alu instid0(VALU_DEP_3) | instskip(SKIP_1) | instid1(VALU_DEP_3)
	v_cndmask_b32_e64 v43, 0, v47, s1
	v_cmp_nlt_f32_e64 s1, 0x42b17218, v49
	v_cmp_ngt_f32_e32 vcc_lo, 0xc2ce8ed0, v42
	s_wait_alu 0xf1ff
	s_delay_alu instid0(VALU_DEP_2) | instskip(SKIP_1) | instid1(VALU_DEP_2)
	v_cndmask_b32_e64 v54, 0x7f800000, v43, s1
	v_cvt_f16_f32_e32 v43, v41
	v_cvt_f16_f32_e32 v45, v54
	s_delay_alu instid0(VALU_DEP_1) | instskip(SKIP_1) | instid1(VALU_DEP_1)
	v_pack_b32_f16 v49, v43, v45
	v_mul_f32_e32 v43, 0x3fb8aa3b, v42
	v_fma_f32 v45, 0x3fb8aa3b, v42, -v43
	v_rndne_f32_e32 v46, v43
	s_delay_alu instid0(VALU_DEP_2) | instskip(NEXT) | instid1(VALU_DEP_2)
	v_fmac_f32_e32 v45, 0x32a5705f, v42
	v_sub_f32_e32 v43, v43, v46
	v_cvt_i32_f32_e32 v46, v46
	s_delay_alu instid0(VALU_DEP_2) | instskip(SKIP_1) | instid1(VALU_DEP_2)
	v_add_f32_e32 v43, v43, v45
	v_sub_f32_e32 v45, v61, v149
	v_exp_f32_e32 v43, v43
	s_delay_alu instid0(VALU_DEP_1) | instskip(SKIP_1) | instid1(VALU_DEP_2)
	v_mul_f32_e32 v47, 0x3fb8aa3b, v45
	v_cmp_ngt_f32_e64 s0, 0xc2ce8ed0, v45
	v_fma_f32 v50, 0x3fb8aa3b, v45, -v47
	v_rndne_f32_e32 v51, v47
	s_delay_alu instid0(TRANS32_DEP_1) | instskip(NEXT) | instid1(VALU_DEP_2)
	v_ldexp_f32 v43, v43, v46
	v_dual_fmac_f32 v50, 0x32a5705f, v45 :: v_dual_sub_f32 v47, v47, v51
	v_cvt_i32_f32_e32 v46, v51
	s_wait_alu 0xfffd
	s_delay_alu instid0(VALU_DEP_3) | instskip(SKIP_3) | instid1(VALU_DEP_3)
	v_cndmask_b32_e32 v43, 0, v43, vcc_lo
	v_cmp_nlt_f32_e32 vcc_lo, 0x42b17218, v42
	v_add_f32_e32 v47, v47, v50
	s_wait_alu 0xfffd
	v_cndmask_b32_e32 v69, 0x7f800000, v43, vcc_lo
	s_delay_alu instid0(VALU_DEP_2) | instskip(NEXT) | instid1(VALU_DEP_1)
	v_exp_f32_e32 v47, v47
	v_cvt_f16_f32_e32 v43, v69
	s_delay_alu instid0(TRANS32_DEP_1) | instskip(SKIP_1) | instid1(VALU_DEP_1)
	v_ldexp_f32 v46, v47, v46
	s_wait_alu 0xf1ff
	v_cndmask_b32_e64 v42, 0, v46, s0
	v_cmp_nlt_f32_e64 s0, 0x42b17218, v45
	s_wait_alu 0xf1ff
	s_delay_alu instid0(VALU_DEP_1) | instskip(NEXT) | instid1(VALU_DEP_1)
	v_cndmask_b32_e64 v68, 0x7f800000, v42, s0
	v_cvt_f16_f32_e32 v42, v68
	s_delay_alu instid0(VALU_DEP_1) | instskip(SKIP_1) | instid1(VALU_DEP_1)
	v_pack_b32_f16 v47, v42, v43
	v_sub_f32_e32 v42, v58, v149
	v_mul_f32_e32 v43, 0x3fb8aa3b, v42
	v_cmp_ngt_f32_e32 vcc_lo, 0xc2ce8ed0, v42
	s_delay_alu instid0(VALU_DEP_2) | instskip(SKIP_1) | instid1(VALU_DEP_2)
	v_fma_f32 v45, 0x3fb8aa3b, v42, -v43
	v_rndne_f32_e32 v46, v43
	v_fmac_f32_e32 v45, 0x32a5705f, v42
	s_delay_alu instid0(VALU_DEP_2) | instskip(SKIP_1) | instid1(VALU_DEP_2)
	v_sub_f32_e32 v43, v43, v46
	v_cvt_i32_f32_e32 v46, v46
	v_add_f32_e32 v43, v43, v45
	v_sub_f32_e32 v45, v57, v149
	s_delay_alu instid0(VALU_DEP_2) | instskip(NEXT) | instid1(VALU_DEP_1)
	v_exp_f32_e32 v43, v43
	v_mul_f32_e32 v50, 0x3fb8aa3b, v45
	v_cmp_ngt_f32_e64 s0, 0xc2ce8ed0, v45
	s_delay_alu instid0(VALU_DEP_2) | instskip(SKIP_1) | instid1(TRANS32_DEP_1)
	v_fma_f32 v51, 0x3fb8aa3b, v45, -v50
	v_rndne_f32_e32 v52, v50
	v_ldexp_f32 v43, v43, v46
	s_delay_alu instid0(VALU_DEP_2) | instskip(SKIP_2) | instid1(VALU_DEP_3)
	v_dual_fmac_f32 v51, 0x32a5705f, v45 :: v_dual_sub_f32 v50, v50, v52
	v_cvt_i32_f32_e32 v46, v52
	s_wait_alu 0xfffd
	v_cndmask_b32_e32 v43, 0, v43, vcc_lo
	v_cmp_nlt_f32_e32 vcc_lo, 0x42b17218, v42
	v_add_f32_e32 v50, v50, v51
	s_wait_alu 0xfffd
	s_delay_alu instid0(VALU_DEP_3) | instskip(NEXT) | instid1(VALU_DEP_2)
	v_cndmask_b32_e32 v71, 0x7f800000, v43, vcc_lo
	v_exp_f32_e32 v50, v50
	s_delay_alu instid0(VALU_DEP_1) | instskip(NEXT) | instid1(TRANS32_DEP_1)
	v_cvt_f16_f32_e32 v43, v71
	v_ldexp_f32 v46, v50, v46
	s_wait_alu 0xf1ff
	s_delay_alu instid0(VALU_DEP_1)
	v_cndmask_b32_e64 v42, 0, v46, s0
	v_cmp_nlt_f32_e64 s0, 0x42b17218, v45
	ds_load_u16 v74, v195 offset:6432
	ds_load_u16 v45, v196 offset:8512
	;; [unrolled: 1-line block ×5, first 2 shown]
	ds_load_u16_d16_hi v83, v197 offset:5760
	ds_load_u16_d16_hi v79, v197 offset:8448
	;; [unrolled: 1-line block ×5, first 2 shown]
	ds_load_u16 v80, v195 offset:5760
	s_wait_dscnt 0xa
	ds_load_u16_d16_hi v74, v195 offset:6608
	ds_load_u16 v76, v195 offset:8448
	ds_load_u16 v82, v195 offset:6464
	s_wait_dscnt 0xa
	ds_load_u16_d16_hi v65, v195 offset:6224
	s_wait_dscnt 0xa
	ds_load_u16_d16_hi v81, v195 offset:6288
	ds_load_u16 v73, v195 offset:6080
	s_wait_dscnt 0x6
	ds_load_u16_d16_hi v80, v195 offset:5936
	s_wait_alu 0xf1ff
	v_cndmask_b32_e64 v70, 0x7f800000, v42, s0
	s_delay_alu instid0(VALU_DEP_1) | instskip(NEXT) | instid1(VALU_DEP_1)
	v_cvt_f16_f32_e32 v42, v70
	v_pack_b32_f16 v46, v42, v43
	s_wait_dscnt 0x4
	ds_load_u16_d16_hi v82, v195 offset:6640
	ds_load_u16 v53, v196 offset:8480
	ds_load_u16 v50, v195 offset:8480
	;; [unrolled: 1-line block ×5, first 2 shown]
	s_wait_dscnt 0x4
	ds_load_u16_d16_hi v53, v197 offset:8480
	ds_load_u16_d16_hi v45, v197 offset:8512
	;; [unrolled: 1-line block ×4, first 2 shown]
	ds_load_u16 v57, v195 offset:5984
	ds_load_u16 v58, v195 offset:6336
	;; [unrolled: 1-line block ×3, first 2 shown]
	s_wait_dscnt 0x2
	ds_load_u16_d16_hi v57, v195 offset:6160
	ds_load_u16_d16_hi v56, v195 offset:5808
	;; [unrolled: 1-line block ×3, first 2 shown]
	s_wait_dscnt 0x4
	ds_load_u16_d16_hi v58, v195 offset:6512
	s_wait_dscnt 0x4
	ds_load_u16_d16_hi v66, v195 offset:6576
	ds_load_u16 v62, v195 offset:6368
	ds_load_u16 v61, v195 offset:6016
	s_wait_dscnt 0x1
	ds_load_u16_d16_hi v62, v195 offset:6544
	s_wait_dscnt 0x1
	ds_load_u16_d16_hi v61, v195 offset:6192
	ds_load_u16_d16_hi v67, v197 offset:5696
	;; [unrolled: 1-line block ×3, first 2 shown]
	v_sub_f32_e32 v43, v209, v149
	v_wmma_f16_16x16x16_f16 v[20:23], v[80:83], v[46:49], v[20:23]
	v_wmma_f16_16x16x16_f16 v[36:39], v[56:59], v[46:49], v[36:39]
	s_delay_alu instid0(VALU_DEP_3)
	v_cmp_ngt_f32_e64 s2, 0xc2ce8ed0, v43
	s_wait_dscnt 0x2
	v_wmma_f16_16x16x16_f16 v[32:35], v[60:63], v[46:49], v[32:35]
	s_wait_dscnt 0x1
	v_wmma_f16_16x16x16_f16 v[28:31], v[64:67], v[46:49], v[28:31]
	;; [unrolled: 2-line block ×3, first 2 shown]
	v_mul_f32_e32 v46, 0x3fb8aa3b, v43
	s_delay_alu instid0(VALU_DEP_1) | instskip(SKIP_1) | instid1(VALU_DEP_1)
	v_fma_f32 v47, 0x3fb8aa3b, v43, -v46
	v_rndne_f32_e32 v48, v46
	v_dual_fmac_f32 v47, 0x32a5705f, v43 :: v_dual_sub_f32 v46, v46, v48
	v_cvt_i32_f32_e32 v48, v48
	s_delay_alu instid0(VALU_DEP_2) | instskip(NEXT) | instid1(VALU_DEP_1)
	v_dual_add_f32 v46, v46, v47 :: v_dual_sub_f32 v47, v208, v149
	v_exp_f32_e32 v46, v46
	s_delay_alu instid0(VALU_DEP_1) | instskip(SKIP_1) | instid1(VALU_DEP_2)
	v_mul_f32_e32 v49, 0x3fb8aa3b, v47
	v_cmp_ngt_f32_e32 vcc_lo, 0xc2ce8ed0, v47
	v_fma_f32 v51, 0x3fb8aa3b, v47, -v49
	v_rndne_f32_e32 v52, v49
	s_delay_alu instid0(TRANS32_DEP_1) | instskip(NEXT) | instid1(VALU_DEP_3)
	v_ldexp_f32 v46, v46, v48
	v_fmac_f32_e32 v51, 0x32a5705f, v47
	s_delay_alu instid0(VALU_DEP_3)
	v_sub_f32_e32 v49, v49, v52
	v_cvt_i32_f32_e32 v52, v52
	s_wait_alu 0xf1ff
	v_cndmask_b32_e64 v46, 0, v46, s2
	v_cmp_nlt_f32_e64 s2, 0x42b17218, v43
	v_add_f32_e32 v49, v49, v51
	v_sub_f32_e32 v51, v207, v149
	s_delay_alu instid0(VALU_DEP_2) | instskip(NEXT) | instid1(VALU_DEP_1)
	v_exp_f32_e32 v49, v49
	v_mul_f32_e32 v56, 0x3fb8aa3b, v51
	v_cmp_ngt_f32_e64 s0, 0xc2ce8ed0, v51
	s_delay_alu instid0(VALU_DEP_2) | instskip(SKIP_1) | instid1(TRANS32_DEP_1)
	v_fma_f32 v57, 0x3fb8aa3b, v51, -v56
	v_rndne_f32_e32 v58, v56
	v_ldexp_f32 v49, v49, v52
	s_delay_alu instid0(VALU_DEP_2) | instskip(SKIP_2) | instid1(VALU_DEP_3)
	v_dual_fmac_f32 v57, 0x32a5705f, v51 :: v_dual_sub_f32 v56, v56, v58
	v_cvt_i32_f32_e32 v48, v58
	s_wait_alu 0xfffd
	v_cndmask_b32_e32 v49, 0, v49, vcc_lo
	v_cmp_nlt_f32_e32 vcc_lo, 0x42b17218, v47
	v_add_f32_e32 v56, v56, v57
	v_sub_f32_e32 v57, v206, v149
	s_delay_alu instid0(VALU_DEP_2) | instskip(NEXT) | instid1(VALU_DEP_1)
	v_exp_f32_e32 v56, v56
	v_mul_f32_e32 v59, 0x3fb8aa3b, v57
	v_cmp_ngt_f32_e64 s1, 0xc2ce8ed0, v57
	s_delay_alu instid0(VALU_DEP_2) | instskip(SKIP_1) | instid1(TRANS32_DEP_1)
	v_fma_f32 v60, 0x3fb8aa3b, v57, -v59
	v_rndne_f32_e32 v61, v59
	v_ldexp_f32 v48, v56, v48
	s_delay_alu instid0(VALU_DEP_3) | instskip(NEXT) | instid1(VALU_DEP_3)
	v_fmac_f32_e32 v60, 0x32a5705f, v57
	v_sub_f32_e32 v59, v59, v61
	v_cvt_i32_f32_e32 v52, v61
	s_wait_alu 0xf1ff
	v_cndmask_b32_e64 v47, 0, v48, s0
	v_cmp_nlt_f32_e64 s0, 0x42b17218, v51
	v_add_f32_e32 v59, v59, v60
	s_delay_alu instid0(VALU_DEP_1) | instskip(SKIP_2) | instid1(TRANS32_DEP_1)
	v_exp_f32_e32 v56, v59
	s_wait_alu 0xfffd
	v_cndmask_b32_e32 v59, 0x7f800000, v49, vcc_lo
	v_ldexp_f32 v52, v56, v52
	v_cndmask_b32_e64 v56, 0x7f800000, v46, s2
	s_delay_alu instid0(VALU_DEP_2) | instskip(SKIP_4) | instid1(VALU_DEP_3)
	v_cndmask_b32_e64 v48, 0, v52, s1
	v_cmp_nlt_f32_e64 s1, 0x42b17218, v57
	s_wait_alu 0xf1ff
	v_cndmask_b32_e64 v57, 0x7f800000, v47, s0
	v_cvt_f16_f32_e32 v43, v56
	v_cndmask_b32_e64 v58, 0x7f800000, v48, s1
	v_cvt_f16_f32_e32 v48, v59
	s_delay_alu instid0(VALU_DEP_4) | instskip(NEXT) | instid1(VALU_DEP_3)
	v_cvt_f16_f32_e32 v46, v57
	v_cvt_f16_f32_e32 v47, v58
	s_delay_alu instid0(VALU_DEP_3) | instskip(SKIP_1) | instid1(VALU_DEP_3)
	v_pack_b32_f16 v48, v43, v48
	v_sub_f32_e32 v43, v160, v149
	v_pack_b32_f16 v49, v46, v47
	s_delay_alu instid0(VALU_DEP_2) | instskip(SKIP_1) | instid1(VALU_DEP_2)
	v_mul_f32_e32 v46, 0x3fb8aa3b, v43
	v_cmp_ngt_f32_e32 vcc_lo, 0xc2ce8ed0, v43
	v_fma_f32 v47, 0x3fb8aa3b, v43, -v46
	v_rndne_f32_e32 v51, v46
	s_delay_alu instid0(VALU_DEP_2) | instskip(NEXT) | instid1(VALU_DEP_2)
	v_fmac_f32_e32 v47, 0x32a5705f, v43
	v_sub_f32_e32 v46, v46, v51
	v_cvt_i32_f32_e32 v51, v51
	s_delay_alu instid0(VALU_DEP_2) | instskip(NEXT) | instid1(VALU_DEP_1)
	v_dual_add_f32 v46, v46, v47 :: v_dual_sub_f32 v47, v85, v149
	v_exp_f32_e32 v46, v46
	s_delay_alu instid0(VALU_DEP_1) | instskip(SKIP_1) | instid1(VALU_DEP_2)
	v_mul_f32_e32 v52, 0x3fb8aa3b, v47
	v_cmp_ngt_f32_e64 s0, 0xc2ce8ed0, v47
	v_fma_f32 v60, 0x3fb8aa3b, v47, -v52
	v_rndne_f32_e32 v61, v52
	s_delay_alu instid0(TRANS32_DEP_1) | instskip(NEXT) | instid1(VALU_DEP_3)
	v_ldexp_f32 v46, v46, v51
	v_fmac_f32_e32 v60, 0x32a5705f, v47
	s_delay_alu instid0(VALU_DEP_3)
	v_sub_f32_e32 v52, v52, v61
	v_cvt_i32_f32_e32 v51, v61
	s_wait_alu 0xfffd
	v_cndmask_b32_e32 v46, 0, v46, vcc_lo
	v_cmp_nlt_f32_e32 vcc_lo, 0x42b17218, v43
	s_wait_alu 0xfffd
	s_delay_alu instid0(VALU_DEP_2) | instskip(NEXT) | instid1(VALU_DEP_1)
	v_dual_add_f32 v52, v52, v60 :: v_dual_cndmask_b32 v61, 0x7f800000, v46
	v_exp_f32_e32 v52, v52
	s_delay_alu instid0(VALU_DEP_1) | instskip(NEXT) | instid1(TRANS32_DEP_1)
	v_cvt_f16_f32_e32 v46, v61
	v_ldexp_f32 v51, v52, v51
	s_wait_alu 0xf1ff
	s_delay_alu instid0(VALU_DEP_1) | instskip(SKIP_2) | instid1(VALU_DEP_1)
	v_cndmask_b32_e64 v43, 0, v51, s0
	v_cmp_nlt_f32_e64 s0, 0x42b17218, v47
	s_wait_alu 0xf1ff
	v_cndmask_b32_e64 v60, 0x7f800000, v43, s0
	s_delay_alu instid0(VALU_DEP_1) | instskip(NEXT) | instid1(VALU_DEP_1)
	v_cvt_f16_f32_e32 v43, v60
	v_pack_b32_f16 v47, v43, v46
	v_sub_f32_e32 v43, v78, v149
	s_delay_alu instid0(VALU_DEP_1) | instskip(SKIP_1) | instid1(VALU_DEP_2)
	v_mul_f32_e32 v46, 0x3fb8aa3b, v43
	v_cmp_ngt_f32_e32 vcc_lo, 0xc2ce8ed0, v43
	v_fma_f32 v51, 0x3fb8aa3b, v43, -v46
	v_rndne_f32_e32 v52, v46
	s_delay_alu instid0(VALU_DEP_1) | instskip(SKIP_1) | instid1(VALU_DEP_2)
	v_dual_fmac_f32 v51, 0x32a5705f, v43 :: v_dual_sub_f32 v46, v46, v52
	v_cvt_i32_f32_e32 v52, v52
	v_dual_add_f32 v46, v46, v51 :: v_dual_sub_f32 v51, v77, v149
	s_delay_alu instid0(VALU_DEP_1) | instskip(NEXT) | instid1(VALU_DEP_1)
	v_exp_f32_e32 v46, v46
	v_mul_f32_e32 v62, 0x3fb8aa3b, v51
	v_cmp_ngt_f32_e64 s0, 0xc2ce8ed0, v51
	s_delay_alu instid0(VALU_DEP_2) | instskip(SKIP_1) | instid1(TRANS32_DEP_1)
	v_fma_f32 v63, 0x3fb8aa3b, v51, -v62
	v_rndne_f32_e32 v64, v62
	v_ldexp_f32 v46, v46, v52
	s_delay_alu instid0(VALU_DEP_2) | instskip(SKIP_2) | instid1(VALU_DEP_3)
	v_dual_fmac_f32 v63, 0x32a5705f, v51 :: v_dual_sub_f32 v62, v62, v64
	v_cvt_i32_f32_e32 v52, v64
	s_wait_alu 0xfffd
	v_cndmask_b32_e32 v46, 0, v46, vcc_lo
	v_cmp_nlt_f32_e32 vcc_lo, 0x42b17218, v43
	s_wait_alu 0xfffd
	s_delay_alu instid0(VALU_DEP_2) | instskip(NEXT) | instid1(VALU_DEP_1)
	v_dual_add_f32 v62, v62, v63 :: v_dual_cndmask_b32 v63, 0x7f800000, v46
	v_exp_f32_e32 v62, v62
	v_cmp_lt_i32_e32 vcc_lo, s94, v164
	s_delay_alu instid0(VALU_DEP_2) | instskip(SKIP_1) | instid1(TRANS32_DEP_1)
	v_cvt_f16_f32_e32 v46, v63
	s_and_b32 vcc_lo, exec_lo, vcc_lo
	v_ldexp_f32 v52, v62, v52
	s_wait_alu 0xf1ff
	s_delay_alu instid0(VALU_DEP_1) | instskip(SKIP_2) | instid1(VALU_DEP_1)
	v_cndmask_b32_e64 v43, 0, v52, s0
	v_cmp_nlt_f32_e64 s0, 0x42b17218, v51
	s_wait_alu 0xf1ff
	v_cndmask_b32_e64 v62, 0x7f800000, v43, s0
	s_delay_alu instid0(VALU_DEP_1) | instskip(NEXT) | instid1(VALU_DEP_1)
	v_cvt_f16_f32_e32 v43, v62
	v_pack_b32_f16 v46, v43, v46
	ds_load_u16 v238, v195 offset:8896
	ds_load_u16 v78, v195 offset:9152
	;; [unrolled: 1-line block ×5, first 2 shown]
	ds_load_u16_d16_hi v76, v195 offset:8624
	s_wait_dscnt 0x5
	ds_load_u16_d16_hi v238, v195 offset:9072
	s_wait_dscnt 0x5
	ds_load_u16_d16_hi v78, v195 offset:9328
	ds_load_u16_d16_hi v84, v195 offset:8752
	s_wait_dscnt 0x6
	ds_load_u16_d16_hi v77, v195 offset:8976
	s_wait_dscnt 0x6
	;; [unrolled: 2-line block ×3, first 2 shown]
	ds_load_u16_d16_hi v43, v195 offset:9040
	ds_load_u16 v85, v195 offset:8928
	ds_load_u16 v52, v195 offset:9184
	ds_load_u16_d16_hi v50, v195 offset:8656
	ds_load_u16_d16_hi v42, v195 offset:8688
	;; [unrolled: 1-line block ×3, first 2 shown]
	s_wait_dscnt 0x4
	ds_load_u16_d16_hi v85, v195 offset:9104
	v_wmma_f16_16x16x16_f16 v[36:39], v[76:79], v[46:49], v[36:39]
	s_wait_dscnt 0x4
	ds_load_u16_d16_hi v52, v195 offset:9360
	s_wait_loadcnt_dscnt 0x0
	v_wmma_f16_16x16x16_f16 v[28:31], v[42:45], v[46:49], v[28:31]
	v_add_f32_e32 v42, v217, v218
	v_wmma_f16_16x16x16_f16 v[24:27], v[237:240], v[46:49], v[24:27]
	v_wmma_f16_16x16x16_f16 v[20:23], v[84:87], v[46:49], v[20:23]
	s_barrier_signal -1
	s_barrier_wait -1
	v_add_f32_e32 v42, v214, v42
	global_inv scope:SCOPE_SE
	v_add_f32_e32 v42, v215, v42
	s_delay_alu instid0(VALU_DEP_1) | instskip(SKIP_1) | instid1(VALU_DEP_2)
	v_add_f32_e32 v42, v212, v42
	v_wmma_f16_16x16x16_f16 v[32:35], v[50:53], v[46:49], v[32:35]
	v_add_f32_e32 v42, v213, v42
	s_delay_alu instid0(VALU_DEP_1) | instskip(NEXT) | instid1(VALU_DEP_1)
	v_add_f32_e32 v42, v210, v42
	v_add_f32_e32 v42, v211, v42
	s_delay_alu instid0(VALU_DEP_1) | instskip(NEXT) | instid1(VALU_DEP_1)
	v_add_f32_e32 v42, v227, v42
	;; [unrolled: 3-line block ×8, first 2 shown]
	v_add_f32_e32 v40, v55, v40
	s_delay_alu instid0(VALU_DEP_1) | instskip(NEXT) | instid1(VALU_DEP_1)
	v_dual_add_f32 v40, v41, v40 :: v_dual_mov_b32 v41, v144
	v_add_f32_e32 v40, v54, v40
	s_delay_alu instid0(VALU_DEP_1) | instskip(NEXT) | instid1(VALU_DEP_1)
	v_add_f32_e32 v40, v62, v40
	v_add_f32_e32 v40, v63, v40
	s_delay_alu instid0(VALU_DEP_1) | instskip(NEXT) | instid1(VALU_DEP_1)
	v_add_f32_e32 v40, v60, v40
	;; [unrolled: 3-line block ×4, first 2 shown]
	v_add_f32_e32 v144, v58, v40
	s_delay_alu instid0(VALU_DEP_1)
	v_fmac_f32_e32 v144, v41, v216
	s_wait_alu 0xfffe
	s_cbranch_vccnz .LBB9_483
; %bb.484:
	v_dual_mov_b32 v61, s35 :: v_dual_mov_b32 v60, s34
	v_dual_mov_b32 v41, s27 :: v_dual_mov_b32 v40, s26
	s_branch .LBB9_486
.LBB9_485:
	v_mov_b32_e32 v23, 0
	s_delay_alu instid0(VALU_DEP_1)
	v_dual_mov_b32 v149, 0xfeffffff :: v_dual_mov_b32 v22, v23
	v_dual_mov_b32 v21, v23 :: v_dual_mov_b32 v20, v23
	;; [unrolled: 1-line block ×10, first 2 shown]
.LBB9_486:
	s_lshl_b32 s0, s94, 6
	v_lshlrev_b64_e32 v[42:43], 1, v[102:103]
	s_wait_alu 0xfffe
	s_ashr_i32 s1, s0, 31
	v_mul_lo_u32 v41, s0, v41
	s_wait_alu 0xfffe
	s_lshl_b64 s[2:3], s[0:1], 1
	v_mul_lo_u32 v62, s1, v40
	s_wait_alu 0xfffe
	s_add_nc_u64 s[2:3], s[12:13], s[2:3]
	v_lshlrev_b64_e32 v[44:45], 1, v[100:101]
	s_wait_alu 0xfffe
	v_add_co_u32 v58, s2, s2, v183
	s_wait_alu 0xf1ff
	v_add_co_ci_u32_e64 v59, null, s3, 0, s2
	v_lshlrev_b64_e32 v[46:47], 1, v[104:105]
	v_mul_hi_u32 v63, s0, v40
	v_add_co_u32 v42, vcc_lo, v58, v42
	v_lshlrev_b64_e32 v[48:49], 1, v[108:109]
	v_add_nc_u32_e32 v41, v41, v62
	s_wait_alu 0xfffd
	v_add_co_ci_u32_e64 v43, null, v59, v43, vcc_lo
	v_add_co_u32 v44, vcc_lo, v58, v44
	v_lshlrev_b64_e32 v[50:51], 1, v[111:112]
	v_mul_lo_u32 v40, s0, v40
	s_wait_alu 0xfffd
	v_add_co_ci_u32_e64 v45, null, v59, v45, vcc_lo
	v_add_co_u32 v46, vcc_lo, v58, v46
	v_lshlrev_b64_e32 v[52:53], 1, v[119:120]
	s_wait_alu 0xfffd
	v_add_co_ci_u32_e64 v47, null, v59, v47, vcc_lo
	v_add_co_u32 v48, vcc_lo, v58, v48
	v_lshlrev_b64_e32 v[54:55], 1, v[115:116]
	v_add_nc_u32_e32 v41, v41, v63
	s_wait_alu 0xfffd
	v_add_co_ci_u32_e64 v49, null, v59, v49, vcc_lo
	v_add_co_u32 v50, vcc_lo, v58, v50
	v_lshlrev_b64_e32 v[56:57], 1, v[117:118]
	s_wait_alu 0xfffd
	v_add_co_ci_u32_e64 v51, null, v59, v51, vcc_lo
	v_add_co_u32 v52, vcc_lo, v58, v52
	v_lshlrev_b64_e32 v[40:41], 2, v[40:41]
	s_wait_alu 0xfffd
	v_add_co_ci_u32_e64 v53, null, v59, v53, vcc_lo
	v_add_co_u32 v54, vcc_lo, v58, v54
	s_wait_alu 0xfffd
	v_add_co_ci_u32_e64 v55, null, v59, v55, vcc_lo
	v_add_co_u32 v56, vcc_lo, v58, v56
	s_wait_alu 0xfffd
	v_add_co_ci_u32_e64 v57, null, v59, v57, vcc_lo
	s_clause 0x7
	global_load_b32 v66, v[42:43], off
	global_load_b32 v67, v[44:45], off
	;; [unrolled: 1-line block ×8, first 2 shown]
	v_lshlrev_b64_e32 v[42:43], 2, v[113:114]
	v_add_co_u32 v50, vcc_lo, s10, v40
	s_wait_alu 0xfffd
	v_add_co_ci_u32_e64 v51, null, s11, v41, vcc_lo
	v_lshlrev_b64_e32 v[64:65], 2, v[98:99]
	s_delay_alu instid0(VALU_DEP_3) | instskip(SKIP_3) | instid1(VALU_DEP_3)
	v_add_co_u32 v42, vcc_lo, v50, v42
	v_lshlrev_b64_e32 v[40:41], 2, v[121:122]
	s_wait_alu 0xfffd
	v_add_co_ci_u32_e64 v43, null, v51, v43, vcc_lo
	v_add_co_u32 v42, vcc_lo, v42, v64
	v_lshlrev_b64_e32 v[62:63], 2, v[106:107]
	s_wait_alu 0xfffd
	s_delay_alu instid0(VALU_DEP_3) | instskip(SKIP_4) | instid1(VALU_DEP_3)
	v_add_co_ci_u32_e64 v43, null, v43, v65, vcc_lo
	v_add_co_u32 v44, vcc_lo, v50, v40
	s_wait_alu 0xfffd
	v_add_co_ci_u32_e64 v45, null, v51, v41, vcc_lo
	v_lshlrev_b64_e32 v[40:41], 2, v[123:124]
	v_add_co_u32 v44, vcc_lo, v44, v62
	s_wait_alu 0xfffd
	s_delay_alu instid0(VALU_DEP_3) | instskip(SKIP_1) | instid1(VALU_DEP_4)
	v_add_co_ci_u32_e64 v45, null, v45, v63, vcc_lo
	v_add_nc_u32_e32 v76, 0, v183
	v_add_co_u32 v46, vcc_lo, v50, v40
	s_wait_alu 0xfffd
	v_add_co_ci_u32_e64 v47, null, v51, v41, vcc_lo
	v_lshlrev_b64_e32 v[40:41], 2, v[125:126]
	s_delay_alu instid0(VALU_DEP_3) | instskip(SKIP_1) | instid1(VALU_DEP_3)
	v_add_co_u32 v48, vcc_lo, v46, v62
	s_wait_alu 0xfffd
	v_add_co_ci_u32_e64 v49, null, v47, v63, vcc_lo
	v_lshlrev_b64_e32 v[46:47], 2, v[127:128]
	s_delay_alu instid0(VALU_DEP_4) | instskip(SKIP_3) | instid1(VALU_DEP_4)
	v_add_co_u32 v40, vcc_lo, v50, v40
	s_wait_alu 0xfffd
	v_add_co_ci_u32_e64 v41, null, v51, v41, vcc_lo
	v_lshlrev_b32_e32 v77, 2, v98
	v_add_co_u32 v46, vcc_lo, v50, v46
	s_wait_alu 0xfffd
	v_add_co_ci_u32_e64 v47, null, v51, v47, vcc_lo
	v_add_co_u32 v52, vcc_lo, v40, v62
	s_wait_alu 0xfffd
	v_add_co_ci_u32_e64 v53, null, v41, v63, vcc_lo
	;; [unrolled: 3-line block ×3, first 2 shown]
	s_clause 0x4
	global_load_b128 v[40:43], v[42:43], off
	global_load_b128 v[44:47], v[44:45], off
	;; [unrolled: 1-line block ×5, first 2 shown]
	v_lshlrev_b32_e32 v75, 2, v106
	v_add3_u32 v74, 0, v182, v139
	v_add_nc_u32_e32 v80, 0, v165
	v_cmp_lt_i32_e32 vcc_lo, v163, v161
	v_add_nc_u32_e32 v81, v76, v146
	v_add_nc_u32_e32 v82, v76, v147
	;; [unrolled: 1-line block ×6, first 2 shown]
	s_wait_alu 0xfffd
	v_cndmask_b32_e32 v78, v162, v163, vcc_lo
	v_mul_lo_u32 v128, s0, v61
	v_add_nc_u32_e32 v86, v76, v152
	v_add_nc_u32_e32 v87, v76, v153
	v_add3_u32 v61, 0, v155, v77
	v_add3_u32 v76, 0, v156, v75
	;; [unrolled: 1-line block ×5, first 2 shown]
	v_lshl_add_u32 v146, v169, 2, v80
	v_lshl_add_u32 v147, v168, 2, v80
	;; [unrolled: 1-line block ×14, first 2 shown]
	v_mul_hi_u32 v186, s0, v60
	v_mul_lo_u32 v187, s1, v60
	v_add3_u32 v143, 0, v143, v141
	s_mov_b32 s1, 0
	s_mov_b32 s2, exec_lo
	s_wait_loadcnt 0xc
	ds_store_b32 v81, v66 offset:11264
	s_wait_loadcnt 0xb
	ds_store_b32 v82, v67 offset:11264
	;; [unrolled: 2-line block ×8, first 2 shown]
	s_wait_loadcnt 0x4
	ds_store_b128 v61, v[40:43]
	s_wait_loadcnt 0x3
	ds_store_b128 v76, v[44:47]
	;; [unrolled: 2-line block ×5, first 2 shown]
	s_wait_dscnt 0x0
	s_barrier_signal -1
	s_barrier_wait -1
	global_inv scope:SCOPE_SE
	ds_load_b128 v[48:51], v74
	ds_load_b128 v[56:59], v74 offset:32
	ds_load_b128 v[98:101], v74 offset:64
	;; [unrolled: 1-line block ×19, first 2 shown]
	s_wait_dscnt 0x13
	v_wmma_f32_16x16x16_f16 v[40:47], v[48:51], v[16:19], 0
	s_wait_loadcnt_dscnt 0x0
	s_barrier_signal -1
	s_barrier_wait -1
	v_wmma_f32_16x16x16_f16 v[48:55], v[66:69], v[16:19], 0
	v_wmma_f32_16x16x16_f16 v[40:47], v[56:59], v[12:15], v[40:47]
	global_inv scope:SCOPE_SE
	v_wmma_f32_16x16x16_f16 v[48:55], v[110:113], v[12:15], v[48:55]
	v_wmma_f32_16x16x16_f16 v[66:73], v[80:83], v[16:19], 0
	;; [unrolled: 1-line block ×3, first 2 shown]
	s_delay_alu instid0(VALU_DEP_3) | instskip(SKIP_1) | instid1(VALU_DEP_4)
	v_wmma_f32_16x16x16_f16 v[48:55], v[114:117], v[8:11], v[48:55]
	v_wmma_f32_16x16x16_f16 v[80:87], v[166:169], v[16:19], 0
	;; [unrolled: 1-line block ×3, first 2 shown]
	s_delay_alu instid0(VALU_DEP_4) | instskip(NEXT) | instid1(VALU_DEP_4)
	v_wmma_f32_16x16x16_f16 v[40:47], v[102:105], v[4:7], v[40:47]
	v_wmma_f32_16x16x16_f16 v[48:55], v[118:121], v[4:7], v[48:55]
	s_delay_alu instid0(VALU_DEP_4) | instskip(NEXT) | instid1(VALU_DEP_4)
	v_wmma_f32_16x16x16_f16 v[80:87], v[170:173], v[12:15], v[80:87]
	v_wmma_f32_16x16x16_f16 v[66:73], v[154:157], v[8:11], v[66:73]
	;; [unrolled: 3-line block ×3, first 2 shown]
	v_add_nc_u32_e32 v126, 0x2c00, v146
	ds_load_2addr_b32 v[126:127], v126 offset1:1
	ds_load_b32 v74, v147 offset:11264
	ds_load_b32 v147, v148 offset:11264
	ds_load_b32 v148, v188 offset:11264
	ds_load_b32 v188, v189 offset:11264
	ds_load_b32 v189, v190 offset:11264
	ds_load_b32 v190, v191 offset:11264
	ds_load_b32 v146, v146 offset:11272
	ds_load_b32 v191, v192 offset:11264
	ds_load_b32 v192, v193 offset:11264
	ds_load_b32 v193, v194 offset:11264
	ds_load_b32 v194, v195 offset:11264
	ds_load_b32 v195, v196 offset:11264
	ds_load_b32 v196, v197 offset:11264
	ds_load_b32 v197, v198 offset:11264
	v_wmma_f32_16x16x16_f16 v[80:87], v[174:177], v[8:11], v[80:87]
	v_wmma_f32_16x16x16_f16 v[66:73], v[158:161], v[4:7], v[66:73]
	s_wait_dscnt 0xe
	v_lshrrev_b32_e32 v17, 16, v126
	v_cvt_f32_f16_e32 v16, v126
	v_lshrrev_b32_e32 v19, 16, v127
	v_cvt_f32_f16_e32 v18, v127
	v_wmma_f32_16x16x16_f16 v[80:87], v[178:181], v[4:7], v[80:87]
	v_cvt_f32_f16_e32 v12, v17
	v_add_f32_e32 v11, v40, v16
	s_wait_dscnt 0x7
	v_cvt_f32_f16_e64 v126, v146
	v_lshrrev_b32_e32 v127, 16, v146
	v_cvt_f32_f16_e64 v146, v74
	v_lshrrev_b32_e32 v74, 16, v74
	v_cvt_f32_f16_e32 v13, v19
	v_add_f32_e32 v12, v41, v12
	v_cvt_f32_f16_e64 v166, v147
	v_lshrrev_b32_e32 v147, 16, v147
	v_cvt_f32_f16_e32 v14, v127
	v_cvt_f32_f16_e32 v15, v74
	v_wmma_f32_16x16x16_f16 v[66:73], v[162:165], v[0:3], v[66:73]
	v_wmma_f32_16x16x16_f16 v[80:87], v[182:185], v[0:3], v[80:87]
	v_dual_add_f32 v16, v42, v18 :: v_dual_add_f32 v13, v43, v13
	v_dual_add_f32 v0, 0x40051340, v11 :: v_dual_add_f32 v1, 0x40051340, v12
	v_cvt_f32_f16_e64 v17, v147
	v_add_f32_e32 v14, v45, v14
	s_delay_alu instid0(VALU_DEP_4) | instskip(NEXT) | instid1(VALU_DEP_4)
	v_dual_add_f32 v2, 0x40051340, v16 :: v_dual_add_f32 v3, 0x40051340, v13
	v_max3_num_f32 v0, v149, v0, v1
	v_dual_add_f32 v15, v47, v15 :: v_dual_add_f32 v18, v44, v126
	v_cvt_f32_f16_e64 v167, v148
	v_lshrrev_b32_e32 v148, 16, v148
	v_add_f32_e32 v42, v46, v146
	v_add_f32_e32 v4, 0x40051340, v14
	v_max3_num_f32 v0, v0, v2, v3
	v_add_f32_e32 v17, v49, v17
	v_add_f32_e32 v3, 0x40051340, v15
	v_dual_add_f32 v1, 0x40051340, v18 :: v_dual_add_f32 v44, v50, v167
	v_cvt_f32_f16_e64 v168, v188
	v_lshrrev_b32_e32 v169, 16, v188
	v_cvt_f32_f16_e64 v188, v189
	v_lshrrev_b32_e32 v189, 16, v189
	v_cvt_f32_f16_e64 v19, v148
	v_add_f32_e32 v43, v48, v166
	v_max3_num_f32 v0, v0, v1, v4
	v_add_f32_e32 v4, 0x40051340, v17
	v_add_f32_e32 v2, 0x40051340, v42
	v_cvt_f32_f16_e64 v56, v169
	v_cvt_f32_f16_e64 v57, v189
	v_add_f32_e32 v19, v51, v19
	v_add_f32_e32 v1, 0x40051340, v43
	v_max3_num_f32 v0, v0, v2, v3
	v_cvt_f32_f16_e64 v198, v190
	v_lshrrev_b32_e32 v190, 16, v190
	v_dual_add_f32 v45, v52, v168 :: v_dual_add_f32 v48, v55, v57
	v_dual_add_f32 v46, v53, v56 :: v_dual_add_f32 v3, 0x40051340, v19
	v_add_f32_e32 v2, 0x40051340, v44
	v_max3_num_f32 v0, v0, v1, v4
	s_wait_dscnt 0x6
	v_cvt_f32_f16_e64 v199, v191
	v_lshrrev_b32_e32 v191, 16, v191
	v_cvt_f32_f16_e64 v58, v190
	v_dual_add_f32 v47, v54, v188 :: v_dual_add_f32 v4, 0x40051340, v46
	v_add_f32_e32 v1, 0x40051340, v45
	v_max3_num_f32 v0, v0, v2, v3
	s_wait_dscnt 0x5
	v_cvt_f32_f16_e64 v200, v192
	v_lshrrev_b32_e32 v192, 16, v192
	v_cvt_f32_f16_e64 v59, v191
	v_dual_add_f32 v49, v66, v198 :: v_dual_add_f32 v2, 0x40051340, v47
	v_dual_add_f32 v50, v67, v58 :: v_dual_add_f32 v3, 0x40051340, v48
	v_max3_num_f32 v0, v0, v1, v4
	s_wait_dscnt 0x4
	v_cvt_f32_f16_e64 v201, v193
	v_lshrrev_b32_e32 v193, 16, v193
	v_cvt_f32_f16_e64 v74, v192
	v_dual_add_f32 v51, v68, v199 :: v_dual_add_f32 v4, 0x40051340, v50
	v_dual_add_f32 v53, v69, v59 :: v_dual_add_f32 v54, v70, v200
	s_delay_alu instid0(VALU_DEP_3)
	v_dual_add_f32 v1, 0x40051340, v49 :: v_dual_add_f32 v56, v71, v74
	v_max3_num_f32 v0, v0, v2, v3
	s_wait_dscnt 0x3
	v_cvt_f32_f16_e64 v202, v194
	v_lshrrev_b32_e32 v194, 16, v194
	v_cvt_f32_f16_e64 v110, v193
	v_dual_add_f32 v2, 0x40051340, v51 :: v_dual_add_f32 v3, 0x40051340, v53
	v_max3_num_f32 v0, v0, v1, v4
	s_wait_dscnt 0x2
	v_cvt_f32_f16_e64 v203, v195
	v_lshrrev_b32_e32 v195, 16, v195
	s_wait_dscnt 0x1
	v_cvt_f32_f16_e64 v204, v196
	v_lshrrev_b32_e32 v196, 16, v196
	v_cvt_f32_f16_e64 v98, v194
	v_dual_add_f32 v57, v72, v201 :: v_dual_add_f32 v4, 0x40051340, v56
	v_add_f32_e32 v59, v73, v110
	v_add_f32_e32 v1, 0x40051340, v54
	v_max3_num_f32 v0, v0, v2, v3
	s_wait_dscnt 0x0
	v_cvt_f32_f16_e64 v205, v197
	v_lshrrev_b32_e32 v197, 16, v197
	v_cvt_f32_f16_e64 v99, v195
	v_cvt_f32_f16_e64 v100, v196
	v_dual_add_f32 v73, v80, v202 :: v_dual_add_f32 v2, 0x40051340, v57
	v_dual_add_f32 v74, v81, v98 :: v_dual_add_f32 v3, 0x40051340, v59
	v_add_f32_e32 v98, v82, v203
	v_max3_num_f32 v0, v0, v1, v4
	v_cvt_f32_f16_e64 v8, v197
	s_delay_alu instid0(VALU_DEP_4) | instskip(SKIP_1) | instid1(VALU_DEP_4)
	v_dual_add_f32 v99, v83, v99 :: v_dual_add_f32 v4, 0x40051340, v74
	v_lshlrev_b32_e32 v41, 2, v78
	v_max3_num_f32 v0, v0, v2, v3
	v_dual_add_f32 v2, v85, v100 :: v_dual_add_f32 v1, 0x40051340, v73
	s_delay_alu instid0(VALU_DEP_4) | instskip(NEXT) | instid1(VALU_DEP_2)
	v_add_f32_e32 v5, 0x40051340, v99
	v_add_f32_e32 v7, 0x40051340, v2
	s_delay_alu instid0(VALU_DEP_3) | instskip(SKIP_3) | instid1(VALU_DEP_3)
	v_max3_num_f32 v4, v0, v1, v4
	v_add_f32_e32 v1, v86, v205
	v_add_f32_e32 v101, v84, v204
	;; [unrolled: 1-line block ×3, first 2 shown]
	v_dual_add_f32 v8, 0x40051340, v1 :: v_dual_add_f32 v3, 0x40051340, v98
	s_delay_alu instid0(VALU_DEP_2) | instskip(NEXT) | instid1(VALU_DEP_2)
	v_dual_add_f32 v6, 0x40051340, v101 :: v_dual_add_f32 v9, 0x40051340, v0
	v_max3_num_f32 v4, v4, v3, v5
	v_mul_lo_u32 v3, s0, v60
	s_delay_alu instid0(VALU_DEP_2) | instskip(NEXT) | instid1(VALU_DEP_1)
	v_max3_num_f32 v6, v4, v6, v7
	v_max3_num_f32 v40, v6, v8, v9
	v_lshlrev_b64_e32 v[7:8], 2, v[90:91]
	v_lshlrev_b64_e32 v[9:10], 2, v[92:93]
	ds_bpermute_b32 v52, v41, v40
	s_wait_dscnt 0x0
	v_max_num_f32_e32 v52, v52, v52
	s_delay_alu instid0(VALU_DEP_1) | instskip(NEXT) | instid1(VALU_DEP_1)
	v_max_num_f32_e32 v40, v40, v52
	v_dual_sub_f32 v18, v18, v40 :: v_dual_add_nc_u32 v5, v128, v187
	s_delay_alu instid0(VALU_DEP_1) | instskip(SKIP_1) | instid1(VALU_DEP_3)
	v_dual_sub_f32 v11, v11, v40 :: v_dual_add_nc_u32 v4, v5, v186
	v_lshlrev_b64_e32 v[5:6], 2, v[94:95]
	v_dual_sub_f32 v15, v15, v40 :: v_dual_mul_f32 v66, 0x3fb8aa3b, v18
	s_delay_alu instid0(VALU_DEP_3) | instskip(NEXT) | instid1(VALU_DEP_4)
	v_dual_sub_f32 v13, v13, v40 :: v_dual_mul_f32 v52, 0x3fb8aa3b, v11
	v_lshlrev_b64_e32 v[3:4], 2, v[3:4]
	v_sub_f32_e32 v12, v12, v40
	v_sub_f32_e32 v16, v16, v40
	v_dual_sub_f32 v14, v14, v40 :: v_dual_mul_f32 v69, 0x3fb8aa3b, v15
	v_fma_f32 v84, 0x3fb8aa3b, v11, -v52
	v_add_co_u32 v55, vcc_lo, s8, v3
	s_wait_alu 0xfffd
	v_add_co_ci_u32_e64 v58, null, s9, v4, vcc_lo
	s_delay_alu instid0(VALU_DEP_3)
	v_dual_sub_f32 v49, v49, v40 :: v_dual_fmac_f32 v84, 0x32a5705f, v11
	v_sub_f32_e32 v47, v47, v40
	v_add_co_u32 v5, vcc_lo, v55, v5
	s_wait_alu 0xfffd
	v_add_co_ci_u32_e64 v6, null, v58, v6, vcc_lo
	v_add_co_u32 v7, vcc_lo, v55, v7
	v_dual_mul_f32 v92, 0x3fb8aa3b, v49 :: v_dual_sub_f32 v45, v45, v40
	v_dual_mul_f32 v82, 0x3fb8aa3b, v47 :: v_dual_sub_f32 v19, v19, v40
	s_wait_alu 0xfffd
	v_add_co_ci_u32_e64 v8, null, v58, v8, vcc_lo
	v_add_co_u32 v9, vcc_lo, v55, v9
	s_wait_alu 0xfffd
	v_add_co_ci_u32_e64 v10, null, v58, v10, vcc_lo
	v_add_co_u32 v5, vcc_lo, v5, v64
	s_wait_alu 0xfffd
	v_add_co_ci_u32_e64 v6, null, v6, v65, vcc_lo
	v_mul_f32_e32 v65, 0x3fb8aa3b, v13
	v_dual_mul_f32 v80, 0x3fb8aa3b, v45 :: v_dual_sub_f32 v43, v43, v40
	v_dual_mul_f32 v78, 0x3fb8aa3b, v19 :: v_dual_sub_f32 v17, v17, v40
	v_dual_sub_f32 v42, v42, v40 :: v_dual_mul_f32 v67, 0x3fb8aa3b, v14
	s_delay_alu instid0(VALU_DEP_3) | instskip(NEXT) | instid1(VALU_DEP_3)
	v_mul_f32_e32 v70, 0x3fb8aa3b, v43
	v_dual_sub_f32 v44, v44, v40 :: v_dual_mul_f32 v71, 0x3fb8aa3b, v17
	v_rndne_f32_e32 v85, v52
	v_fma_f32 v93, 0x3fb8aa3b, v13, -v65
	v_rndne_f32_e32 v105, v69
	v_mul_f32_e32 v60, 0x3fb8aa3b, v12
	v_sub_f32_e32 v46, v46, v40
	v_mul_f32_e32 v68, 0x3fb8aa3b, v42
	v_fma_f32 v104, 0x3fb8aa3b, v15, -v69
	v_rndne_f32_e32 v109, v71
	v_mul_f32_e32 v64, 0x3fb8aa3b, v16
	v_sub_f32_e32 v52, v52, v85
	v_dual_fmac_f32 v93, 0x32a5705f, v13 :: v_dual_sub_f32 v48, v48, v40
	v_mul_f32_e32 v81, 0x3fb8aa3b, v46
	v_sub_f32_e32 v69, v69, v105
	v_fma_f32 v86, 0x3fb8aa3b, v12, -v60
	v_rndne_f32_e32 v87, v60
	v_mul_f32_e32 v83, 0x3fb8aa3b, v48
	v_fma_f32 v95, 0x3fb8aa3b, v18, -v66
	v_fma_f32 v108, 0x3fb8aa3b, v17, -v71
	v_fmac_f32_e32 v86, 0x32a5705f, v12
	v_dual_sub_f32 v60, v60, v87 :: v_dual_sub_f32 v71, v71, v109
	v_fma_f32 v90, 0x3fb8aa3b, v16, -v64
	v_rndne_f32_e32 v91, v64
	v_add_f32_e32 v52, v52, v84
	v_lshlrev_b64_e32 v[3:4], 2, v[96:97]
	v_fma_f32 v97, 0x3fb8aa3b, v14, -v67
	v_rndne_f32_e32 v100, v67
	v_fmac_f32_e32 v90, 0x32a5705f, v16
	v_dual_sub_f32 v64, v64, v91 :: v_dual_fmac_f32 v95, 0x32a5705f, v18
	v_add_f32_e32 v60, v60, v86
	v_exp_f32_e32 v52, v52
	v_cvt_i32_f32_e32 v85, v85
	v_fmac_f32_e32 v97, 0x32a5705f, v14
	v_dual_sub_f32 v67, v67, v100 :: v_dual_add_f32 v64, v64, v90
	v_exp_f32_e32 v60, v60
	v_add_co_u32 v7, vcc_lo, v7, v62
	s_wait_alu 0xfffd
	v_add_co_ci_u32_e64 v8, null, v8, v63, vcc_lo
	v_rndne_f32_e32 v94, v65
	v_cvt_i32_f32_e32 v87, v87
	v_exp_f32_e32 v64, v64
	v_ldexp_f32 v52, v52, v85
	v_cmp_ngt_f32_e32 vcc_lo, 0xc2ce8ed0, v11
	v_dual_sub_f32 v50, v50, v40 :: v_dual_sub_f32 v65, v65, v94
	v_fma_f32 v102, 0x3fb8aa3b, v42, -v68
	v_cvt_i32_f32_e32 v91, v91
	v_ldexp_f32 v60, v60, v87
	s_wait_alu 0xfffd
	v_cndmask_b32_e32 v52, 0, v52, vcc_lo
	v_cmp_ngt_f32_e32 vcc_lo, 0xc2ce8ed0, v12
	v_rndne_f32_e32 v96, v66
	v_rndne_f32_e32 v117, v81
	v_mul_f32_e32 v72, 0x3fb8aa3b, v44
	v_dual_fmac_f32 v102, 0x32a5705f, v42 :: v_dual_add_f32 v65, v65, v93
	v_ldexp_f32 v64, v64, v91
	s_wait_alu 0xfffd
	v_cndmask_b32_e32 v60, 0, v60, vcc_lo
	v_cmp_ngt_f32_e32 vcc_lo, 0xc2ce8ed0, v16
	v_fma_f32 v116, 0x3fb8aa3b, v46, -v81
	v_rndne_f32_e32 v121, v83
	v_dual_sub_f32 v66, v66, v96 :: v_dual_sub_f32 v81, v81, v117
	v_rndne_f32_e32 v111, v72
	v_exp_f32_e32 v65, v65
	s_wait_alu 0xfffd
	v_cndmask_b32_e32 v64, 0, v64, vcc_lo
	v_cmp_nlt_f32_e32 vcc_lo, 0x42b17218, v11
	v_fma_f32 v110, 0x3fb8aa3b, v44, -v72
	v_fma_f32 v120, 0x3fb8aa3b, v48, -v83
	v_cvt_i32_f32_e32 v94, v94
	s_wait_alu 0xfffd
	v_dual_sub_f32 v72, v72, v111 :: v_dual_cndmask_b32 v93, 0x7f800000, v52
	v_dual_sub_f32 v83, v83, v121 :: v_dual_add_f32 v66, v66, v95
	v_cmp_nlt_f32_e32 vcc_lo, 0x42b17218, v12
	v_rndne_f32_e32 v103, v68
	v_rndne_f32_e32 v123, v92
	v_ldexp_f32 v65, v65, v94
	v_exp_f32_e32 v66, v66
	s_wait_alu 0xfffd
	v_cndmask_b32_e32 v94, 0x7f800000, v60, vcc_lo
	v_cmp_ngt_f32_e32 vcc_lo, 0xc2ce8ed0, v13
	v_cvt_i32_f32_e32 v96, v96
	v_dual_sub_f32 v68, v68, v103 :: v_dual_add_f32 v67, v67, v97
	s_wait_alu 0xfffd
	v_dual_fmac_f32 v110, 0x32a5705f, v44 :: v_dual_cndmask_b32 v11, 0, v65
	v_cmp_nlt_f32_e32 vcc_lo, 0x42b17218, v16
	v_rndne_f32_e32 v113, v78
	v_exp_f32_e32 v67, v67
	v_ldexp_f32 v66, v66, v96
	v_cvt_i32_f32_e32 v100, v100
	s_wait_alu 0xfffd
	v_cndmask_b32_e32 v64, 0x7f800000, v64, vcc_lo
	v_cmp_ngt_f32_e32 vcc_lo, 0xc2ce8ed0, v18
	v_add_f32_e32 v68, v68, v102
	v_fma_f32 v112, 0x3fb8aa3b, v19, -v78
	v_fma_f32 v122, 0x3fb8aa3b, v49, -v92
	v_add_f32_e32 v12, v93, v94
	s_wait_alu 0xfffd
	v_cndmask_b32_e32 v16, 0, v66, vcc_lo
	v_cmp_nlt_f32_e32 vcc_lo, 0x42b17218, v13
	v_sub_f32_e32 v78, v78, v113
	v_exp_f32_e32 v68, v68
	v_ldexp_f32 v67, v67, v100
	v_cvt_i32_f32_e32 v103, v103
	s_wait_alu 0xfffd
	v_cndmask_b32_e32 v95, 0x7f800000, v11, vcc_lo
	v_cmp_ngt_f32_e32 vcc_lo, 0xc2ce8ed0, v14
	v_dual_fmac_f32 v112, 0x32a5705f, v19 :: v_dual_add_f32 v11, v64, v12
	v_fmac_f32_e32 v122, 0x32a5705f, v49
	v_fma_f32 v114, 0x3fb8aa3b, v45, -v80
	s_wait_alu 0xfffd
	v_cndmask_b32_e32 v12, 0, v67, vcc_lo
	v_cmp_nlt_f32_e32 vcc_lo, 0x42b17218, v18
	v_rndne_f32_e32 v115, v80
	v_ldexp_f32 v68, v68, v103
	v_rndne_f32_e32 v119, v82
	v_dual_fmac_f32 v114, 0x32a5705f, v45 :: v_dual_add_f32 v11, v95, v11
	s_wait_alu 0xfffd
	v_cndmask_b32_e32 v96, 0x7f800000, v16, vcc_lo
	v_cmp_ngt_f32_e32 vcc_lo, 0xc2ce8ed0, v42
	v_sub_f32_e32 v80, v80, v115
	v_fma_f32 v118, 0x3fb8aa3b, v47, -v82
	s_delay_alu instid0(VALU_DEP_4)
	v_dual_fmac_f32 v116, 0x32a5705f, v46 :: v_dual_add_f32 v11, v96, v11
	s_wait_alu 0xfffd
	v_cndmask_b32_e32 v13, 0, v68, vcc_lo
	v_cmp_nlt_f32_e32 vcc_lo, 0x42b17218, v14
	v_sub_f32_e32 v82, v82, v119
	v_fma_f32 v106, 0x3fb8aa3b, v43, -v70
	v_cvt_i32_f32_e32 v105, v105
	v_rndne_f32_e32 v107, v70
	s_wait_alu 0xfffd
	v_cndmask_b32_e32 v97, 0x7f800000, v12, vcc_lo
	v_fmac_f32_e32 v120, 0x32a5705f, v48
	v_cmp_ngt_f32_e32 vcc_lo, 0xc2ce8ed0, v15
	v_dual_add_f32 v81, v81, v116 :: v_dual_sub_f32 v70, v70, v107
	s_delay_alu instid0(VALU_DEP_4) | instskip(NEXT) | instid1(VALU_DEP_4)
	v_dual_add_f32 v11, v97, v11 :: v_dual_fmac_f32 v108, 0x32a5705f, v17
	v_dual_add_f32 v83, v83, v120 :: v_dual_fmac_f32 v104, 0x32a5705f, v15
	v_cvt_i32_f32_e32 v107, v107
	v_cvt_i32_f32_e32 v109, v109
	s_delay_alu instid0(VALU_DEP_4) | instskip(NEXT) | instid1(VALU_DEP_4)
	v_dual_add_f32 v71, v71, v108 :: v_dual_fmac_f32 v106, 0x32a5705f, v43
	v_dual_add_f32 v69, v69, v104 :: v_dual_add_f32 v72, v72, v110
	v_cvt_i32_f32_e32 v111, v111
	s_delay_alu instid0(VALU_DEP_3) | instskip(SKIP_1) | instid1(VALU_DEP_3)
	v_exp_f32_e32 v71, v71
	v_cvt_i32_f32_e32 v113, v113
	v_exp_f32_e32 v69, v69
	v_exp_f32_e32 v72, v72
	v_cvt_i32_f32_e32 v115, v115
	v_exp_f32_e32 v81, v81
	v_cvt_i32_f32_e32 v117, v117
	v_cvt_i32_f32_e32 v119, v119
	v_exp_f32_e32 v14, v83
	v_cvt_i32_f32_e32 v121, v121
	v_ldexp_f32 v71, v71, v109
	v_sub_f32_e32 v2, v2, v40
	v_ldexp_f32 v69, v69, v105
	v_ldexp_f32 v72, v72, v111
	v_sub_f32_e32 v0, v0, v40
	v_ldexp_f32 v81, v81, v117
	s_wait_alu 0xfffd
	v_dual_sub_f32 v1, v1, v40 :: v_dual_cndmask_b32 v12, 0, v69
	v_cmp_nlt_f32_e32 vcc_lo, 0x42b17218, v42
	v_mov_b32_e32 v42, 0
	s_wait_alu 0xfffd
	v_cndmask_b32_e32 v100, 0x7f800000, v13, vcc_lo
	v_add_f32_e32 v70, v70, v106
	v_cmp_ngt_f32_e32 vcc_lo, 0xc2ce8ed0, v43
	s_delay_alu instid0(VALU_DEP_3) | instskip(NEXT) | instid1(VALU_DEP_3)
	v_add_f32_e32 v11, v100, v11
	v_exp_f32_e32 v70, v70
	s_delay_alu instid0(TRANS32_DEP_1) | instskip(SKIP_1) | instid1(VALU_DEP_1)
	v_ldexp_f32 v70, v70, v107
	s_wait_alu 0xfffd
	v_dual_fmac_f32 v118, 0x32a5705f, v47 :: v_dual_cndmask_b32 v13, 0, v70
	v_cmp_nlt_f32_e32 vcc_lo, 0x42b17218, v15
	s_wait_alu 0xfffd
	v_cndmask_b32_e32 v102, 0x7f800000, v12, vcc_lo
	v_cmp_ngt_f32_e32 vcc_lo, 0xc2ce8ed0, v17
	s_delay_alu instid0(VALU_DEP_2)
	v_add_f32_e32 v11, v102, v11
	s_wait_alu 0xfffd
	v_cndmask_b32_e32 v12, 0, v71, vcc_lo
	v_cmp_nlt_f32_e32 vcc_lo, 0x42b17218, v43
	s_wait_alu 0xfffd
	v_cndmask_b32_e32 v103, 0x7f800000, v13, vcc_lo
	v_cmp_ngt_f32_e32 vcc_lo, 0xc2ce8ed0, v44
	s_delay_alu instid0(VALU_DEP_2)
	v_add_f32_e32 v11, v103, v11
	s_wait_alu 0xfffd
	v_cndmask_b32_e32 v13, 0, v72, vcc_lo
	v_cmp_nlt_f32_e32 vcc_lo, 0x42b17218, v17
	s_wait_alu 0xfffd
	v_cndmask_b32_e32 v104, 0x7f800000, v12, vcc_lo
	v_add_f32_e32 v78, v78, v112
	v_cmp_ngt_f32_e32 vcc_lo, 0xc2ce8ed0, v19
	s_delay_alu instid0(VALU_DEP_3) | instskip(NEXT) | instid1(VALU_DEP_3)
	v_add_f32_e32 v11, v104, v11
	v_exp_f32_e32 v78, v78
	s_delay_alu instid0(TRANS32_DEP_1) | instskip(SKIP_1) | instid1(VALU_DEP_1)
	v_ldexp_f32 v78, v78, v113
	s_wait_alu 0xfffd
	v_cndmask_b32_e32 v12, 0, v78, vcc_lo
	v_cmp_nlt_f32_e32 vcc_lo, 0x42b17218, v44
	s_wait_alu 0xfffd
	v_cndmask_b32_e32 v78, 0x7f800000, v13, vcc_lo
	v_add_f32_e32 v80, v80, v114
	v_cmp_ngt_f32_e32 vcc_lo, 0xc2ce8ed0, v45
	s_delay_alu instid0(VALU_DEP_3) | instskip(NEXT) | instid1(VALU_DEP_3)
	v_add_f32_e32 v11, v78, v11
	v_exp_f32_e32 v80, v80
	s_delay_alu instid0(TRANS32_DEP_1) | instskip(SKIP_1) | instid1(VALU_DEP_1)
	v_ldexp_f32 v80, v80, v115
	s_wait_alu 0xfffd
	v_cndmask_b32_e32 v13, 0, v80, vcc_lo
	v_cmp_nlt_f32_e32 vcc_lo, 0x42b17218, v19
	s_wait_alu 0xfffd
	v_dual_cndmask_b32 v105, 0x7f800000, v12 :: v_dual_add_f32 v82, v82, v118
	v_cmp_ngt_f32_e32 vcc_lo, 0xc2ce8ed0, v46
	s_delay_alu instid0(VALU_DEP_2) | instskip(NEXT) | instid1(VALU_DEP_3)
	v_add_f32_e32 v11, v105, v11
	v_exp_f32_e32 v82, v82
	s_wait_alu 0xfffd
	v_cndmask_b32_e32 v12, 0, v81, vcc_lo
	v_cmp_nlt_f32_e32 vcc_lo, 0x42b17218, v45
	s_wait_alu 0xfffd
	v_cndmask_b32_e32 v106, 0x7f800000, v13, vcc_lo
	v_cmp_ngt_f32_e32 vcc_lo, 0xc2ce8ed0, v47
	s_delay_alu instid0(TRANS32_DEP_1) | instskip(NEXT) | instid1(VALU_DEP_3)
	v_ldexp_f32 v82, v82, v119
	v_add_f32_e32 v11, v106, v11
	s_wait_alu 0xfffd
	s_delay_alu instid0(VALU_DEP_2)
	v_cndmask_b32_e32 v13, 0, v82, vcc_lo
	v_cmp_nlt_f32_e32 vcc_lo, 0x42b17218, v46
	s_wait_alu 0xfffd
	v_cndmask_b32_e32 v107, 0x7f800000, v12, vcc_lo
	v_cmp_nlt_f32_e32 vcc_lo, 0x42b17218, v47
	s_wait_alu 0xfffd
	s_delay_alu instid0(VALU_DEP_2)
	v_dual_cndmask_b32 v108, 0x7f800000, v13 :: v_dual_add_f32 v13, v107, v11
	v_lshlrev_b64_e32 v[11:12], 2, v[88:89]
	v_add_co_u32 v9, vcc_lo, v9, v62
	s_wait_alu 0xfffd
	v_add_co_ci_u32_e64 v10, null, v10, v63, vcc_lo
	v_add_co_u32 v3, vcc_lo, v55, v3
	s_wait_alu 0xfffd
	v_add_co_ci_u32_e64 v4, null, v58, v4, vcc_lo
	;; [unrolled: 3-line block ×5, first 2 shown]
	s_clause 0x4
	global_load_b128 v[65:68], v[5:6], off
	global_load_b128 v[69:72], v[7:8], off
	;; [unrolled: 1-line block ×5, first 2 shown]
	v_sub_f32_e32 v3, v92, v123
	v_ldexp_f32 v6, v14, v121
	v_cmp_ngt_f32_e32 vcc_lo, 0xc2ce8ed0, v48
	v_dual_mul_f32 v4, 0x3fb8aa3b, v50 :: v_dual_sub_f32 v9, v51, v40
	s_delay_alu instid0(VALU_DEP_4)
	v_add_f32_e32 v3, v3, v122
	s_wait_alu 0xfffd
	v_dual_sub_f32 v11, v53, v40 :: v_dual_cndmask_b32 v6, 0, v6
	v_cmp_nlt_f32_e32 vcc_lo, 0x42b17218, v48
	v_fma_f32 v7, 0x3fb8aa3b, v50, -v4
	v_exp_f32_e32 v3, v3
	v_rndne_f32_e32 v8, v4
	s_wait_alu 0xfffd
	v_dual_add_f32 v5, v108, v13 :: v_dual_cndmask_b32 v52, 0x7f800000, v6
	v_cvt_i32_f32_e32 v6, v123
	v_cmp_ngt_f32_e32 vcc_lo, 0xc2ce8ed0, v49
	v_fmac_f32_e32 v7, 0x32a5705f, v50
	v_sub_f32_e32 v13, v56, v40
	v_sub_f32_e32 v12, v54, v40
	;; [unrolled: 1-line block ×3, first 2 shown]
	v_ldexp_f32 v3, v3, v6
	v_add_f32_e32 v5, v52, v5
	v_cvt_f16_f32_e32 v62, v97
	s_wait_loadcnt 0x4
	ds_store_b128 v61, v[65:68]
	s_wait_loadcnt 0x3
	ds_store_b128 v76, v[69:72]
	;; [unrolled: 2-line block ×5, first 2 shown]
	s_wait_alu 0xfffd
	v_cndmask_b32_e32 v3, 0, v3, vcc_lo
	v_cmp_nlt_f32_e32 vcc_lo, 0x42b17218, v49
	v_sub_f32_e32 v4, v4, v8
	v_cvt_i32_f32_e32 v8, v8
	v_add3_u32 v61, 0, v145, v141
	s_wait_dscnt 0x0
	s_wait_alu 0xfffd
	v_cndmask_b32_e32 v53, 0x7f800000, v3, vcc_lo
	v_dual_add_f32 v4, v4, v7 :: v_dual_mul_f32 v7, 0x3fb8aa3b, v9
	v_cmp_ngt_f32_e32 vcc_lo, 0xc2ce8ed0, v50
	s_barrier_signal -1
	s_delay_alu instid0(VALU_DEP_3) | instskip(NEXT) | instid1(VALU_DEP_3)
	v_add_f32_e32 v5, v53, v5
	v_exp_f32_e32 v4, v4
	v_fma_f32 v6, 0x3fb8aa3b, v9, -v7
	v_rndne_f32_e32 v10, v7
	s_barrier_wait -1
	global_inv scope:SCOPE_SE
	v_add3_u32 v141, 0, v142, v141
	v_dual_fmac_f32 v6, 0x32a5705f, v9 :: v_dual_sub_f32 v7, v7, v10
	v_cvt_f16_f32_e32 v63, v100
	v_cvt_f16_f32_e32 v53, v53
	v_ldexp_f32 v3, v4, v8
	s_wait_alu 0xfffd
	s_delay_alu instid0(VALU_DEP_1)
	v_cndmask_b32_e32 v3, 0, v3, vcc_lo
	v_cmp_nlt_f32_e32 vcc_lo, 0x42b17218, v50
	v_add_f32_e32 v4, v7, v6
	v_mul_f32_e32 v6, 0x3fb8aa3b, v11
	s_wait_alu 0xfffd
	v_cndmask_b32_e32 v55, 0x7f800000, v3, vcc_lo
	s_delay_alu instid0(VALU_DEP_3) | instskip(NEXT) | instid1(VALU_DEP_2)
	v_exp_f32_e32 v4, v4
	v_fma_f32 v7, 0x3fb8aa3b, v11, -v6
	v_rndne_f32_e32 v8, v6
	v_cvt_i32_f32_e32 v3, v10
	v_cmp_ngt_f32_e32 vcc_lo, 0xc2ce8ed0, v9
	v_add_f32_e32 v5, v55, v5
	s_delay_alu instid0(VALU_DEP_4) | instskip(SKIP_1) | instid1(TRANS32_DEP_1)
	v_dual_fmac_f32 v7, 0x32a5705f, v11 :: v_dual_sub_f32 v6, v6, v8
	v_cvt_f16_f32_e32 v55, v55
	v_ldexp_f32 v3, v4, v3
	s_delay_alu instid0(VALU_DEP_3) | instskip(SKIP_1) | instid1(VALU_DEP_2)
	v_add_f32_e32 v4, v6, v7
	s_wait_alu 0xfffd
	v_cndmask_b32_e32 v3, 0, v3, vcc_lo
	v_cmp_nlt_f32_e32 vcc_lo, 0x42b17218, v9
	s_delay_alu instid0(VALU_DEP_3) | instskip(SKIP_1) | instid1(VALU_DEP_2)
	v_exp_f32_e32 v4, v4
	s_wait_alu 0xfffd
	v_cndmask_b32_e32 v56, 0x7f800000, v3, vcc_lo
	v_cvt_i32_f32_e32 v3, v8
	v_cmp_ngt_f32_e32 vcc_lo, 0xc2ce8ed0, v11
	v_mul_f32_e32 v8, 0x3fb8aa3b, v13
	s_delay_alu instid0(VALU_DEP_4)
	v_add_f32_e32 v5, v56, v5
	s_delay_alu instid0(TRANS32_DEP_1) | instid1(VALU_DEP_4)
	v_ldexp_f32 v3, v4, v3
	s_delay_alu instid0(VALU_DEP_3) | instskip(SKIP_1) | instid1(VALU_DEP_2)
	v_rndne_f32_e32 v9, v8
	s_wait_alu 0xfffd
	v_cndmask_b32_e32 v3, 0, v3, vcc_lo
	v_cmp_nlt_f32_e32 vcc_lo, 0x42b17218, v11
	v_sub_f32_e32 v11, v59, v40
	v_mul_f32_e32 v10, 0x3fb8aa3b, v12
	s_wait_alu 0xfffd
	v_cndmask_b32_e32 v58, 0x7f800000, v3, vcc_lo
	v_cmp_ngt_f32_e32 vcc_lo, 0xc2ce8ed0, v12
	s_delay_alu instid0(VALU_DEP_3) | instskip(SKIP_1) | instid1(VALU_DEP_4)
	v_fma_f32 v6, 0x3fb8aa3b, v12, -v10
	v_rndne_f32_e32 v7, v10
	v_add_f32_e32 v5, v58, v5
	v_cvt_f16_f32_e64 v152, v52
	s_delay_alu instid0(VALU_DEP_4) | instskip(NEXT) | instid1(VALU_DEP_4)
	v_fmac_f32_e32 v6, 0x32a5705f, v12
	v_sub_f32_e32 v10, v10, v7
	v_cvt_i32_f32_e32 v7, v7
	s_delay_alu instid0(VALU_DEP_2) | instskip(SKIP_1) | instid1(VALU_DEP_2)
	v_add_f32_e32 v6, v10, v6
	v_sub_f32_e32 v10, v57, v40
	v_exp_f32_e32 v4, v6
	v_fma_f32 v6, 0x3fb8aa3b, v13, -v8
	v_sub_f32_e32 v8, v8, v9
	s_delay_alu instid0(VALU_DEP_2) | instskip(NEXT) | instid1(TRANS32_DEP_1)
	v_fmac_f32_e32 v6, 0x32a5705f, v13
	v_ldexp_f32 v3, v4, v7
	s_delay_alu instid0(VALU_DEP_2) | instskip(SKIP_1) | instid1(VALU_DEP_2)
	v_add_f32_e32 v4, v8, v6
	s_wait_alu 0xfffd
	v_dual_mul_f32 v6, 0x3fb8aa3b, v10 :: v_dual_cndmask_b32 v3, 0, v3
	s_delay_alu instid0(VALU_DEP_2) | instskip(NEXT) | instid1(VALU_DEP_1)
	v_exp_f32_e32 v4, v4
	v_fma_f32 v7, 0x3fb8aa3b, v10, -v6
	v_rndne_f32_e32 v8, v6
	v_cmp_nlt_f32_e32 vcc_lo, 0x42b17218, v12
	s_delay_alu instid0(VALU_DEP_3) | instskip(SKIP_1) | instid1(VALU_DEP_3)
	v_dual_sub_f32 v12, v73, v40 :: v_dual_fmac_f32 v7, 0x32a5705f, v10
	s_wait_alu 0xfffd
	v_dual_sub_f32 v6, v6, v8 :: v_dual_cndmask_b32 v43, 0x7f800000, v3
	v_cvt_i32_f32_e32 v3, v9
	v_mul_f32_e32 v9, 0x3fb8aa3b, v11
	v_cmp_ngt_f32_e32 vcc_lo, 0xc2ce8ed0, v13
	s_delay_alu instid0(VALU_DEP_4) | instskip(NEXT) | instid1(VALU_DEP_4)
	v_add_f32_e32 v5, v43, v5
	v_ldexp_f32 v3, v4, v3
	v_add_f32_e32 v4, v6, v7
	v_fma_f32 v6, 0x3fb8aa3b, v11, -v9
	v_rndne_f32_e32 v7, v9
	v_cvt_f16_f32_e32 v43, v43
	s_wait_alu 0xfffd
	v_cndmask_b32_e32 v3, 0, v3, vcc_lo
	v_exp_f32_e32 v4, v4
	v_fmac_f32_e32 v6, 0x32a5705f, v11
	v_sub_f32_e32 v9, v9, v7
	v_cmp_nlt_f32_e32 vcc_lo, 0x42b17218, v13
	v_cvt_i32_f32_e32 v7, v7
	s_delay_alu instid0(VALU_DEP_3)
	v_add_f32_e32 v6, v9, v6
	s_wait_alu 0xfffd
	v_cndmask_b32_e32 v44, 0x7f800000, v3, vcc_lo
	v_cvt_i32_f32_e32 v3, v8
	v_mul_f32_e32 v8, 0x3fb8aa3b, v12
	v_cmp_ngt_f32_e32 vcc_lo, 0xc2ce8ed0, v10
	s_delay_alu instid0(VALU_DEP_3) | instskip(SKIP_1) | instid1(VALU_DEP_3)
	v_ldexp_f32 v3, v4, v3
	v_exp_f32_e32 v4, v6
	v_fma_f32 v6, 0x3fb8aa3b, v12, -v8
	v_rndne_f32_e32 v9, v8
	s_wait_alu 0xfffd
	v_cndmask_b32_e32 v3, 0, v3, vcc_lo
	v_cmp_nlt_f32_e32 vcc_lo, 0x42b17218, v10
	v_fmac_f32_e32 v6, 0x32a5705f, v12
	v_sub_f32_e32 v8, v8, v9
	s_wait_alu 0xfffd
	v_cndmask_b32_e32 v46, 0x7f800000, v3, vcc_lo
	v_ldexp_f32 v3, v4, v7
	s_delay_alu instid0(VALU_DEP_3) | instskip(SKIP_3) | instid1(VALU_DEP_4)
	v_add_f32_e32 v4, v8, v6
	v_sub_f32_e32 v6, v74, v40
	v_cmp_ngt_f32_e32 vcc_lo, 0xc2ce8ed0, v11
	v_sub_f32_e32 v8, v98, v40
	v_exp_f32_e32 v4, v4
	s_delay_alu instid0(VALU_DEP_3)
	v_mul_f32_e32 v7, 0x3fb8aa3b, v6
	s_wait_alu 0xfffd
	v_cndmask_b32_e32 v3, 0, v3, vcc_lo
	v_cmp_nlt_f32_e32 vcc_lo, 0x42b17218, v11
	v_mul_f32_e32 v11, 0x3fb8aa3b, v8
	v_rndne_f32_e32 v10, v7
	s_wait_alu 0xfffd
	v_cndmask_b32_e32 v49, 0x7f800000, v3, vcc_lo
	v_cvt_i32_f32_e32 v3, v9
	v_fma_f32 v9, 0x3fb8aa3b, v6, -v7
	v_cmp_ngt_f32_e32 vcc_lo, 0xc2ce8ed0, v12
	v_rndne_f32_e32 v13, v11
	v_cvt_f16_f32_e64 v153, v49
	v_ldexp_f32 v3, v4, v3
	v_fmac_f32_e32 v9, 0x32a5705f, v6
	v_sub_f32_e32 v4, v7, v10
	v_fma_f32 v7, 0x3fb8aa3b, v8, -v11
	v_cvt_i32_f32_e32 v10, v10
	s_wait_alu 0xfffd
	v_cndmask_b32_e32 v3, 0, v3, vcc_lo
	v_cmp_nlt_f32_e32 vcc_lo, 0x42b17218, v12
	v_dual_add_f32 v4, v4, v9 :: v_dual_fmac_f32 v7, 0x32a5705f, v8
	v_sub_f32_e32 v9, v11, v13
	v_mul_f32_e32 v11, 0x3fb8aa3b, v14
	s_wait_alu 0xfffd
	v_cndmask_b32_e32 v50, 0x7f800000, v3, vcc_lo
	v_exp_f32_e32 v3, v4
	v_cmp_ngt_f32_e32 vcc_lo, 0xc2ce8ed0, v6
	v_add_f32_e32 v4, v9, v7
	v_fma_f32 v7, 0x3fb8aa3b, v14, -v11
	v_rndne_f32_e32 v9, v11
	s_delay_alu instid0(VALU_DEP_3) | instskip(NEXT) | instid1(VALU_DEP_2)
	v_exp_f32_e32 v4, v4
	v_fmac_f32_e32 v7, 0x32a5705f, v14
	s_delay_alu instid0(VALU_DEP_2) | instskip(NEXT) | instid1(TRANS32_DEP_2)
	v_sub_f32_e32 v11, v11, v9
	v_ldexp_f32 v3, v3, v10
	v_add_f32_e32 v5, v44, v5
	v_cvt_i32_f32_e32 v10, v13
	v_cvt_f16_f32_e32 v44, v44
	v_add_f32_e32 v7, v11, v7
	s_wait_alu 0xfffd
	v_cndmask_b32_e32 v3, 0, v3, vcc_lo
	v_cmp_nlt_f32_e32 vcc_lo, 0x42b17218, v6
	v_add_f32_e32 v5, v46, v5
	v_ldexp_f32 v4, v4, v10
	v_exp_f32_e32 v7, v7
	v_cvt_f16_f32_e32 v56, v56
	s_wait_alu 0xfffd
	v_cndmask_b32_e32 v51, 0x7f800000, v3, vcc_lo
	v_cmp_ngt_f32_e32 vcc_lo, 0xc2ce8ed0, v8
	v_add_f32_e32 v5, v49, v5
	v_cvt_i32_f32_e32 v3, v9
	v_cvt_f16_f32_e32 v58, v58
	v_cvt_f16_f32_e64 v155, v51
	s_wait_alu 0xfffd
	v_cndmask_b32_e32 v4, 0, v4, vcc_lo
	v_cmp_nlt_f32_e32 vcc_lo, 0x42b17218, v8
	v_add_f32_e32 v5, v50, v5
	v_ldexp_f32 v3, v7, v3
	s_wait_alu 0xfffd
	v_cndmask_b32_e32 v45, 0x7f800000, v4, vcc_lo
	v_cmp_ngt_f32_e32 vcc_lo, 0xc2ce8ed0, v14
	v_add_f32_e32 v5, v51, v5
	v_cvt_f16_f32_e32 v46, v46
	s_wait_alu 0xfffd
	v_cndmask_b32_e32 v3, 0, v3, vcc_lo
	v_cmp_nlt_f32_e32 vcc_lo, 0x42b17218, v14
	s_wait_alu 0xfffd
	s_delay_alu instid0(VALU_DEP_2) | instskip(SKIP_1) | instid1(VALU_DEP_2)
	v_dual_add_f32 v5, v45, v5 :: v_dual_cndmask_b32 v48, 0x7f800000, v3
	v_mul_f32_e32 v3, 0x3fb8aa3b, v2
	v_dual_add_f32 v5, v48, v5 :: v_dual_sub_f32 v12, v101, v40
	s_delay_alu instid0(VALU_DEP_2) | instskip(SKIP_1) | instid1(VALU_DEP_3)
	v_rndne_f32_e32 v7, v3
	v_cvt_f16_f32_e64 v154, v50
	v_mul_f32_e32 v15, 0x3fb8aa3b, v12
	v_cmp_ngt_f32_e32 vcc_lo, 0xc2ce8ed0, v12
	s_delay_alu instid0(VALU_DEP_2) | instskip(SKIP_1) | instid1(VALU_DEP_1)
	v_fma_f32 v11, 0x3fb8aa3b, v12, -v15
	v_rndne_f32_e32 v13, v15
	v_dual_fmac_f32 v11, 0x32a5705f, v12 :: v_dual_sub_f32 v10, v15, v13
	s_delay_alu instid0(VALU_DEP_1) | instskip(SKIP_1) | instid1(VALU_DEP_2)
	v_add_f32_e32 v6, v10, v11
	v_mul_f32_e32 v10, 0x3fb8aa3b, v1
	v_exp_f32_e32 v4, v6
	v_cvt_i32_f32_e32 v6, v13
	v_mul_f32_e32 v13, 0x3fb8aa3b, v0
	s_delay_alu instid0(VALU_DEP_3) | instskip(NEXT) | instid1(VALU_DEP_2)
	v_fma_f32 v11, 0x3fb8aa3b, v1, -v10
	v_rndne_f32_e32 v14, v13
	s_delay_alu instid0(VALU_DEP_2) | instskip(NEXT) | instid1(TRANS32_DEP_1)
	v_fmac_f32_e32 v11, 0x32a5705f, v1
	v_ldexp_f32 v4, v4, v6
	v_fma_f32 v6, 0x3fb8aa3b, v2, -v3
	v_sub_f32_e32 v3, v3, v7
	v_cvt_i32_f32_e32 v7, v7
	s_delay_alu instid0(VALU_DEP_3) | instskip(NEXT) | instid1(VALU_DEP_1)
	v_fmac_f32_e32 v6, 0x32a5705f, v2
	v_add_f32_e32 v3, v3, v6
	s_delay_alu instid0(VALU_DEP_1) | instskip(NEXT) | instid1(TRANS32_DEP_1)
	v_exp_f32_e32 v3, v3
	v_ldexp_f32 v3, v3, v7
	s_wait_alu 0xfffd
	v_cndmask_b32_e32 v4, 0, v4, vcc_lo
	v_cmp_nlt_f32_e32 vcc_lo, 0x42b17218, v12
	v_sub_f32_e32 v7, v13, v14
	v_rndne_f32_e32 v12, v10
	s_wait_alu 0xfffd
	v_cndmask_b32_e32 v54, 0x7f800000, v4, vcc_lo
	v_cmp_ngt_f32_e32 vcc_lo, 0xc2ce8ed0, v2
	s_delay_alu instid0(VALU_DEP_2)
	v_add_f32_e32 v5, v54, v5
	s_wait_alu 0xfffd
	v_cndmask_b32_e32 v3, 0, v3, vcc_lo
	v_cmp_nlt_f32_e32 vcc_lo, 0x42b17218, v2
	v_sub_f32_e32 v8, v149, v40
	v_cvt_i32_f32_e32 v2, v12
	s_wait_alu 0xfffd
	v_cndmask_b32_e32 v57, 0x7f800000, v3, vcc_lo
	s_delay_alu instid0(VALU_DEP_3) | instskip(SKIP_1) | instid1(VALU_DEP_3)
	v_mul_f32_e32 v4, 0x3fb8aa3b, v8
	v_cmp_ngt_f32_e32 vcc_lo, 0xc2ce8ed0, v8
	v_add_f32_e32 v5, v57, v5
	s_delay_alu instid0(VALU_DEP_3) | instskip(SKIP_2) | instid1(VALU_DEP_3)
	v_fma_f32 v6, 0x3fb8aa3b, v8, -v4
	v_rndne_f32_e32 v9, v4
	v_cvt_f16_f32_e32 v57, v57
	v_fmac_f32_e32 v6, 0x32a5705f, v8
	s_delay_alu instid0(VALU_DEP_3) | instskip(SKIP_1) | instid1(VALU_DEP_2)
	v_sub_f32_e32 v4, v4, v9
	v_cvt_i32_f32_e32 v9, v9
	v_add_f32_e32 v4, v4, v6
	v_sub_f32_e32 v6, v10, v12
	s_delay_alu instid0(VALU_DEP_2) | instskip(NEXT) | instid1(VALU_DEP_1)
	v_exp_f32_e32 v4, v4
	v_add_f32_e32 v6, v6, v11
	s_delay_alu instid0(VALU_DEP_1) | instskip(NEXT) | instid1(TRANS32_DEP_2)
	v_exp_f32_e32 v6, v6
	v_ldexp_f32 v4, v4, v9
	s_wait_alu 0xfffd
	s_delay_alu instid0(VALU_DEP_1) | instskip(SKIP_1) | instid1(TRANS32_DEP_1)
	v_cndmask_b32_e32 v4, 0, v4, vcc_lo
	v_cmp_nlt_f32_e32 vcc_lo, 0x42b17218, v8
	v_ldexp_f32 v2, v6, v2
	v_cvt_i32_f32_e32 v6, v14
	s_wait_alu 0xfffd
	v_cndmask_b32_e32 v4, 0x7f800000, v4, vcc_lo
	v_cmp_ngt_f32_e32 vcc_lo, 0xc2ce8ed0, v1
	s_wait_alu 0xfffd
	v_cndmask_b32_e32 v2, 0, v2, vcc_lo
	v_cmp_le_f32_e32 vcc_lo, 0xc1a00000, v8
	s_wait_alu 0xfffd
	v_cndmask_b32_e32 v4, 0, v4, vcc_lo
	v_cmp_nlt_f32_e32 vcc_lo, 0x42b17218, v1
	s_wait_alu 0xfffd
	v_cndmask_b32_e32 v59, 0x7f800000, v2, vcc_lo
	v_fma_f32 v10, 0x3fb8aa3b, v0, -v13
	v_cmp_ngt_f32_e32 vcc_lo, 0xc2ce8ed0, v0
	v_cvt_f16_f32_e32 v2, v4
	s_delay_alu instid0(VALU_DEP_3) | instskip(NEXT) | instid1(VALU_DEP_1)
	v_fmac_f32_e32 v10, 0x32a5705f, v0
	v_add_f32_e32 v7, v7, v10
	s_delay_alu instid0(VALU_DEP_1) | instskip(NEXT) | instid1(TRANS32_DEP_1)
	v_exp_f32_e32 v3, v7
	v_ldexp_f32 v3, v3, v6
	s_wait_alu 0xfffd
	s_delay_alu instid0(VALU_DEP_1)
	v_cndmask_b32_e32 v1, 0, v3, vcc_lo
	v_cmp_nlt_f32_e32 vcc_lo, 0x42b17218, v0
	v_dual_add_f32 v3, v59, v5 :: v_dual_and_b32 v0, 0xffff, v2
	v_cvt_f16_f32_e32 v54, v54
	v_cvt_f16_f32_e32 v59, v59
	s_wait_alu 0xfffd
	v_cndmask_b32_e32 v60, 0x7f800000, v1, vcc_lo
	v_mul_u32_u24_e32 v19, 0x10001, v0
	s_delay_alu instid0(VALU_DEP_2) | instskip(NEXT) | instid1(VALU_DEP_2)
	v_add_f32_e32 v47, v60, v3
	v_pk_mul_f16 v12, v24, v19
	v_pk_mul_f16 v13, v25, v19
	;; [unrolled: 1-line block ×6, first 2 shown]
	ds_load_u16 v24, v61
	ds_load_u16 v20, v61 offset:32
	ds_load_u16 v25, v61 offset:352
	;; [unrolled: 1-line block ×13, first 2 shown]
	v_fmac_f32_e32 v47, v144, v4
	v_pk_mul_f16 v4, v32, v19
	v_pk_mul_f16 v5, v33, v19
	;; [unrolled: 1-line block ×3, first 2 shown]
	v_cvt_f16_f32_e32 v32, v93
	v_cvt_f16_f32_e32 v33, v94
	;; [unrolled: 1-line block ×3, first 2 shown]
	ds_load_u16 v78, v61 offset:3264
	ds_load_u16 v81, v61 offset:2880
	;; [unrolled: 1-line block ×3, first 2 shown]
	s_wait_dscnt 0xe
	ds_load_u16_d16_hi v25, v61 offset:528
	ds_load_u16_d16_hi v24, v61 offset:176
	;; [unrolled: 1-line block ×3, first 2 shown]
	s_wait_dscnt 0x10
	ds_load_u16_d16_hi v65, v61 offset:240
	s_wait_dscnt 0xf
	ds_load_u16_d16_hi v69, v61 offset:272
	s_wait_dscnt 0xe
	ds_load_u16_d16_hi v73, v61 offset:304
	s_wait_dscnt 0xe
	ds_load_u16_d16_hi v21, v61 offset:560
	ds_load_u16_d16_hi v66, v61 offset:592
	s_wait_dscnt 0xf
	ds_load_u16_d16_hi v70, v61 offset:624
	ds_load_u16_d16_hi v74, v61 offset:656
	ds_load_u16 v89, v61 offset:2816
	s_wait_dscnt 0x11
	ds_load_u16_d16_hi v26, v61 offset:880
	s_wait_dscnt 0x11
	ds_load_u16_d16_hi v22, v61 offset:912
	;; [unrolled: 2-line block ×4, first 2 shown]
	ds_load_u16 v75, v61 offset:832
	ds_load_u16 v94, v61 offset:3200
	;; [unrolled: 1-line block ×3, first 2 shown]
	v_pk_mul_f16 v2, v38, v19
	v_pk_mul_f16 v6, v34, v19
	;; [unrolled: 1-line block ×3, first 2 shown]
	v_cvt_f16_f32_e32 v38, v95
	v_cvt_f16_f32_e32 v31, v105
	;; [unrolled: 1-line block ×3, first 2 shown]
	s_wait_dscnt 0x13
	ds_load_u16_d16_hi v81, v61 offset:3056
	s_wait_dscnt 0x13
	ds_load_u16_d16_hi v85, v61 offset:3120
	ds_load_u16 v77, v61 offset:2912
	ds_load_u16 v90, v61 offset:3168
	;; [unrolled: 1-line block ×4, first 2 shown]
	ds_load_u16_d16_hi v78, v61 offset:3440
	ds_load_u16 v86, v61 offset:3296
	ds_load_u16 v95, v61 offset:3552
	;; [unrolled: 1-line block ×9, first 2 shown]
	s_wait_dscnt 0x17
	ds_load_u16_d16_hi v89, v61 offset:2992
	s_wait_dscnt 0x13
	ds_load_u16_d16_hi v75, v61 offset:1008
	ds_load_u16 v106, v61 offset:6048
	ds_load_u16 v114, v61 offset:6112
	s_wait_dscnt 0x15
	ds_load_u16_d16_hi v94, v61 offset:3376
	s_wait_dscnt 0x15
	ds_load_u16_d16_hi v93, v61 offset:3024
	v_pk_mul_f16 v1, v37, v19
	v_pk_mul_f16 v7, v35, v19
	;; [unrolled: 1-line block ×3, first 2 shown]
	v_cvt_f16_f32_e32 v37, v64
	v_cvt_f16_f32_e32 v64, v102
	;; [unrolled: 1-line block ×4, first 2 shown]
	s_wait_dscnt 0x13
	ds_load_u16_d16_hi v77, v61 offset:3088
	ds_load_u16 v111, v61 offset:6432
	s_wait_dscnt 0x13
	ds_load_u16_d16_hi v91, v61 offset:3696
	ds_load_u16_d16_hi v90, v61 offset:3344
	s_wait_dscnt 0x14
	ds_load_u16_d16_hi v82, v61 offset:3408
	s_wait_dscnt 0x13
	ds_load_u16_d16_hi v86, v61 offset:3472
	s_wait_dscnt 0x13
	ds_load_u16_d16_hi v95, v61 offset:3728
	s_wait_dscnt 0x13
	ds_load_u16_d16_hi v83, v61 offset:3760
	s_wait_dscnt 0x13
	ds_load_u16_d16_hi v79, v61 offset:3792
	s_wait_dscnt 0x13
	ds_load_u16_d16_hi v87, v61 offset:3824
	ds_load_u16 v98, v61 offset:5984
	s_wait_dscnt 0x14
	ds_load_u16_d16_hi v97, v61 offset:5808
	s_wait_dscnt 0x14
	ds_load_u16_d16_hi v101, v61 offset:5840
	;; [unrolled: 2-line block ×4, first 2 shown]
	ds_load_u16 v113, v61 offset:5760
	ds_load_u16 v103, v61 offset:6368
	;; [unrolled: 1-line block ×3, first 2 shown]
	s_wait_dscnt 0x15
	ds_load_u16_d16_hi v106, v61 offset:6224
	s_wait_dscnt 0x15
	ds_load_u16_d16_hi v114, v61 offset:6288
	ds_load_u16 v110, v61 offset:6080
	ds_load_u16 v99, v61 offset:6336
	ds_load_u16 v117, v61 offset:8448
	ds_load_u16 v107, v61 offset:6400
	s_wait_dscnt 0x16
	ds_load_u16_d16_hi v111, v61 offset:6608
	ds_load_u16 v115, v61 offset:6464
	ds_load_u16 v121, v61 offset:8480
	;; [unrolled: 1-line block ×10, first 2 shown]
	s_wait_dscnt 0x18
	ds_load_u16_d16_hi v98, v61 offset:6160
	s_wait_dscnt 0x14
	ds_load_u16_d16_hi v113, v61 offset:5936
	;; [unrolled: 2-line block ×5, first 2 shown]
	ds_load_u16 v150, v61 offset:9280
	s_wait_dscnt 0x12
	ds_load_u16_d16_hi v117, v61 offset:8624
	ds_load_u16_d16_hi v99, v61 offset:6512
	s_wait_dscnt 0x13
	ds_load_u16_d16_hi v107, v61 offset:6576
	s_wait_dscnt 0x12
	;; [unrolled: 2-line block ×6, first 2 shown]
	ds_load_u16_d16_hi v148, v61 offset:8752
	ds_load_u16 v119, v61 offset:9152
	v_pk_mul_f16 v15, v27, v19
	s_wait_dscnt 0x13
	ds_load_u16_d16_hi v118, v61 offset:8976
	s_wait_dscnt 0x13
	ds_load_u16_d16_hi v122, v61 offset:9008
	;; [unrolled: 2-line block ×4, first 2 shown]
	ds_load_u16 v149, v61 offset:8928
	ds_load_u16 v123, v61 offset:9184
	s_wait_dscnt 0x15
	ds_load_u16_d16_hi v127, v61 offset:9392
	ds_load_u16 v72, v143 offset:96
	s_wait_dscnt 0x11
	ds_load_u16_d16_hi v150, v61 offset:9456
	ds_load_u16 v146, v61 offset:9248
	ds_load_u16 v27, v143
	v_pk_mul_f16 v0, v36, v19
	v_pk_mul_f16 v3, v39, v19
	;; [unrolled: 1-line block ×4, first 2 shown]
	v_cvt_f16_f32_e32 v39, v96
	ds_load_u16 v23, v143 offset:32
	s_wait_dscnt 0xc
	ds_load_u16_d16_hi v119, v61 offset:9328
	s_wait_dscnt 0x8
	ds_load_u16_d16_hi v149, v61 offset:9104
	ds_load_u16 v92, v143 offset:2816
	ds_load_u16 v96, v143 offset:2848
	s_wait_dscnt 0xa
	ds_load_u16_d16_hi v123, v61 offset:9360
	ds_load_u16 v68, v143 offset:64
	ds_load_u16 v84, v143 offset:2880
	;; [unrolled: 1-line block ×3, first 2 shown]
	s_wait_dscnt 0xa
	ds_load_u16_d16_hi v146, v61 offset:9424
	s_wait_dscnt 0xa
	ds_load_u16_d16_hi v27, v141
	v_cvt_f16_f32_e32 v29, v104
	v_cvt_f16_f32_e32 v36, v108
	ds_load_u16 v100, v143 offset:5632
	ds_load_u16 v120, v143 offset:8448
	ds_load_u16 v104, v143 offset:5664
	ds_load_u16 v108, v143 offset:5696
	ds_load_u16 v80, v143 offset:2912
	ds_load_u16 v112, v143 offset:5728
	ds_load_u16 v116, v143 offset:5760
	ds_load_u16 v88, v143 offset:2944
	s_wait_dscnt 0xf
	ds_load_u16_d16_hi v92, v141 offset:2816
	ds_load_u16_d16_hi v23, v141 offset:32
	ds_load_u16 v124, v143 offset:8480
	s_wait_dscnt 0xf
	ds_load_u16_d16_hi v68, v141 offset:64
	ds_load_u16 v128, v143 offset:8512
	ds_load_u16_d16_hi v72, v141 offset:96
	ds_load_u16 v147, v143 offset:8544
	ds_load_u16 v151, v143 offset:8576
	s_wait_dscnt 0xf
	ds_load_u16_d16_hi v100, v141 offset:5632
	ds_load_u16_d16_hi v96, v141 offset:2848
	s_wait_dscnt 0xf
	ds_load_u16_d16_hi v104, v141 offset:5664
	ds_load_u16_d16_hi v84, v141 offset:2880
	s_wait_dscnt 0xf
	ds_load_u16_d16_hi v80, v141 offset:2912
	s_wait_dscnt 0xd
	ds_load_u16_d16_hi v88, v141 offset:2944
	ds_load_u16_d16_hi v76, v141 offset:128
	;; [unrolled: 1-line block ×3, first 2 shown]
	s_wait_dscnt 0xd
	ds_load_u16_d16_hi v124, v141 offset:8480
	ds_load_u16_d16_hi v108, v141 offset:5696
	s_wait_dscnt 0xd
	ds_load_u16_d16_hi v128, v141 offset:8512
	ds_load_u16_d16_hi v112, v141 offset:5728
	s_wait_dscnt 0xd
	ds_load_u16_d16_hi v147, v141 offset:8544
	s_wait_dscnt 0xd
	ds_load_u16_d16_hi v151, v141 offset:8576
	ds_load_u16_d16_hi v116, v141 offset:5760
	v_pack_b32_f16 v52, v63, v64
	v_pack_b32_f16 v51, v39, v62
	;; [unrolled: 1-line block ×4, first 2 shown]
	v_cvt_f16_f32_e32 v60, v60
	v_cvt_f16_f32_e32 v32, v45
	;; [unrolled: 1-line block ×3, first 2 shown]
	s_wait_loadcnt_dscnt 0x0
	v_wmma_f16_16x16x16_f16 v[0:3], v[24:27], v[49:52], v[0:3]
	v_pack_b32_f16 v27, v36, v152
	v_pack_b32_f16 v26, v34, v35
	;; [unrolled: 1-line block ×4, first 2 shown]
	v_wmma_f16_16x16x16_f16 v[4:7], v[20:23], v[49:52], v[4:7]
	v_wmma_f16_16x16x16_f16 v[8:11], v[65:68], v[49:52], v[8:11]
	;; [unrolled: 1-line block ×4, first 2 shown]
	ds_bpermute_b32 v20, v41, v47
	v_wmma_f16_16x16x16_f16 v[0:3], v[89:92], v[24:27], v[0:3]
	v_pack_b32_f16 v31, v46, v153
	v_pack_b32_f16 v30, v43, v44
	;; [unrolled: 1-line block ×4, first 2 shown]
	v_wmma_f16_16x16x16_f16 v[4:7], v[93:96], v[24:27], v[4:7]
	v_wmma_f16_16x16x16_f16 v[8:11], v[81:84], v[24:27], v[8:11]
	;; [unrolled: 1-line block ×5, first 2 shown]
	v_pack_b32_f16 v35, v59, v60
	v_pack_b32_f16 v34, v54, v57
	;; [unrolled: 1-line block ×4, first 2 shown]
	v_wmma_f16_16x16x16_f16 v[4:7], v[101:104], v[28:31], v[4:7]
	v_wmma_f16_16x16x16_f16 v[8:11], v[105:108], v[28:31], v[8:11]
	v_wmma_f16_16x16x16_f16 v[12:15], v[109:112], v[28:31], v[12:15]
	v_wmma_f16_16x16x16_f16 v[16:19], v[113:116], v[28:31], v[16:19]
	v_wmma_f16_16x16x16_f16 v[0:3], v[117:120], v[32:35], v[0:3]
	v_wmma_f16_16x16x16_f16 v[4:7], v[121:124], v[32:35], v[4:7]
	v_wmma_f16_16x16x16_f16 v[8:11], v[125:128], v[32:35], v[8:11]
	v_wmma_f16_16x16x16_f16 v[12:15], v[144:147], v[32:35], v[12:15]
	v_wmma_f16_16x16x16_f16 v[16:19], v[148:151], v[32:35], v[16:19]
	s_barrier_signal -1
	s_barrier_wait -1
	s_wait_dscnt 0x0
	global_inv scope:SCOPE_SE
	s_wait_loadcnt 0x0
	s_barrier_signal -1
	s_barrier_wait -1
	global_inv scope:SCOPE_SE
	v_cmpx_gt_u32_e32 16, v246
	s_cbranch_execz .LBB9_488
; %bb.487:
	v_readlane_b32 s6, v255, 1
	v_or_b32_e32 v41, v140, v246
	v_readlane_b32 s7, v255, 2
	s_add_co_i32 s0, s6, ttmp9
	v_lshlrev_b64_e32 v[21:22], 3, v[41:42]
	s_wait_alu 0xfffe
	s_lshl_b32 s0, s0, 6
	v_add_f32_e32 v41, v47, v20
	s_wait_alu 0xfffe
	s_lshl_b64 s[6:7], s[0:1], 3
	s_wait_alu 0xfffe
	s_add_nc_u64 s[6:7], s[22:23], s[6:7]
	s_wait_alu 0xfffe
	v_add_co_u32 v21, vcc_lo, s6, v21
	s_wait_alu 0xfffd
	v_add_co_ci_u32_e64 v22, null, s7, v22, vcc_lo
	global_store_b64 v[21:22], v[40:41], off
.LBB9_488:
	s_wait_alu 0xfffe
	s_or_b32 exec_lo, exec_lo, s2
	v_or_b32_e32 v20, v140, v138
	s_clause 0x1
	s_load_b32 s0, s[4:5], 0x0
	s_load_u16 s2, s[4:5], 0x12
	s_delay_alu instid0(VALU_DEP_1) | instskip(NEXT) | instid1(VALU_DEP_1)
	v_mul_i32_i24_e32 v20, 0xb0, v20
	v_add3_u32 v20, 0, v20, v139
	ds_store_2addr_b32 v20, v0, v1 offset1:1
	ds_store_2addr_b32 v20, v2, v3 offset0:2 offset1:3
	ds_store_2addr_b32 v20, v4, v5 offset0:8 offset1:9
	;; [unrolled: 1-line block ×9, first 2 shown]
	s_wait_storecnt 0x0
	s_wait_loadcnt_dscnt 0x0
	s_barrier_signal -1
	s_barrier_wait -1
	global_inv scope:SCOPE_SE
	ds_load_2addr_b32 v[0:1], v129 offset1:176
	v_add_nc_u32_e32 v2, 0x500, v129
	v_mul_u32_u24_e32 v4, 40, v248
	s_wait_kmcnt 0x0
	s_cmp_lg_u32 s2, 0
	s_cselect_b32 s2, -1, 0
	ds_load_2addr_b32 v[2:3], v2 offset0:32 offset1:208
	v_add_lshl_u32 v10, v4, v246, 3
	s_wait_alu 0xfffe
	s_cmp_lg_u32 s2, 0
	s_add_co_ci_u32 s0, s0, 0
	s_wait_alu 0xfffe
	s_lshl_b32 s0, s0, 7
	s_wait_alu 0xfffe
	s_lshl_b64 s[2:3], s[0:1], 3
	s_mul_i32 s0, ttmp9, 0xa00
	s_wait_alu 0xfffe
	s_add_nc_u64 s[2:3], s[22:23], s[2:3]
	s_lshl_b64 s[0:1], s[0:1], 3
	s_wait_alu 0xfffe
	s_add_nc_u64 s[0:1], s[2:3], s[0:1]
	s_wait_dscnt 0x1
	v_lshrrev_b32_e32 v4, 16, v0
	v_lshrrev_b32_e32 v5, 16, v1
	v_cvt_f32_f16_e32 v7, v1
	v_cvt_f32_f16_e32 v0, v0
	s_delay_alu instid0(VALU_DEP_4)
	v_cvt_f32_f16_e32 v1, v4
	v_and_b32_e32 v8, 15, v248
	s_wait_dscnt 0x0
	v_cvt_f32_f16_e32 v9, v2
	v_lshrrev_b32_e32 v2, 16, v2
	v_dual_add_f32 v4, 0, v7 :: v_dual_add_f32 v1, 0, v1
	v_and_or_b32 v6, 0x7f0, v247, v8
	v_lshrrev_b32_e32 v7, 16, v3
	s_delay_alu instid0(VALU_DEP_4)
	v_cvt_f32_f16_e32 v11, v2
	v_add_f32_e32 v2, 0, v9
	v_add_nc_u32_e32 v9, 0xd00, v129
	v_mad_u32_u24 v6, 0xb0, v6, v130
	v_cvt_f32_f16_e32 v14, v7
	v_cvt_f32_f16_e32 v12, v3
	v_and_b32_e32 v3, 15, v131
	v_cvt_f32_f16_e32 v5, v5
	ds_load_b32 v13, v6
	ds_load_2addr_b32 v[6:7], v9 offset0:48 offset1:224
	v_and_or_b32 v9, 0x7f0, v242, v8
	v_and_or_b32 v8, 0x7f0, v244, v8
	;; [unrolled: 1-line block ×5, first 2 shown]
	v_mad_u32_u24 v9, 0xb0, v9, v130
	v_mad_u32_u24 v8, 0xb0, v8, v130
	v_dual_add_f32 v0, 0, v0 :: v_dual_add_f32 v5, 0, v5
	v_mad_u32_u24 v15, 0xb0, v15, v134
	v_mad_u32_u24 v16, 0xb0, v16, v134
	;; [unrolled: 1-line block ×3, first 2 shown]
	ds_load_b32 v17, v129 offset:4928
	ds_load_b32 v18, v9
	ds_load_b32 v19, v8
	ds_load_b32 v20, v133 offset:128
	ds_load_b32 v15, v15 offset:128
	ds_load_b32 v16, v16 offset:128
	ds_load_b32 v21, v3 offset:128
	v_dual_add_f32 v3, 0, v11 :: v_dual_add_f32 v8, 0, v12
	v_add_f32_e32 v9, 0, v14
	s_clause 0x3
	global_store_b64 v10, v[0:1], s[0:1]
	global_store_b64 v10, v[4:5], s[0:1] offset:1280
	global_store_b64 v10, v[2:3], s[0:1] offset:2560
	;; [unrolled: 1-line block ×3, first 2 shown]
	s_wait_dscnt 0x8
	v_lshrrev_b32_e32 v22, 16, v13
	s_wait_dscnt 0x7
	v_lshrrev_b32_e32 v2, 16, v6
	v_lshrrev_b32_e32 v3, 16, v7
	v_cvt_f32_f16_e32 v11, v13
	v_cvt_f32_f16_e32 v5, v6
	v_cvt_f32_f16_e32 v12, v22
	v_cvt_f32_f16_e32 v6, v2
	v_add_nc_u32_e32 v4, 0x1800, v129
	v_cvt_f32_f16_e32 v7, v7
	v_cvt_f32_f16_e32 v9, v3
	v_dual_add_f32 v0, 0, v11 :: v_dual_add_f32 v1, 0, v12
	v_add_nc_u32_e32 v8, 0x1400, v10
	ds_load_2addr_b32 v[2:3], v4 offset0:48 offset1:224
	s_wait_dscnt 0x7
	v_lshrrev_b32_e32 v13, 16, v17
	v_dual_add_f32 v4, 0, v5 :: v_dual_add_nc_u32 v11, 0x1900, v10
	v_dual_add_f32 v5, 0, v6 :: v_dual_add_f32 v6, 0, v7
	v_add_f32_e32 v7, 0, v9
	v_add_nc_u32_e32 v9, 0x1e00, v10
	v_cvt_f32_f16_e32 v12, v17
	s_clause 0x2
	global_store_b64 v8, v[0:1], s[0:1]
	global_store_b64 v11, v[4:5], s[0:1]
	;; [unrolled: 1-line block ×3, first 2 shown]
	s_wait_dscnt 0x6
	v_lshrrev_b32_e32 v1, 16, v18
	v_cvt_f32_f16_e32 v4, v13
	ds_load_b32 v6, v129 offset:7744
	v_cvt_f32_f16_e32 v5, v18
	v_add_nc_u32_e32 v8, 0x2300, v10
	v_cvt_f32_f16_e32 v7, v1
	v_add_f32_e32 v0, 0, v12
	s_delay_alu instid0(VALU_DEP_4)
	v_dual_add_f32 v1, 0, v4 :: v_dual_add_f32 v4, 0, v5
	s_wait_dscnt 0x1
	v_lshrrev_b32_e32 v9, 16, v2
	v_add_f32_e32 v5, 0, v7
	v_add_nc_u32_e32 v7, 0x2800, v10
	global_store_b64 v8, v[0:1], s[0:1]
	v_add_nc_u32_e32 v8, 0x2300, v129
	v_cvt_f32_f16_e32 v2, v2
	v_cvt_f32_f16_e32 v9, v9
	global_store_b64 v7, v[4:5], s[0:1]
	v_add_nc_u32_e32 v13, 0x3700, v10
	ds_load_2addr_b32 v[4:5], v8 offset0:48 offset1:224
	v_dual_add_f32 v0, 0, v2 :: v_dual_add_f32 v1, 0, v9
	v_lshrrev_b32_e32 v2, 16, v3
	ds_load_b32 v8, v129 offset:10560
	s_wait_dscnt 0x2
	v_lshrrev_b32_e32 v7, 16, v6
	v_cvt_f32_f16_e32 v3, v3
	v_add_nc_u32_e32 v11, 0x2d00, v10
	v_cvt_f32_f16_e32 v9, v2
	v_cvt_f32_f16_e32 v6, v6
	;; [unrolled: 1-line block ×3, first 2 shown]
	v_add_f32_e32 v2, 0, v3
	global_store_b64 v11, v[0:1], s[0:1]
	v_dual_add_f32 v3, 0, v9 :: v_dual_add_f32 v6, 0, v6
	v_cvt_f32_f16_e32 v0, v19
	v_add_nc_u32_e32 v9, 0x3200, v10
	v_add_f32_e32 v7, 0, v7
	v_lshrrev_b32_e32 v12, 16, v19
	s_delay_alu instid0(VALU_DEP_4)
	v_dual_add_f32 v0, 0, v0 :: v_dual_add_nc_u32 v11, 0x4600, v10
	s_clause 0x1
	global_store_b64 v9, v[2:3], s[0:1]
	global_store_b64 v13, v[6:7], s[0:1]
	s_wait_dscnt 0x1
	v_lshrrev_b32_e32 v2, 16, v4
	v_cvt_f32_f16_e32 v1, v12
	v_lshrrev_b32_e32 v3, 16, v5
	v_cvt_f32_f16_e32 v4, v4
	v_cvt_f32_f16_e32 v5, v5
	;; [unrolled: 1-line block ×3, first 2 shown]
	v_add_f32_e32 v1, 0, v1
	v_add_nc_u32_e32 v7, 0x3c00, v10
	v_cvt_f32_f16_e32 v9, v3
	s_delay_alu instid0(VALU_DEP_4)
	v_dual_add_f32 v2, 0, v4 :: v_dual_add_f32 v3, 0, v6
	v_add_nc_u32_e32 v6, 0x4100, v10
	v_add_f32_e32 v4, 0, v5
	s_clause 0x1
	global_store_b64 v7, v[0:1], s[0:1]
	global_store_b64 v6, v[2:3], s[0:1]
	v_mul_u32_u24_e32 v3, 40, v131
	v_dual_add_f32 v5, 0, v9 :: v_dual_add_nc_u32 v18, 0x4b00, v10
	v_lshrrev_b32_e32 v2, 16, v20
	s_wait_dscnt 0x0
	v_lshrrev_b32_e32 v9, 16, v8
	v_or_b32_e32 v41, v3, v132
	v_lshrrev_b32_e32 v6, 16, v15
	global_store_b64 v11, v[4:5], s[0:1]
	v_cvt_f32_f16_e32 v4, v20
	v_cvt_f32_f16_e32 v5, v2
	;; [unrolled: 1-line block ×4, first 2 shown]
	v_dual_mov_b32 v7, v42 :: v_dual_add_nc_u32 v6, 0x280, v41
	v_dual_mov_b32 v11, v42 :: v_dual_add_nc_u32 v10, 0x500, v41
	v_add_f32_e32 v2, 0, v4
	v_cvt_f32_f16_e32 v12, v16
	v_add_f32_e32 v3, 0, v5
	v_lshlrev_b64_e32 v[4:5], 3, v[41:42]
	v_lshrrev_b32_e32 v14, 16, v21
	v_add_nc_u32_e32 v41, 0x780, v41
	v_lshlrev_b64_e32 v[6:7], 3, v[6:7]
	v_lshrrev_b32_e32 v13, 16, v16
	v_lshlrev_b64_e32 v[10:11], 3, v[10:11]
	v_cvt_f32_f16_e32 v0, v8
	v_cvt_f32_f16_e32 v8, v15
	s_wait_alu 0xfffe
	v_add_co_u32 v4, vcc_lo, s0, v4
	v_cvt_f32_f16_e32 v17, v14
	v_lshlrev_b64_e32 v[14:15], 3, v[41:42]
	s_wait_alu 0xfffd
	v_add_co_ci_u32_e64 v5, null, s1, v5, vcc_lo
	v_add_co_u32 v6, vcc_lo, s0, v6
	v_cvt_f32_f16_e32 v13, v13
	v_cvt_f32_f16_e32 v16, v21
	v_dual_add_f32 v0, 0, v0 :: v_dual_add_f32 v1, 0, v1
	v_add_f32_e32 v8, 0, v8
	s_wait_alu 0xfffd
	v_add_co_ci_u32_e64 v7, null, s1, v7, vcc_lo
	v_add_co_u32 v10, vcc_lo, s0, v10
	v_dual_add_f32 v9, 0, v9 :: v_dual_add_f32 v16, 0, v16
	s_wait_alu 0xfffd
	v_add_co_ci_u32_e64 v11, null, s1, v11, vcc_lo
	v_add_co_u32 v14, vcc_lo, s0, v14
	v_dual_add_f32 v12, 0, v12 :: v_dual_add_f32 v13, 0, v13
	v_add_f32_e32 v17, 0, v17
	s_wait_alu 0xfffd
	v_add_co_ci_u32_e64 v15, null, s1, v15, vcc_lo
	s_clause 0x4
	global_store_b64 v18, v[0:1], s[0:1]
	global_store_b64 v[4:5], v[2:3], off offset:256
	global_store_b64 v[6:7], v[8:9], off offset:256
	;; [unrolled: 1-line block ×4, first 2 shown]
.LBB9_489:
	s_nop 0
	s_sendmsg sendmsg(MSG_DEALLOC_VGPRS)
	s_endpgm
	.section	.rodata,"a",@progbits
	.p2align	6, 0x0
	.amdhsa_kernel _ZL18flash_attn_ext_f16ILi80ELi80ELi32ELi2ELb0ELb0EEvPKcS1_S1_S1_S1_PKiPfP15HIP_vector_typeIfLj2EEffffjfiS5_IjLj3EEiiiiiiiiiiiliiliiiiil
		.amdhsa_group_segment_fixed_size 0
		.amdhsa_private_segment_fixed_size 464
		.amdhsa_kernarg_size 464
		.amdhsa_user_sgpr_count 2
		.amdhsa_user_sgpr_dispatch_ptr 0
		.amdhsa_user_sgpr_queue_ptr 0
		.amdhsa_user_sgpr_kernarg_segment_ptr 1
		.amdhsa_user_sgpr_dispatch_id 0
		.amdhsa_user_sgpr_private_segment_size 0
		.amdhsa_wavefront_size32 1
		.amdhsa_uses_dynamic_stack 0
		.amdhsa_enable_private_segment 1
		.amdhsa_system_sgpr_workgroup_id_x 1
		.amdhsa_system_sgpr_workgroup_id_y 0
		.amdhsa_system_sgpr_workgroup_id_z 0
		.amdhsa_system_sgpr_workgroup_info 0
		.amdhsa_system_vgpr_workitem_id 1
		.amdhsa_next_free_vgpr 256
		.amdhsa_next_free_sgpr 105
		.amdhsa_reserve_vcc 1
		.amdhsa_float_round_mode_32 0
		.amdhsa_float_round_mode_16_64 0
		.amdhsa_float_denorm_mode_32 3
		.amdhsa_float_denorm_mode_16_64 3
		.amdhsa_fp16_overflow 0
		.amdhsa_workgroup_processor_mode 1
		.amdhsa_memory_ordered 1
		.amdhsa_forward_progress 1
		.amdhsa_inst_pref_size 255
		.amdhsa_round_robin_scheduling 0
		.amdhsa_exception_fp_ieee_invalid_op 0
		.amdhsa_exception_fp_denorm_src 0
		.amdhsa_exception_fp_ieee_div_zero 0
		.amdhsa_exception_fp_ieee_overflow 0
		.amdhsa_exception_fp_ieee_underflow 0
		.amdhsa_exception_fp_ieee_inexact 0
		.amdhsa_exception_int_div_zero 0
	.end_amdhsa_kernel
	.section	.text._ZL18flash_attn_ext_f16ILi80ELi80ELi32ELi2ELb0ELb0EEvPKcS1_S1_S1_S1_PKiPfP15HIP_vector_typeIfLj2EEffffjfiS5_IjLj3EEiiiiiiiiiiiliiliiiiil,"axG",@progbits,_ZL18flash_attn_ext_f16ILi80ELi80ELi32ELi2ELb0ELb0EEvPKcS1_S1_S1_S1_PKiPfP15HIP_vector_typeIfLj2EEffffjfiS5_IjLj3EEiiiiiiiiiiiliiliiiiil,comdat
.Lfunc_end9:
	.size	_ZL18flash_attn_ext_f16ILi80ELi80ELi32ELi2ELb0ELb0EEvPKcS1_S1_S1_S1_PKiPfP15HIP_vector_typeIfLj2EEffffjfiS5_IjLj3EEiiiiiiiiiiiliiliiiiil, .Lfunc_end9-_ZL18flash_attn_ext_f16ILi80ELi80ELi32ELi2ELb0ELb0EEvPKcS1_S1_S1_S1_PKiPfP15HIP_vector_typeIfLj2EEffffjfiS5_IjLj3EEiiiiiiiiiiiliiliiiiil
                                        ; -- End function
	.set _ZL18flash_attn_ext_f16ILi80ELi80ELi32ELi2ELb0ELb0EEvPKcS1_S1_S1_S1_PKiPfP15HIP_vector_typeIfLj2EEffffjfiS5_IjLj3EEiiiiiiiiiiiliiliiiiil.num_vgpr, 256
	.set _ZL18flash_attn_ext_f16ILi80ELi80ELi32ELi2ELb0ELb0EEvPKcS1_S1_S1_S1_PKiPfP15HIP_vector_typeIfLj2EEffffjfiS5_IjLj3EEiiiiiiiiiiiliiliiiiil.num_agpr, 0
	.set _ZL18flash_attn_ext_f16ILi80ELi80ELi32ELi2ELb0ELb0EEvPKcS1_S1_S1_S1_PKiPfP15HIP_vector_typeIfLj2EEffffjfiS5_IjLj3EEiiiiiiiiiiiliiliiiiil.numbered_sgpr, 105
	.set _ZL18flash_attn_ext_f16ILi80ELi80ELi32ELi2ELb0ELb0EEvPKcS1_S1_S1_S1_PKiPfP15HIP_vector_typeIfLj2EEffffjfiS5_IjLj3EEiiiiiiiiiiiliiliiiiil.num_named_barrier, 0
	.set _ZL18flash_attn_ext_f16ILi80ELi80ELi32ELi2ELb0ELb0EEvPKcS1_S1_S1_S1_PKiPfP15HIP_vector_typeIfLj2EEffffjfiS5_IjLj3EEiiiiiiiiiiiliiliiiiil.private_seg_size, 464
	.set _ZL18flash_attn_ext_f16ILi80ELi80ELi32ELi2ELb0ELb0EEvPKcS1_S1_S1_S1_PKiPfP15HIP_vector_typeIfLj2EEffffjfiS5_IjLj3EEiiiiiiiiiiiliiliiiiil.uses_vcc, 1
	.set _ZL18flash_attn_ext_f16ILi80ELi80ELi32ELi2ELb0ELb0EEvPKcS1_S1_S1_S1_PKiPfP15HIP_vector_typeIfLj2EEffffjfiS5_IjLj3EEiiiiiiiiiiiliiliiiiil.uses_flat_scratch, 1
	.set _ZL18flash_attn_ext_f16ILi80ELi80ELi32ELi2ELb0ELb0EEvPKcS1_S1_S1_S1_PKiPfP15HIP_vector_typeIfLj2EEffffjfiS5_IjLj3EEiiiiiiiiiiiliiliiiiil.has_dyn_sized_stack, 0
	.set _ZL18flash_attn_ext_f16ILi80ELi80ELi32ELi2ELb0ELb0EEvPKcS1_S1_S1_S1_PKiPfP15HIP_vector_typeIfLj2EEffffjfiS5_IjLj3EEiiiiiiiiiiiliiliiiiil.has_recursion, 0
	.set _ZL18flash_attn_ext_f16ILi80ELi80ELi32ELi2ELb0ELb0EEvPKcS1_S1_S1_S1_PKiPfP15HIP_vector_typeIfLj2EEffffjfiS5_IjLj3EEiiiiiiiiiiiliiliiiiil.has_indirect_call, 0
	.section	.AMDGPU.csdata,"",@progbits
; Kernel info:
; codeLenInByte = 93504
; TotalNumSgprs: 107
; NumVgprs: 256
; ScratchSize: 464
; MemoryBound: 0
; FloatMode: 240
; IeeeMode: 1
; LDSByteSize: 0 bytes/workgroup (compile time only)
; SGPRBlocks: 0
; VGPRBlocks: 31
; NumSGPRsForWavesPerEU: 107
; NumVGPRsForWavesPerEU: 256
; Occupancy: 5
; WaveLimiterHint : 1
; COMPUTE_PGM_RSRC2:SCRATCH_EN: 1
; COMPUTE_PGM_RSRC2:USER_SGPR: 2
; COMPUTE_PGM_RSRC2:TRAP_HANDLER: 0
; COMPUTE_PGM_RSRC2:TGID_X_EN: 1
; COMPUTE_PGM_RSRC2:TGID_Y_EN: 0
; COMPUTE_PGM_RSRC2:TGID_Z_EN: 0
; COMPUTE_PGM_RSRC2:TIDIG_COMP_CNT: 1
	.section	.text._ZL18flash_attn_ext_f16ILi80ELi80ELi32ELi2ELb1ELb0EEvPKcS1_S1_S1_S1_PKiPfP15HIP_vector_typeIfLj2EEffffjfiS5_IjLj3EEiiiiiiiiiiiliiliiiiil,"axG",@progbits,_ZL18flash_attn_ext_f16ILi80ELi80ELi32ELi2ELb1ELb0EEvPKcS1_S1_S1_S1_PKiPfP15HIP_vector_typeIfLj2EEffffjfiS5_IjLj3EEiiiiiiiiiiiliiliiiiil,comdat
	.globl	_ZL18flash_attn_ext_f16ILi80ELi80ELi32ELi2ELb1ELb0EEvPKcS1_S1_S1_S1_PKiPfP15HIP_vector_typeIfLj2EEffffjfiS5_IjLj3EEiiiiiiiiiiiliiliiiiil ; -- Begin function _ZL18flash_attn_ext_f16ILi80ELi80ELi32ELi2ELb1ELb0EEvPKcS1_S1_S1_S1_PKiPfP15HIP_vector_typeIfLj2EEffffjfiS5_IjLj3EEiiiiiiiiiiiliiliiiiil
	.p2align	8
	.type	_ZL18flash_attn_ext_f16ILi80ELi80ELi32ELi2ELb1ELb0EEvPKcS1_S1_S1_S1_PKiPfP15HIP_vector_typeIfLj2EEffffjfiS5_IjLj3EEiiiiiiiiiiiliiliiiiil,@function
_ZL18flash_attn_ext_f16ILi80ELi80ELi32ELi2ELb1ELb0EEvPKcS1_S1_S1_S1_PKiPfP15HIP_vector_typeIfLj2EEffffjfiS5_IjLj3EEiiiiiiiiiiiliiliiiiil: ; @_ZL18flash_attn_ext_f16ILi80ELi80ELi32ELi2ELb1ELb0EEvPKcS1_S1_S1_S1_PKiPfP15HIP_vector_typeIfLj2EEffffjfiS5_IjLj3EEiiiiiiiiiiiliiliiiiil
; %bb.0:
	v_mov_b32_e32 v0, 0x6cc
	s_add_nc_u64 s[8:9], s[0:1], 0xd0
	s_getpc_b64 s[0:1]
	s_sext_i32_i16 s1, s1
	s_add_co_u32 s0, s0, _ZL14no_device_codePKciS0_iS0_@rel32@lo+8
	s_add_co_ci_u32 s1, s1, _ZL14no_device_codePKciS0_iS0_@rel32@hi+16
	s_mov_b32 s32, 0
	s_swappc_b64 s[30:31], s[0:1]
	.section	.rodata,"a",@progbits
	.p2align	6, 0x0
	.amdhsa_kernel _ZL18flash_attn_ext_f16ILi80ELi80ELi32ELi2ELb1ELb0EEvPKcS1_S1_S1_S1_PKiPfP15HIP_vector_typeIfLj2EEffffjfiS5_IjLj3EEiiiiiiiiiiiliiliiiiil
		.amdhsa_group_segment_fixed_size 0
		.amdhsa_private_segment_fixed_size 16
		.amdhsa_kernarg_size 464
		.amdhsa_user_sgpr_count 2
		.amdhsa_user_sgpr_dispatch_ptr 0
		.amdhsa_user_sgpr_queue_ptr 0
		.amdhsa_user_sgpr_kernarg_segment_ptr 1
		.amdhsa_user_sgpr_dispatch_id 0
		.amdhsa_user_sgpr_private_segment_size 0
		.amdhsa_wavefront_size32 1
		.amdhsa_uses_dynamic_stack 0
		.amdhsa_enable_private_segment 1
		.amdhsa_system_sgpr_workgroup_id_x 1
		.amdhsa_system_sgpr_workgroup_id_y 0
		.amdhsa_system_sgpr_workgroup_id_z 0
		.amdhsa_system_sgpr_workgroup_info 0
		.amdhsa_system_vgpr_workitem_id 0
		.amdhsa_next_free_vgpr 40
		.amdhsa_next_free_sgpr 34
		.amdhsa_reserve_vcc 1
		.amdhsa_float_round_mode_32 0
		.amdhsa_float_round_mode_16_64 0
		.amdhsa_float_denorm_mode_32 3
		.amdhsa_float_denorm_mode_16_64 3
		.amdhsa_fp16_overflow 0
		.amdhsa_workgroup_processor_mode 1
		.amdhsa_memory_ordered 1
		.amdhsa_forward_progress 1
		.amdhsa_inst_pref_size 1
		.amdhsa_round_robin_scheduling 0
		.amdhsa_exception_fp_ieee_invalid_op 0
		.amdhsa_exception_fp_denorm_src 0
		.amdhsa_exception_fp_ieee_div_zero 0
		.amdhsa_exception_fp_ieee_overflow 0
		.amdhsa_exception_fp_ieee_underflow 0
		.amdhsa_exception_fp_ieee_inexact 0
		.amdhsa_exception_int_div_zero 0
	.end_amdhsa_kernel
	.section	.text._ZL18flash_attn_ext_f16ILi80ELi80ELi32ELi2ELb1ELb0EEvPKcS1_S1_S1_S1_PKiPfP15HIP_vector_typeIfLj2EEffffjfiS5_IjLj3EEiiiiiiiiiiiliiliiiiil,"axG",@progbits,_ZL18flash_attn_ext_f16ILi80ELi80ELi32ELi2ELb1ELb0EEvPKcS1_S1_S1_S1_PKiPfP15HIP_vector_typeIfLj2EEffffjfiS5_IjLj3EEiiiiiiiiiiiliiliiiiil,comdat
.Lfunc_end10:
	.size	_ZL18flash_attn_ext_f16ILi80ELi80ELi32ELi2ELb1ELb0EEvPKcS1_S1_S1_S1_PKiPfP15HIP_vector_typeIfLj2EEffffjfiS5_IjLj3EEiiiiiiiiiiiliiliiiiil, .Lfunc_end10-_ZL18flash_attn_ext_f16ILi80ELi80ELi32ELi2ELb1ELb0EEvPKcS1_S1_S1_S1_PKiPfP15HIP_vector_typeIfLj2EEffffjfiS5_IjLj3EEiiiiiiiiiiiliiliiiiil
                                        ; -- End function
	.set _ZL18flash_attn_ext_f16ILi80ELi80ELi32ELi2ELb1ELb0EEvPKcS1_S1_S1_S1_PKiPfP15HIP_vector_typeIfLj2EEffffjfiS5_IjLj3EEiiiiiiiiiiiliiliiiiil.num_vgpr, max(1, .L_ZL14no_device_codePKciS0_iS0_.num_vgpr)
	.set _ZL18flash_attn_ext_f16ILi80ELi80ELi32ELi2ELb1ELb0EEvPKcS1_S1_S1_S1_PKiPfP15HIP_vector_typeIfLj2EEffffjfiS5_IjLj3EEiiiiiiiiiiiliiliiiiil.num_agpr, max(0, .L_ZL14no_device_codePKciS0_iS0_.num_agpr)
	.set _ZL18flash_attn_ext_f16ILi80ELi80ELi32ELi2ELb1ELb0EEvPKcS1_S1_S1_S1_PKiPfP15HIP_vector_typeIfLj2EEffffjfiS5_IjLj3EEiiiiiiiiiiiliiliiiiil.numbered_sgpr, max(33, .L_ZL14no_device_codePKciS0_iS0_.numbered_sgpr)
	.set _ZL18flash_attn_ext_f16ILi80ELi80ELi32ELi2ELb1ELb0EEvPKcS1_S1_S1_S1_PKiPfP15HIP_vector_typeIfLj2EEffffjfiS5_IjLj3EEiiiiiiiiiiiliiliiiiil.num_named_barrier, max(0, .L_ZL14no_device_codePKciS0_iS0_.num_named_barrier)
	.set _ZL18flash_attn_ext_f16ILi80ELi80ELi32ELi2ELb1ELb0EEvPKcS1_S1_S1_S1_PKiPfP15HIP_vector_typeIfLj2EEffffjfiS5_IjLj3EEiiiiiiiiiiiliiliiiiil.private_seg_size, 0+max(.L_ZL14no_device_codePKciS0_iS0_.private_seg_size)
	.set _ZL18flash_attn_ext_f16ILi80ELi80ELi32ELi2ELb1ELb0EEvPKcS1_S1_S1_S1_PKiPfP15HIP_vector_typeIfLj2EEffffjfiS5_IjLj3EEiiiiiiiiiiiliiliiiiil.uses_vcc, or(1, .L_ZL14no_device_codePKciS0_iS0_.uses_vcc)
	.set _ZL18flash_attn_ext_f16ILi80ELi80ELi32ELi2ELb1ELb0EEvPKcS1_S1_S1_S1_PKiPfP15HIP_vector_typeIfLj2EEffffjfiS5_IjLj3EEiiiiiiiiiiiliiliiiiil.uses_flat_scratch, or(0, .L_ZL14no_device_codePKciS0_iS0_.uses_flat_scratch)
	.set _ZL18flash_attn_ext_f16ILi80ELi80ELi32ELi2ELb1ELb0EEvPKcS1_S1_S1_S1_PKiPfP15HIP_vector_typeIfLj2EEffffjfiS5_IjLj3EEiiiiiiiiiiiliiliiiiil.has_dyn_sized_stack, or(0, .L_ZL14no_device_codePKciS0_iS0_.has_dyn_sized_stack)
	.set _ZL18flash_attn_ext_f16ILi80ELi80ELi32ELi2ELb1ELb0EEvPKcS1_S1_S1_S1_PKiPfP15HIP_vector_typeIfLj2EEffffjfiS5_IjLj3EEiiiiiiiiiiiliiliiiiil.has_recursion, or(0, .L_ZL14no_device_codePKciS0_iS0_.has_recursion)
	.set _ZL18flash_attn_ext_f16ILi80ELi80ELi32ELi2ELb1ELb0EEvPKcS1_S1_S1_S1_PKiPfP15HIP_vector_typeIfLj2EEffffjfiS5_IjLj3EEiiiiiiiiiiiliiliiiiil.has_indirect_call, or(0, .L_ZL14no_device_codePKciS0_iS0_.has_indirect_call)
	.section	.AMDGPU.csdata,"",@progbits
; Kernel info:
; codeLenInByte = 48
; TotalNumSgprs: 36
; NumVgprs: 40
; ScratchSize: 16
; MemoryBound: 0
; FloatMode: 240
; IeeeMode: 1
; LDSByteSize: 0 bytes/workgroup (compile time only)
; SGPRBlocks: 0
; VGPRBlocks: 4
; NumSGPRsForWavesPerEU: 36
; NumVGPRsForWavesPerEU: 40
; Occupancy: 16
; WaveLimiterHint : 1
; COMPUTE_PGM_RSRC2:SCRATCH_EN: 1
; COMPUTE_PGM_RSRC2:USER_SGPR: 2
; COMPUTE_PGM_RSRC2:TRAP_HANDLER: 0
; COMPUTE_PGM_RSRC2:TGID_X_EN: 1
; COMPUTE_PGM_RSRC2:TGID_Y_EN: 0
; COMPUTE_PGM_RSRC2:TGID_Z_EN: 0
; COMPUTE_PGM_RSRC2:TIDIG_COMP_CNT: 0
	.section	.text._ZL33flash_attn_stream_k_fixup_uniformILi80ELi32ELi2EEvPfPK15HIP_vector_typeIfLj2EEiiiiiiS1_IjLj3EES5_S5_,"axG",@progbits,_ZL33flash_attn_stream_k_fixup_uniformILi80ELi32ELi2EEvPfPK15HIP_vector_typeIfLj2EEiiiiiiS1_IjLj3EES5_S5_,comdat
	.globl	_ZL33flash_attn_stream_k_fixup_uniformILi80ELi32ELi2EEvPfPK15HIP_vector_typeIfLj2EEiiiiiiS1_IjLj3EES5_S5_ ; -- Begin function _ZL33flash_attn_stream_k_fixup_uniformILi80ELi32ELi2EEvPfPK15HIP_vector_typeIfLj2EEiiiiiiS1_IjLj3EES5_S5_
	.p2align	8
	.type	_ZL33flash_attn_stream_k_fixup_uniformILi80ELi32ELi2EEvPfPK15HIP_vector_typeIfLj2EEiiiiiiS1_IjLj3EES5_S5_,@function
_ZL33flash_attn_stream_k_fixup_uniformILi80ELi32ELi2EEvPfPK15HIP_vector_typeIfLj2EEiiiiiiS1_IjLj3EES5_S5_: ; @_ZL33flash_attn_stream_k_fixup_uniformILi80ELi32ELi2EEvPfPK15HIP_vector_typeIfLj2EEiiiiiiS1_IjLj3EES5_S5_
; %bb.0:
	s_clause 0x1
	s_load_b256 s[4:11], s[0:1], 0x1c
	s_load_b128 s[12:15], s[0:1], 0x3c
	s_wait_kmcnt 0x0
	s_mul_hi_u32 s2, s7, ttmp9
	s_delay_alu instid0(SALU_CYCLE_1) | instskip(NEXT) | instid1(SALU_CYCLE_1)
	s_add_co_i32 s2, ttmp9, s2
	s_lshr_b32 s2, s2, s8
	s_delay_alu instid0(SALU_CYCLE_1) | instskip(SKIP_2) | instid1(SALU_CYCLE_1)
	s_mul_i32 s3, s2, s9
	s_load_b64 s[8:9], s[0:1], 0x10
	s_sub_co_i32 s3, ttmp9, s3
	s_mul_hi_u32 s7, s3, s10
	s_delay_alu instid0(SALU_CYCLE_1) | instskip(NEXT) | instid1(SALU_CYCLE_1)
	s_add_co_i32 s7, s3, s7
	s_lshr_b32 s7, s7, s11
	s_lshr_b32 s11, ttmp7, 16
	s_mul_i32 s10, s7, s12
	s_delay_alu instid0(SALU_CYCLE_1) | instskip(NEXT) | instid1(SALU_CYCLE_1)
	s_sub_co_i32 s3, s3, s10
	s_mul_hi_u32 s10, s3, s13
	s_delay_alu instid0(SALU_CYCLE_1) | instskip(NEXT) | instid1(SALU_CYCLE_1)
	s_add_co_i32 s10, s3, s10
	s_lshr_b32 s13, s10, s14
	s_delay_alu instid0(SALU_CYCLE_1) | instskip(SKIP_4) | instid1(SALU_CYCLE_1)
	s_mul_i32 s10, s13, s15
	s_lshl_b32 s13, s13, 1
	s_sub_co_i32 s12, s3, s10
	s_and_b32 s10, ttmp7, 0xffff
	s_lshl_b32 s3, s12, 5
	s_add_co_i32 s3, s3, s10
	s_wait_kmcnt 0x0
	s_cmp_lt_i32 s3, s8
	s_cselect_b32 s3, -1, 0
	s_add_co_i32 s13, s13, s11
	s_delay_alu instid0(SALU_CYCLE_1) | instskip(SKIP_1) | instid1(SALU_CYCLE_1)
	s_cmp_lt_i32 s13, s5
	s_cselect_b32 s14, -1, 0
	s_and_b32 s3, s3, s14
	s_delay_alu instid0(SALU_CYCLE_1)
	s_and_not1_b32 vcc_lo, exec_lo, s3
	s_cbranch_vccnz .LBB11_6
; %bb.1:
	s_mul_i32 s8, s2, s8
	s_mul_i32 s7, s7, s5
	s_add_co_i32 s8, s8, s10
	s_add_co_i32 s5, s13, s7
	s_mul_i32 s8, s8, s9
	s_load_b128 s[0:3], s[0:1], 0x0
	s_mul_i32 s7, s9, s12
	s_add_co_i32 s5, s5, s8
	s_mulk_i32 s7, 0xa00
	s_mulk_i32 s5, 0x50
	s_mul_i32 s8, s6, ttmp9
	v_add3_u32 v1, s5, s7, v0
	s_lshl_b32 s5, s10, 1
	s_add_co_i32 s9, s8, s6
	s_delay_alu instid0(SALU_CYCLE_1) | instskip(NEXT) | instid1(VALU_DEP_1)
	s_add_co_i32 s7, s9, -2
	v_ashrrev_i32_e32 v2, 31, v1
	s_delay_alu instid0(VALU_DEP_1) | instskip(SKIP_1) | instid1(VALU_DEP_1)
	v_lshlrev_b64_e32 v[1:2], 2, v[1:2]
	s_wait_kmcnt 0x0
	v_add_co_u32 v1, vcc_lo, s0, v1
	s_delay_alu instid0(VALU_DEP_1)
	v_add_co_ci_u32_e64 v2, null, s1, v2, vcc_lo
	s_wait_alu 0xfffe
	s_add_co_i32 s0, s5, s11
	s_lshl_b32 s1, s9, 6
	global_load_b32 v5, v[1:2], off
	s_wait_alu 0xfffe
	s_add_co_i32 s0, s0, s1
	s_wait_alu 0xfffe
	s_sub_co_i32 s0, s0, 64
	s_wait_alu 0xfffe
	s_ashr_i32 s1, s0, 31
	s_wait_alu 0xfffe
	s_lshl_b64 s[0:1], s[0:1], 3
	s_cmp_lt_i32 s7, s8
	s_wait_alu 0xfffe
	s_add_nc_u64 s[0:1], s[2:3], s[0:1]
	s_load_b32 s12, s[0:1], 0x4
	s_cbranch_scc1 .LBB11_4
; %bb.2:
	s_load_b32 s0, s[0:1], 0x0
	s_add_co_i32 s1, ttmp9, 1
	s_mulk_i32 s10, 0xa0
	s_wait_alu 0xfffe
	s_mul_i32 s1, s6, s1
	s_lshl_b32 s14, s4, 8
	s_wait_alu 0xfffe
	s_lshl_b32 s13, s1, 6
	s_mulk_i32 s1, 0x1400
	s_add_co_i32 s13, s11, s13
	s_mulk_i32 s11, 0x50
	s_lshl_b32 s4, s4, 6
	s_add_co_i32 s10, s11, s10
	s_ashr_i32 s15, s14, 31
	s_wait_alu 0xfffe
	s_add_co_i32 s10, s10, s1
	s_add_co_i32 s1, s13, s4
	v_add3_u32 v3, s10, v0, 0xffffd800
	s_wait_kmcnt 0x0
	v_mov_b32_e32 v6, s12
	s_lshl_b64 s[6:7], s[14:15], 2
	s_wait_alu 0xfffe
	s_add_co_i32 s4, s1, s5
	s_add_nc_u64 s[6:7], s[2:3], s[6:7]
	s_add_co_i32 s1, s9, -1
	s_wait_alu 0xfffe
	s_addk_co_i32 s4, 0xff80
.LBB11_3:                               ; =>This Inner Loop Header: Depth=1
	v_ashrrev_i32_e32 v4, 31, v3
	s_wait_alu 0xfffe
	s_ashr_i32 s5, s4, 31
	v_mov_b32_e32 v10, v6
	s_wait_alu 0xfffe
	s_lshl_b64 s[10:11], s[4:5], 3
	s_wait_loadcnt 0x0
	v_mov_b32_e32 v9, v5
	v_lshlrev_b64_e32 v[7:8], 2, v[3:4]
	s_wait_alu 0xfffe
	s_add_nc_u64 s[10:11], s[2:3], s[10:11]
	v_max_num_f32_e64 v4, s0, s0
	s_load_b64 s[10:11], s[10:11], 0x0
	v_add_nc_u32_e32 v3, 0xffffec00, v3
	v_add_co_u32 v7, vcc_lo, s6, v7
	s_wait_alu 0xfffd
	v_add_co_ci_u32_e64 v8, null, s7, v8, vcc_lo
	v_readfirstlane_b32 s5, v4
	global_load_b32 v0, v[7:8], off
	s_wait_kmcnt 0x0
	v_max_num_f32_e64 v4, s10, s10
	s_delay_alu instid0(VALU_DEP_1) | instskip(SKIP_2) | instid1(SALU_CYCLE_2)
	v_readfirstlane_b32 s9, v4
	s_max_num_f32 s5, s5, s9
	s_wait_alu 0xfffe
	s_sub_f32 s0, s0, s5
	s_sub_f32 s9, s10, s5
	s_wait_alu 0xfffe
	s_delay_alu instid0(SALU_CYCLE_1) | instskip(NEXT) | instid1(SALU_CYCLE_1)
	s_mul_f32 s10, s0, 0x3fb8aa3b
	s_mul_f32 s12, s9, 0x3fb8aa3b
	s_wait_alu 0xfffe
	s_delay_alu instid0(SALU_CYCLE_1)
	s_xor_b32 s13, s10, 0x80000000
	s_rndne_f32 s14, s10
	s_wait_alu 0xfffe
	s_fmamk_f32 s13, s0, 0x3fb8aa3b, s13
	s_cmp_nlt_f32 s0, 0xc2ce8ed0
	s_rndne_f32 s15, s12
	s_sub_f32 s10, s10, s14
	s_wait_alu 0xfffe
	s_fmamk_f32 s13, s0, 0x32a5705f, s13
	s_cvt_i32_f32 s14, s14
	s_cselect_b32 vcc_lo, -1, 0
	s_cmp_ngt_f32 s0, 0x42b17218
	s_wait_alu 0xfffe
	s_add_f32 s10, s10, s13
	s_sub_f32 s13, s12, s15
	s_wait_alu 0xfffe
	s_delay_alu instid0(SALU_CYCLE_1) | instskip(SKIP_1) | instid1(TRANS32_DEP_1)
	v_s_exp_f32 s10, s10
	s_wait_alu 0xf1ff
	v_ldexp_f32 v4, s10, s14
	s_cvt_i32_f32 s10, s15
	s_delay_alu instid0(VALU_DEP_1) | instskip(SKIP_3) | instid1(VALU_DEP_1)
	v_cndmask_b32_e32 v4, 0, v4, vcc_lo
	s_cselect_b32 vcc_lo, -1, 0
	s_cmp_ge_f32 s0, 0xc1a00000
	s_wait_alu 0xfffe
	v_cndmask_b32_e32 v4, 0x7f800000, v4, vcc_lo
	s_cselect_b32 vcc_lo, -1, 0
	s_xor_b32 s0, s12, 0x80000000
	s_cmp_nlt_f32 s9, 0xc2ce8ed0
	s_wait_alu 0xfffe
	s_fmamk_f32 s0, s9, 0x3fb8aa3b, s0
	s_wait_alu 0xfffe
	s_delay_alu instid0(SALU_CYCLE_2) | instskip(SKIP_1) | instid1(SALU_CYCLE_2)
	s_fmamk_f32 s0, s9, 0x32a5705f, s0
	s_wait_alu 0xfffe
	s_add_f32 s0, s13, s0
	s_wait_alu 0xfffe
	s_delay_alu instid0(SALU_CYCLE_2) | instskip(SKIP_1) | instid1(TRANS32_DEP_1)
	v_s_exp_f32 s0, s0
	s_wait_alu 0xf1ff
	v_ldexp_f32 v7, s0, s10
	s_cselect_b32 s0, -1, 0
	s_cmp_ngt_f32 s9, 0x42b17218
	s_wait_alu 0xfffe
	s_delay_alu instid0(VALU_DEP_1) | instskip(SKIP_3) | instid1(VALU_DEP_1)
	v_cndmask_b32_e64 v7, 0, v7, s0
	s_cselect_b32 s0, -1, 0
	s_cmp_ge_f32 s9, 0xc1a00000
	s_wait_alu 0xfffe
	v_cndmask_b32_e64 v7, 0x7f800000, v7, s0
	s_cselect_b32 s0, -1, 0
	s_add_co_i32 s1, s1, -1
	s_sub_co_i32 s4, s4, 64
	s_wait_alu 0xfffe
	s_cmp_le_i32 s1, s8
	v_cndmask_b32_e64 v7, 0, v7, s0
	s_mov_b32 s0, s5
	s_wait_loadcnt 0x0
	s_delay_alu instid0(VALU_DEP_1) | instskip(NEXT) | instid1(VALU_DEP_1)
	v_dual_mul_f32 v5, v0, v7 :: v_dual_cndmask_b32 v4, 0, v4
	v_dual_mul_f32 v8, s11, v7 :: v_dual_fmac_f32 v5, v9, v4
	s_delay_alu instid0(VALU_DEP_1) | instskip(NEXT) | instid1(VALU_DEP_1)
	v_mov_b32_e32 v6, v8
	v_fmac_f32_e32 v6, v10, v4
	s_cbranch_scc0 .LBB11_3
	s_branch .LBB11_5
.LBB11_4:
	s_wait_kmcnt 0x0
	v_mov_b32_e32 v6, s12
.LBB11_5:
	s_wait_loadcnt 0x0
	s_delay_alu instid0(VALU_DEP_1) | instskip(NEXT) | instid1(VALU_DEP_1)
	v_div_scale_f32 v0, null, v6, v6, v5
	v_rcp_f32_e32 v3, v0
	s_delay_alu instid0(TRANS32_DEP_1) | instskip(NEXT) | instid1(VALU_DEP_1)
	v_fma_f32 v4, -v0, v3, 1.0
	v_fmac_f32_e32 v3, v4, v3
	v_div_scale_f32 v4, vcc_lo, v5, v6, v5
	s_delay_alu instid0(VALU_DEP_1) | instskip(NEXT) | instid1(VALU_DEP_1)
	v_mul_f32_e32 v7, v4, v3
	v_fma_f32 v8, -v0, v7, v4
	s_delay_alu instid0(VALU_DEP_1) | instskip(NEXT) | instid1(VALU_DEP_1)
	v_fmac_f32_e32 v7, v8, v3
	v_fma_f32 v0, -v0, v7, v4
	s_wait_alu 0xfffd
	s_delay_alu instid0(VALU_DEP_1) | instskip(NEXT) | instid1(VALU_DEP_1)
	v_div_fmas_f32 v0, v0, v3, v7
	v_div_fixup_f32 v0, v0, v6, v5
	global_store_b32 v[1:2], v0, off
.LBB11_6:
	s_endpgm
	.section	.rodata,"a",@progbits
	.p2align	6, 0x0
	.amdhsa_kernel _ZL33flash_attn_stream_k_fixup_uniformILi80ELi32ELi2EEvPfPK15HIP_vector_typeIfLj2EEiiiiiiS1_IjLj3EES5_S5_
		.amdhsa_group_segment_fixed_size 0
		.amdhsa_private_segment_fixed_size 0
		.amdhsa_kernarg_size 76
		.amdhsa_user_sgpr_count 2
		.amdhsa_user_sgpr_dispatch_ptr 0
		.amdhsa_user_sgpr_queue_ptr 0
		.amdhsa_user_sgpr_kernarg_segment_ptr 1
		.amdhsa_user_sgpr_dispatch_id 0
		.amdhsa_user_sgpr_private_segment_size 0
		.amdhsa_wavefront_size32 1
		.amdhsa_uses_dynamic_stack 0
		.amdhsa_enable_private_segment 0
		.amdhsa_system_sgpr_workgroup_id_x 1
		.amdhsa_system_sgpr_workgroup_id_y 1
		.amdhsa_system_sgpr_workgroup_id_z 1
		.amdhsa_system_sgpr_workgroup_info 0
		.amdhsa_system_vgpr_workitem_id 0
		.amdhsa_next_free_vgpr 11
		.amdhsa_next_free_sgpr 16
		.amdhsa_reserve_vcc 1
		.amdhsa_float_round_mode_32 0
		.amdhsa_float_round_mode_16_64 0
		.amdhsa_float_denorm_mode_32 3
		.amdhsa_float_denorm_mode_16_64 3
		.amdhsa_fp16_overflow 0
		.amdhsa_workgroup_processor_mode 1
		.amdhsa_memory_ordered 1
		.amdhsa_forward_progress 1
		.amdhsa_inst_pref_size 9
		.amdhsa_round_robin_scheduling 0
		.amdhsa_exception_fp_ieee_invalid_op 0
		.amdhsa_exception_fp_denorm_src 0
		.amdhsa_exception_fp_ieee_div_zero 0
		.amdhsa_exception_fp_ieee_overflow 0
		.amdhsa_exception_fp_ieee_underflow 0
		.amdhsa_exception_fp_ieee_inexact 0
		.amdhsa_exception_int_div_zero 0
	.end_amdhsa_kernel
	.section	.text._ZL33flash_attn_stream_k_fixup_uniformILi80ELi32ELi2EEvPfPK15HIP_vector_typeIfLj2EEiiiiiiS1_IjLj3EES5_S5_,"axG",@progbits,_ZL33flash_attn_stream_k_fixup_uniformILi80ELi32ELi2EEvPfPK15HIP_vector_typeIfLj2EEiiiiiiS1_IjLj3EES5_S5_,comdat
.Lfunc_end11:
	.size	_ZL33flash_attn_stream_k_fixup_uniformILi80ELi32ELi2EEvPfPK15HIP_vector_typeIfLj2EEiiiiiiS1_IjLj3EES5_S5_, .Lfunc_end11-_ZL33flash_attn_stream_k_fixup_uniformILi80ELi32ELi2EEvPfPK15HIP_vector_typeIfLj2EEiiiiiiS1_IjLj3EES5_S5_
                                        ; -- End function
	.set _ZL33flash_attn_stream_k_fixup_uniformILi80ELi32ELi2EEvPfPK15HIP_vector_typeIfLj2EEiiiiiiS1_IjLj3EES5_S5_.num_vgpr, 11
	.set _ZL33flash_attn_stream_k_fixup_uniformILi80ELi32ELi2EEvPfPK15HIP_vector_typeIfLj2EEiiiiiiS1_IjLj3EES5_S5_.num_agpr, 0
	.set _ZL33flash_attn_stream_k_fixup_uniformILi80ELi32ELi2EEvPfPK15HIP_vector_typeIfLj2EEiiiiiiS1_IjLj3EES5_S5_.numbered_sgpr, 16
	.set _ZL33flash_attn_stream_k_fixup_uniformILi80ELi32ELi2EEvPfPK15HIP_vector_typeIfLj2EEiiiiiiS1_IjLj3EES5_S5_.num_named_barrier, 0
	.set _ZL33flash_attn_stream_k_fixup_uniformILi80ELi32ELi2EEvPfPK15HIP_vector_typeIfLj2EEiiiiiiS1_IjLj3EES5_S5_.private_seg_size, 0
	.set _ZL33flash_attn_stream_k_fixup_uniformILi80ELi32ELi2EEvPfPK15HIP_vector_typeIfLj2EEiiiiiiS1_IjLj3EES5_S5_.uses_vcc, 1
	.set _ZL33flash_attn_stream_k_fixup_uniformILi80ELi32ELi2EEvPfPK15HIP_vector_typeIfLj2EEiiiiiiS1_IjLj3EES5_S5_.uses_flat_scratch, 0
	.set _ZL33flash_attn_stream_k_fixup_uniformILi80ELi32ELi2EEvPfPK15HIP_vector_typeIfLj2EEiiiiiiS1_IjLj3EES5_S5_.has_dyn_sized_stack, 0
	.set _ZL33flash_attn_stream_k_fixup_uniformILi80ELi32ELi2EEvPfPK15HIP_vector_typeIfLj2EEiiiiiiS1_IjLj3EES5_S5_.has_recursion, 0
	.set _ZL33flash_attn_stream_k_fixup_uniformILi80ELi32ELi2EEvPfPK15HIP_vector_typeIfLj2EEiiiiiiS1_IjLj3EES5_S5_.has_indirect_call, 0
	.section	.AMDGPU.csdata,"",@progbits
; Kernel info:
; codeLenInByte = 1148
; TotalNumSgprs: 18
; NumVgprs: 11
; ScratchSize: 0
; MemoryBound: 0
; FloatMode: 240
; IeeeMode: 1
; LDSByteSize: 0 bytes/workgroup (compile time only)
; SGPRBlocks: 0
; VGPRBlocks: 1
; NumSGPRsForWavesPerEU: 18
; NumVGPRsForWavesPerEU: 11
; Occupancy: 16
; WaveLimiterHint : 0
; COMPUTE_PGM_RSRC2:SCRATCH_EN: 0
; COMPUTE_PGM_RSRC2:USER_SGPR: 2
; COMPUTE_PGM_RSRC2:TRAP_HANDLER: 0
; COMPUTE_PGM_RSRC2:TGID_X_EN: 1
; COMPUTE_PGM_RSRC2:TGID_Y_EN: 1
; COMPUTE_PGM_RSRC2:TGID_Z_EN: 1
; COMPUTE_PGM_RSRC2:TIDIG_COMP_CNT: 0
	.section	.text._ZL33flash_attn_stream_k_fixup_generalILi80ELi32ELi2EEvPfPK15HIP_vector_typeIfLj2EEiiiiS1_IjLj3EES5_S5_S5_,"axG",@progbits,_ZL33flash_attn_stream_k_fixup_generalILi80ELi32ELi2EEvPfPK15HIP_vector_typeIfLj2EEiiiiS1_IjLj3EES5_S5_S5_,comdat
	.globl	_ZL33flash_attn_stream_k_fixup_generalILi80ELi32ELi2EEvPfPK15HIP_vector_typeIfLj2EEiiiiS1_IjLj3EES5_S5_S5_ ; -- Begin function _ZL33flash_attn_stream_k_fixup_generalILi80ELi32ELi2EEvPfPK15HIP_vector_typeIfLj2EEiiiiS1_IjLj3EES5_S5_S5_
	.p2align	8
	.type	_ZL33flash_attn_stream_k_fixup_generalILi80ELi32ELi2EEvPfPK15HIP_vector_typeIfLj2EEiiiiS1_IjLj3EES5_S5_S5_,@function
_ZL33flash_attn_stream_k_fixup_generalILi80ELi32ELi2EEvPfPK15HIP_vector_typeIfLj2EEiiiiS1_IjLj3EES5_S5_S5_: ; @_ZL33flash_attn_stream_k_fixup_generalILi80ELi32ELi2EEvPfPK15HIP_vector_typeIfLj2EEiiiiS1_IjLj3EES5_S5_S5_
; %bb.0:
	s_clause 0x1
	s_load_b128 s[4:7], s[0:1], 0x10
	s_load_b32 s16, s[0:1], 0x50
	s_mov_b32 s2, ttmp9
	s_ashr_i32 s3, ttmp9, 31
	s_mov_b32 s17, 0
	s_delay_alu instid0(SALU_CYCLE_1) | instskip(SKIP_3) | instid1(SALU_CYCLE_1)
	s_mov_b32 s8, s17
	s_wait_kmcnt 0x0
	s_ashr_i32 s19, s7, 31
	s_mov_b32 s18, s7
	s_mul_u64 s[2:3], s[18:19], s[2:3]
	s_delay_alu instid0(SALU_CYCLE_1) | instskip(NEXT) | instid1(SALU_CYCLE_1)
	s_mov_b32 s9, s3
	s_cmp_lg_u64 s[8:9], 0
	s_cbranch_scc0 .LBB12_21
; %bb.1:
	s_add_nc_u64 s[8:9], s[16:17], 0
	s_mov_b32 s15, s17
	s_xor_b64 s[8:9], s[8:9], 0
	s_mov_b32 s23, s17
	s_cvt_f32_u32 s7, s8
	s_cvt_f32_u32 s10, s9
	s_sub_nc_u64 s[12:13], 0, s[8:9]
	s_delay_alu instid0(SALU_CYCLE_2) | instskip(NEXT) | instid1(SALU_CYCLE_3)
	s_fmamk_f32 s7, s10, 0x4f800000, s7
	v_s_rcp_f32 s7, s7
	s_delay_alu instid0(TRANS32_DEP_1) | instskip(SKIP_1) | instid1(SALU_CYCLE_2)
	s_mul_f32 s7, s7, 0x5f7ffffc
	s_wait_alu 0xfffe
	s_mul_f32 s10, s7, 0x2f800000
	s_delay_alu instid0(SALU_CYCLE_3) | instskip(NEXT) | instid1(SALU_CYCLE_3)
	s_trunc_f32 s10, s10
	s_fmamk_f32 s7, s10, 0xcf800000, s7
	s_cvt_u32_f32 s11, s10
	s_wait_alu 0xfffe
	s_delay_alu instid0(SALU_CYCLE_1) | instskip(NEXT) | instid1(SALU_CYCLE_3)
	s_cvt_u32_f32 s10, s7
	s_mul_u64 s[20:21], s[12:13], s[10:11]
	s_delay_alu instid0(SALU_CYCLE_1)
	s_mul_hi_u32 s25, s10, s21
	s_mul_i32 s24, s10, s21
	s_mul_hi_u32 s14, s10, s20
	s_mul_i32 s22, s11, s20
	s_add_nc_u64 s[14:15], s[14:15], s[24:25]
	s_mul_hi_u32 s7, s11, s20
	s_mul_hi_u32 s26, s11, s21
	s_add_co_u32 s14, s14, s22
	s_wait_alu 0xfffe
	s_add_co_ci_u32 s22, s15, s7
	s_mul_i32 s20, s11, s21
	s_add_co_ci_u32 s21, s26, 0
	s_delay_alu instid0(SALU_CYCLE_1)
	s_add_nc_u64 s[14:15], s[22:23], s[20:21]
	s_mov_b32 s21, s17
	s_add_co_u32 s10, s10, s14
	s_cselect_b32 s7, -1, 0
	s_wait_alu 0xfffe
	s_cmp_lg_u32 s7, 0
	s_add_co_ci_u32 s11, s11, s15
	s_mov_b32 s15, s17
	s_mul_u64 s[12:13], s[12:13], s[10:11]
	s_delay_alu instid0(SALU_CYCLE_1)
	s_mul_hi_u32 s23, s10, s13
	s_mul_i32 s22, s10, s13
	s_mul_hi_u32 s14, s10, s12
	s_mul_i32 s20, s11, s12
	s_add_nc_u64 s[14:15], s[14:15], s[22:23]
	s_mul_hi_u32 s7, s11, s12
	s_mul_hi_u32 s24, s11, s13
	s_mul_i32 s12, s11, s13
	s_add_co_u32 s13, s14, s20
	s_wait_alu 0xfffe
	s_add_co_ci_u32 s20, s15, s7
	s_add_co_ci_u32 s13, s24, 0
	s_mov_b32 s15, s17
	s_add_nc_u64 s[12:13], s[20:21], s[12:13]
	s_delay_alu instid0(SALU_CYCLE_1) | instskip(SKIP_1) | instid1(SALU_CYCLE_1)
	s_add_co_u32 s7, s10, s12
	s_cselect_b32 s10, -1, 0
	s_cmp_lg_u32 s10, 0
	s_add_co_ci_u32 s20, s11, s13
	s_ashr_i32 s10, s3, 31
	s_delay_alu instid0(SALU_CYCLE_1) | instskip(NEXT) | instid1(SALU_CYCLE_1)
	s_mov_b32 s11, s10
	s_add_nc_u64 s[12:13], s[2:3], s[10:11]
	s_delay_alu instid0(SALU_CYCLE_1) | instskip(NEXT) | instid1(SALU_CYCLE_1)
	s_xor_b64 s[12:13], s[12:13], s[10:11]
	s_mul_hi_u32 s23, s12, s20
	s_mul_i32 s22, s12, s20
	s_wait_alu 0xfffe
	s_mul_hi_u32 s14, s12, s7
	s_mul_hi_u32 s24, s13, s7
	s_mul_i32 s7, s13, s7
	s_add_nc_u64 s[14:15], s[14:15], s[22:23]
	s_mul_hi_u32 s3, s13, s20
	s_wait_alu 0xfffe
	s_add_co_u32 s7, s14, s7
	s_mul_i32 s22, s13, s20
	s_add_co_ci_u32 s20, s15, s24
	s_add_co_ci_u32 s23, s3, 0
	s_delay_alu instid0(SALU_CYCLE_1) | instskip(NEXT) | instid1(SALU_CYCLE_1)
	s_add_nc_u64 s[14:15], s[20:21], s[22:23]
	s_mul_u64 s[20:21], s[8:9], s[14:15]
	s_delay_alu instid0(SALU_CYCLE_1)
	s_sub_co_u32 s3, s12, s20
	s_cselect_b32 s7, -1, 0
	s_sub_co_i32 s12, s13, s21
	s_wait_alu 0xfffe
	s_cmp_lg_u32 s7, 0
	s_sub_co_ci_u32 s12, s12, s9
	s_sub_co_u32 s20, s3, s8
	s_cselect_b32 s22, -1, 0
	s_delay_alu instid0(SALU_CYCLE_1) | instskip(SKIP_2) | instid1(SALU_CYCLE_1)
	s_cmp_lg_u32 s22, 0
	s_add_nc_u64 s[22:23], s[14:15], 1
	s_sub_co_ci_u32 s12, s12, 0
	s_cmp_ge_u32 s12, s9
	s_cselect_b32 s24, -1, 0
	s_cmp_ge_u32 s20, s8
	s_cselect_b32 s20, -1, 0
	s_cmp_eq_u32 s12, s9
	s_cselect_b32 s12, s20, s24
	s_add_nc_u64 s[24:25], s[14:15], 2
	s_cmp_lg_u32 s12, 0
	s_cselect_b32 s12, s24, s22
	s_cselect_b32 s20, s25, s23
	s_cmp_lg_u32 s7, 0
	s_sub_co_ci_u32 s7, s13, s21
	s_wait_alu 0xfffe
	s_cmp_ge_u32 s7, s9
	s_cselect_b32 s13, -1, 0
	s_cmp_ge_u32 s3, s8
	s_cselect_b32 s3, -1, 0
	s_cmp_eq_u32 s7, s9
	s_cselect_b32 s3, s3, s13
	s_delay_alu instid0(SALU_CYCLE_1) | instskip(SKIP_4) | instid1(SALU_CYCLE_1)
	s_cmp_lg_u32 s3, 0
	s_mov_b32 s3, s17
	s_cselect_b32 s9, s20, s15
	s_cselect_b32 s8, s12, s14
	s_xor_b64 s[10:11], s[10:11], 0
	s_xor_b64 s[8:9], s[8:9], s[10:11]
	s_delay_alu instid0(SALU_CYCLE_1)
	s_sub_nc_u64 s[20:21], s[8:9], s[10:11]
	s_and_not1_b32 vcc_lo, exec_lo, s3
	s_cbranch_vccnz .LBB12_3
.LBB12_2:
	v_cvt_f32_u32_e32 v1, s16
	s_sub_co_i32 s7, 0, s16
	s_delay_alu instid0(VALU_DEP_1) | instskip(NEXT) | instid1(TRANS32_DEP_1)
	v_rcp_iflag_f32_e32 v1, v1
	v_mul_f32_e32 v1, 0x4f7ffffe, v1
	s_delay_alu instid0(VALU_DEP_1) | instskip(NEXT) | instid1(VALU_DEP_1)
	v_cvt_u32_f32_e32 v1, v1
	v_readfirstlane_b32 s3, v1
	s_wait_alu 0xfffe
	s_mul_i32 s7, s7, s3
	s_wait_alu 0xfffe
	s_mul_hi_u32 s7, s3, s7
	s_wait_alu 0xfffe
	s_add_co_i32 s3, s3, s7
	s_delay_alu instid0(SALU_CYCLE_1) | instskip(NEXT) | instid1(SALU_CYCLE_1)
	s_mul_hi_u32 s3, s2, s3
	s_mul_i32 s7, s3, s16
	s_wait_alu 0xfffe
	s_sub_co_i32 s2, s2, s7
	s_add_co_i32 s7, s3, 1
	s_sub_co_i32 s8, s2, s16
	s_cmp_ge_u32 s2, s16
	s_wait_alu 0xfffe
	s_cselect_b32 s3, s7, s3
	s_cselect_b32 s2, s8, s2
	s_add_co_i32 s7, s3, 1
	s_cmp_ge_u32 s2, s16
	s_wait_alu 0xfffe
	s_cselect_b32 s20, s7, s3
.LBB12_3:
	s_add_co_i32 s2, ttmp9, 1
	s_mov_b32 s8, 0
	s_ashr_i32 s3, s2, 31
	s_delay_alu instid0(SALU_CYCLE_1) | instskip(NEXT) | instid1(SALU_CYCLE_1)
	s_mul_u64 s[2:3], s[18:19], s[2:3]
	s_mov_b32 s9, s3
	s_delay_alu instid0(SALU_CYCLE_1)
	s_cmp_lg_u64 s[8:9], 0
	s_cbranch_scc0 .LBB12_22
; %bb.4:
	s_add_nc_u64 s[10:11], s[16:17], 0
	s_mov_b32 s23, s8
	s_xor_b64 s[10:11], s[10:11], 0
	s_mov_b32 s27, s8
	s_cvt_f32_u32 s7, s10
	s_cvt_f32_u32 s9, s11
	s_sub_nc_u64 s[14:15], 0, s[10:11]
	s_wait_alu 0xfffe
	s_delay_alu instid0(SALU_CYCLE_1) | instskip(SKIP_1) | instid1(SALU_CYCLE_2)
	s_fmamk_f32 s7, s9, 0x4f800000, s7
	s_wait_alu 0xfffe
	v_s_rcp_f32 s7, s7
	s_delay_alu instid0(TRANS32_DEP_1) | instskip(SKIP_1) | instid1(SALU_CYCLE_2)
	s_mul_f32 s7, s7, 0x5f7ffffc
	s_wait_alu 0xfffe
	s_mul_f32 s9, s7, 0x2f800000
	s_delay_alu instid0(SALU_CYCLE_3) | instskip(NEXT) | instid1(SALU_CYCLE_3)
	s_trunc_f32 s9, s9
	s_fmamk_f32 s7, s9, 0xcf800000, s7
	s_cvt_u32_f32 s13, s9
	s_wait_alu 0xfffe
	s_delay_alu instid0(SALU_CYCLE_1) | instskip(NEXT) | instid1(SALU_CYCLE_3)
	s_cvt_u32_f32 s12, s7
	s_mul_u64 s[24:25], s[14:15], s[12:13]
	s_delay_alu instid0(SALU_CYCLE_1)
	s_mul_hi_u32 s29, s12, s25
	s_mul_i32 s28, s12, s25
	s_mul_hi_u32 s22, s12, s24
	s_mul_i32 s9, s13, s24
	s_add_nc_u64 s[22:23], s[22:23], s[28:29]
	s_mul_hi_u32 s7, s13, s24
	s_mul_hi_u32 s21, s13, s25
	s_add_co_u32 s9, s22, s9
	s_wait_alu 0xfffe
	s_add_co_ci_u32 s26, s23, s7
	s_mul_i32 s24, s13, s25
	s_add_co_ci_u32 s25, s21, 0
	s_delay_alu instid0(SALU_CYCLE_1)
	s_add_nc_u64 s[22:23], s[26:27], s[24:25]
	s_mov_b32 s25, s8
	s_add_co_u32 s12, s12, s22
	s_cselect_b32 s7, -1, 0
	s_wait_alu 0xfffe
	s_cmp_lg_u32 s7, 0
	s_add_co_ci_u32 s13, s13, s23
	s_mov_b32 s23, s8
	s_mul_u64 s[14:15], s[14:15], s[12:13]
	s_delay_alu instid0(SALU_CYCLE_1)
	s_mul_hi_u32 s27, s12, s15
	s_mul_i32 s26, s12, s15
	s_mul_hi_u32 s22, s12, s14
	s_mul_i32 s9, s13, s14
	s_add_nc_u64 s[22:23], s[22:23], s[26:27]
	s_mul_hi_u32 s7, s13, s14
	s_mul_hi_u32 s21, s13, s15
	s_add_co_u32 s9, s22, s9
	s_wait_alu 0xfffe
	s_add_co_ci_u32 s24, s23, s7
	s_mul_i32 s14, s13, s15
	s_add_co_ci_u32 s15, s21, 0
	s_mov_b32 s23, s8
	s_add_nc_u64 s[14:15], s[24:25], s[14:15]
	s_delay_alu instid0(SALU_CYCLE_1) | instskip(SKIP_1) | instid1(SALU_CYCLE_1)
	s_add_co_u32 s7, s12, s14
	s_cselect_b32 s9, -1, 0
	s_cmp_lg_u32 s9, 0
	s_add_co_ci_u32 s9, s13, s15
	s_ashr_i32 s12, s3, 31
	s_delay_alu instid0(SALU_CYCLE_1) | instskip(NEXT) | instid1(SALU_CYCLE_1)
	s_mov_b32 s13, s12
	s_add_nc_u64 s[14:15], s[2:3], s[12:13]
	s_delay_alu instid0(SALU_CYCLE_1) | instskip(NEXT) | instid1(SALU_CYCLE_1)
	s_xor_b64 s[14:15], s[14:15], s[12:13]
	s_mul_hi_u32 s27, s14, s9
	s_mul_i32 s26, s14, s9
	s_wait_alu 0xfffe
	s_mul_hi_u32 s22, s14, s7
	s_mul_hi_u32 s21, s15, s7
	s_mul_i32 s7, s15, s7
	s_add_nc_u64 s[22:23], s[22:23], s[26:27]
	s_mul_hi_u32 s3, s15, s9
	s_wait_alu 0xfffe
	s_add_co_u32 s7, s22, s7
	s_add_co_ci_u32 s24, s23, s21
	s_mul_i32 s26, s15, s9
	s_add_co_ci_u32 s27, s3, 0
	s_delay_alu instid0(SALU_CYCLE_1) | instskip(NEXT) | instid1(SALU_CYCLE_1)
	s_add_nc_u64 s[22:23], s[24:25], s[26:27]
	s_mul_u64 s[24:25], s[10:11], s[22:23]
	s_add_nc_u64 s[26:27], s[22:23], 1
	s_sub_co_u32 s3, s14, s24
	s_cselect_b32 s7, -1, 0
	s_sub_co_i32 s9, s15, s25
	s_wait_alu 0xfffe
	s_cmp_lg_u32 s7, 0
	s_add_nc_u64 s[28:29], s[22:23], 2
	s_sub_co_ci_u32 s9, s9, s11
	s_sub_co_u32 s14, s3, s10
	s_cselect_b32 s21, -1, 0
	s_delay_alu instid0(SALU_CYCLE_1) | instskip(SKIP_1) | instid1(SALU_CYCLE_1)
	s_cmp_lg_u32 s21, 0
	s_sub_co_ci_u32 s9, s9, 0
	s_cmp_ge_u32 s9, s11
	s_cselect_b32 s21, -1, 0
	s_cmp_ge_u32 s14, s10
	s_cselect_b32 s14, -1, 0
	s_cmp_eq_u32 s9, s11
	s_cselect_b32 s9, s14, s21
	s_delay_alu instid0(SALU_CYCLE_1)
	s_cmp_lg_u32 s9, 0
	s_cselect_b32 s9, s28, s26
	s_cselect_b32 s14, s29, s27
	s_cmp_lg_u32 s7, 0
	s_sub_co_ci_u32 s7, s15, s25
	s_wait_alu 0xfffe
	s_cmp_ge_u32 s7, s11
	s_cselect_b32 s15, -1, 0
	s_cmp_ge_u32 s3, s10
	s_cselect_b32 s3, -1, 0
	s_cmp_eq_u32 s7, s11
	s_cselect_b32 s3, s3, s15
	s_delay_alu instid0(SALU_CYCLE_1) | instskip(SKIP_3) | instid1(SALU_CYCLE_1)
	s_cmp_lg_u32 s3, 0
	s_cselect_b32 s11, s14, s23
	s_cselect_b32 s10, s9, s22
	s_xor_b64 s[12:13], s[12:13], 0
	s_xor_b64 s[10:11], s[10:11], s[12:13]
	s_delay_alu instid0(SALU_CYCLE_1)
	s_sub_nc_u64 s[10:11], s[10:11], s[12:13]
	s_load_b96 s[12:14], s[0:1], 0x44
	s_and_not1_b32 vcc_lo, exec_lo, s8
	s_cbranch_vccnz .LBB12_6
.LBB12_5:
	v_cvt_f32_u32_e32 v1, s16
	s_sub_co_i32 s7, 0, s16
	s_delay_alu instid0(VALU_DEP_1) | instskip(NEXT) | instid1(TRANS32_DEP_1)
	v_rcp_iflag_f32_e32 v1, v1
	v_mul_f32_e32 v1, 0x4f7ffffe, v1
	s_delay_alu instid0(VALU_DEP_1) | instskip(NEXT) | instid1(VALU_DEP_1)
	v_cvt_u32_f32_e32 v1, v1
	v_readfirstlane_b32 s3, v1
	s_wait_alu 0xfffe
	s_mul_i32 s7, s7, s3
	s_wait_alu 0xfffe
	s_mul_hi_u32 s7, s3, s7
	s_wait_alu 0xfffe
	s_add_co_i32 s3, s3, s7
	s_delay_alu instid0(SALU_CYCLE_1) | instskip(NEXT) | instid1(SALU_CYCLE_1)
	s_mul_hi_u32 s3, s2, s3
	s_mul_i32 s7, s3, s16
	s_wait_alu 0xfffe
	s_sub_co_i32 s2, s2, s7
	s_add_co_i32 s7, s3, 1
	s_sub_co_i32 s8, s2, s16
	s_cmp_ge_u32 s2, s16
	s_wait_alu 0xfffe
	s_cselect_b32 s3, s7, s3
	s_cselect_b32 s2, s8, s2
	s_add_co_i32 s7, s3, 1
	s_cmp_ge_u32 s2, s16
	s_wait_alu 0xfffe
	s_cselect_b32 s10, s7, s3
.LBB12_6:
	s_mov_b32 s21, 0
	s_wait_kmcnt 0x0
	s_mov_b32 s22, s12
	s_mov_b32 s23, s21
	s_cmp_eq_u32 s20, s10
	s_mul_u64 s[2:3], s[20:21], s[22:23]
	s_cselect_b32 s7, -1, 0
	s_add_co_i32 s2, s3, s20
	s_mov_b32 s11, s21
	s_lshr_b32 s12, s2, s13
	s_mul_u64 s[2:3], s[10:11], s[22:23]
	s_mul_i32 s2, s12, s14
	s_delay_alu instid0(SALU_CYCLE_1) | instskip(SKIP_2) | instid1(SALU_CYCLE_1)
	s_cmp_eq_u32 s2, s20
	s_cselect_b32 s2, -1, 0
	s_add_co_i32 s3, s3, s10
	s_lshr_b32 s3, s3, s13
	s_delay_alu instid0(SALU_CYCLE_1)
	s_cmp_eq_u32 s12, s3
	s_mul_i32 s3, s3, s14
	s_cselect_b32 s8, -1, 0
	s_cmp_lg_u32 s3, s10
	s_cselect_b32 s3, -1, 0
	s_wait_alu 0xfffe
	s_or_b32 s2, s7, s2
	s_and_b32 s3, s8, s3
	s_delay_alu instid0(SALU_CYCLE_1) | instskip(NEXT) | instid1(SALU_CYCLE_1)
	s_or_b32 s2, s2, s3
	s_and_b32 vcc_lo, exec_lo, s2
	s_cbranch_vccnz .LBB12_24
; %bb.7:
	s_load_b256 s[24:31], s[0:1], 0x20
	s_mov_b32 s3, s21
	s_wait_kmcnt 0x0
	s_mov_b32 s2, s24
	s_delay_alu instid0(SALU_CYCLE_1) | instskip(NEXT) | instid1(SALU_CYCLE_1)
	s_mul_u64 s[2:3], s[20:21], s[2:3]
	s_add_co_i32 s2, s3, s20
	s_delay_alu instid0(SALU_CYCLE_1) | instskip(SKIP_2) | instid1(SALU_CYCLE_1)
	s_lshr_b32 s7, s2, s25
	s_load_b32 s2, s[0:1], 0x40
	s_mul_i32 s3, s7, s26
	s_sub_co_i32 s3, s20, s3
	s_delay_alu instid0(SALU_CYCLE_1) | instskip(NEXT) | instid1(SALU_CYCLE_1)
	s_mul_hi_u32 s8, s3, s27
	s_add_co_i32 s8, s3, s8
	s_delay_alu instid0(SALU_CYCLE_1) | instskip(NEXT) | instid1(SALU_CYCLE_1)
	s_lshr_b32 s15, s8, s28
	s_mul_i32 s8, s15, s29
	s_delay_alu instid0(SALU_CYCLE_1) | instskip(NEXT) | instid1(SALU_CYCLE_1)
	s_sub_co_i32 s8, s3, s8
	s_mul_hi_u32 s3, s8, s30
	s_delay_alu instid0(SALU_CYCLE_1) | instskip(NEXT) | instid1(SALU_CYCLE_1)
	s_add_co_i32 s3, s8, s3
	s_lshr_b32 s10, s3, s31
	s_mov_b32 s3, s21
	s_wait_kmcnt 0x0
	s_mul_i32 s2, s10, s2
	s_lshl_b32 s24, s10, 1
	s_sub_co_i32 s2, s8, s2
	s_delay_alu instid0(SALU_CYCLE_1) | instskip(SKIP_2) | instid1(SALU_CYCLE_1)
	s_mul_u64 s[8:9], s[2:3], s[22:23]
	s_lshr_b32 s3, ttmp7, 16
	s_add_co_i32 s2, s2, s9
	s_lshr_b32 s21, s2, s13
	s_and_b32 s2, ttmp7, 0xffff
	s_lshl_b32 s8, s21, 5
	s_delay_alu instid0(SALU_CYCLE_1) | instskip(NEXT) | instid1(SALU_CYCLE_1)
	s_add_co_i32 s8, s8, s2
	s_cmp_lt_i32 s8, s4
	s_cselect_b32 s8, -1, 0
	s_add_co_i32 s24, s24, s3
	s_delay_alu instid0(SALU_CYCLE_1) | instskip(SKIP_1) | instid1(SALU_CYCLE_1)
	s_cmp_lt_i32 s24, s6
	s_cselect_b32 s9, -1, 0
	s_and_b32 s8, s8, s9
	s_delay_alu instid0(SALU_CYCLE_1)
	s_and_not1_b32 vcc_lo, exec_lo, s8
	s_cbranch_vccnz .LBB12_24
; %bb.8:
	s_mul_i32 s4, s7, s4
	s_load_b128 s[8:11], s[0:1], 0x0
	s_add_co_i32 s0, s4, s2
	s_mul_i32 s15, s15, s6
	s_mul_i32 s0, s0, s5
	s_add_co_i32 s1, s24, s15
	s_mul_i32 s4, s5, s21
	s_add_co_i32 s0, s1, s0
	s_mulk_i32 s4, 0xa00
	s_mulk_i32 s0, 0x50
	s_lshl_b32 s15, s2, 1
	v_add3_u32 v1, s4, s0, v0
	s_add_nc_u64 s[0:1], s[16:17], 0
	s_add_co_i32 s15, s15, s3
	s_wait_alu 0xfffe
	s_xor_b64 s[6:7], s[0:1], 0
	s_lshl_b32 s0, ttmp9, 6
	v_ashrrev_i32_e32 v2, 31, v1
	s_wait_alu 0xfffe
	s_cvt_f32_u32 s1, s6
	s_cvt_f32_u32 s2, s7
	s_add_co_i32 s0, s15, s0
	v_cvt_f32_u32_e32 v3, s16
	v_lshlrev_b64_e32 v[1:2], 2, v[1:2]
	s_wait_alu 0xfffe
	s_fmamk_f32 s2, s2, 0x4f800000, s1
	s_ashr_i32 s1, s0, 31
	s_add_co_i32 s34, ttmp9, -1
	s_wait_alu 0xfffe
	s_lshl_b64 s[0:1], s[0:1], 3
	v_s_rcp_f32 s2, s2
	s_wait_kmcnt 0x0
	v_add_co_u32 v1, vcc_lo, s8, v1
	s_delay_alu instid0(VALU_DEP_1)
	v_add_co_ci_u32_e64 v2, null, s9, v2, vcc_lo
	s_wait_alu 0xfffe
	s_add_nc_u64 s[0:1], s[10:11], s[0:1]
	v_rcp_iflag_f32_e32 v3, v3
	s_load_b64 s[26:27], s[0:1], 0x0
	global_load_b32 v5, v[1:2], off
	s_mul_f32 s2, s2, 0x5f7ffffc
	s_mov_b32 s8, 0
	s_lshl_b32 s0, s16, 8
	s_wait_alu 0xfffe
	s_mov_b32 s1, s8
	s_mul_f32 s3, s2, 0x2f800000
	s_wait_alu 0xfffe
	s_lshl_b64 s[0:1], s[0:1], 2
	s_sub_nc_u64 s[30:31], 0, s[6:7]
	v_mul_f32_e32 v6, 0x4f7ffffe, v3
	s_trunc_f32 s3, s3
	s_wait_alu 0xfffe
	s_add_nc_u64 s[24:25], s[10:11], s[0:1]
	v_mad_co_u64_u32 v[3:4], null, 0x50, s15, v[0:1]
	s_fmamk_f32 s0, s3, 0xcf800000, s2
	v_cvt_u32_f32_e32 v0, v6
	s_cvt_u32_f32 s29, s3
	s_wait_alu 0xfffe
	s_cvt_u32_f32 s28, s0
	s_wait_kmcnt 0x0
	v_mov_b32_e32 v4, s27
.LBB12_9:                               ; =>This Inner Loop Header: Depth=1
	s_wait_alu 0xfffe
	s_ashr_i32 s35, s34, 31
	s_mov_b32 s2, -1
	s_wait_alu 0xfffe
	s_mul_u64 s[0:1], s[34:35], s[18:19]
                                        ; implicit-def: $sgpr38_sgpr39
	s_wait_alu 0xfffe
	s_mov_b32 s9, s1
	s_wait_alu 0xfffe
	s_cmp_lg_u64 s[8:9], 0
	s_cbranch_scc0 .LBB12_11
; %bb.10:                               ;   in Loop: Header=BB12_9 Depth=1
	s_mul_u64 s[2:3], s[30:31], s[28:29]
	s_mov_b32 s37, s8
	s_wait_alu 0xfffe
	s_mul_hi_u32 s5, s28, s3
	s_mul_i32 s4, s28, s3
	s_mul_hi_u32 s36, s28, s2
	s_mul_hi_u32 s9, s29, s2
	s_wait_alu 0xfffe
	s_add_nc_u64 s[4:5], s[36:37], s[4:5]
	s_mul_i32 s2, s29, s2
	s_mul_hi_u32 s17, s29, s3
	s_wait_alu 0xfffe
	s_add_co_u32 s2, s4, s2
	s_add_co_ci_u32 s2, s5, s9
	s_add_co_ci_u32 s5, s17, 0
	s_mul_i32 s4, s29, s3
	s_mov_b32 s3, s8
	s_mov_b32 s39, s8
	s_wait_alu 0xfffe
	s_add_nc_u64 s[2:3], s[2:3], s[4:5]
	s_wait_alu 0xfffe
	s_add_co_u32 s2, s28, s2
	s_cselect_b32 s4, -1, 0
	s_wait_alu 0xfffe
	s_cmp_lg_u32 s4, 0
	s_add_co_ci_u32 s3, s29, s3
	s_wait_alu 0xfffe
	s_mul_u64 s[4:5], s[30:31], s[2:3]
	s_wait_alu 0xfffe
	s_mul_hi_u32 s37, s2, s5
	s_mul_i32 s36, s2, s5
	s_mul_hi_u32 s38, s2, s4
	s_mul_hi_u32 s9, s3, s4
	s_mul_i32 s4, s3, s4
	s_wait_alu 0xfffe
	s_add_nc_u64 s[36:37], s[38:39], s[36:37]
	s_mul_hi_u32 s17, s3, s5
	s_wait_alu 0xfffe
	s_add_co_u32 s4, s36, s4
	s_add_co_ci_u32 s4, s37, s9
	s_add_co_ci_u32 s37, s17, 0
	s_mul_i32 s36, s3, s5
	s_mov_b32 s5, s8
	s_wait_alu 0xfffe
	s_add_nc_u64 s[4:5], s[4:5], s[36:37]
	s_mov_b32 s37, s8
	s_wait_alu 0xfffe
	s_add_co_u32 s9, s2, s4
	s_cselect_b32 s2, -1, 0
	s_wait_alu 0xfffe
	s_cmp_lg_u32 s2, 0
	s_add_co_ci_u32 s17, s3, s5
	s_ashr_i32 s2, s1, 31
	s_wait_alu 0xfffe
	s_mov_b32 s3, s2
	s_wait_alu 0xfffe
	s_add_nc_u64 s[4:5], s[0:1], s[2:3]
	s_wait_alu 0xfffe
	s_xor_b64 s[4:5], s[4:5], s[2:3]
	s_wait_alu 0xfffe
	s_mul_hi_u32 s39, s4, s17
	s_mul_i32 s38, s4, s17
	s_mul_hi_u32 s36, s4, s9
	s_mul_i32 s21, s5, s9
	s_wait_alu 0xfffe
	s_add_nc_u64 s[36:37], s[36:37], s[38:39]
	s_mul_hi_u32 s9, s5, s9
	s_mul_hi_u32 s1, s5, s17
	s_wait_alu 0xfffe
	s_add_co_u32 s21, s36, s21
	s_add_co_ci_u32 s36, s37, s9
	s_add_co_ci_u32 s39, s1, 0
	s_mul_i32 s38, s5, s17
	s_mov_b32 s37, s8
	s_wait_alu 0xfffe
	s_add_nc_u64 s[36:37], s[36:37], s[38:39]
	s_wait_alu 0xfffe
	s_mul_u64 s[38:39], s[6:7], s[36:37]
	s_add_nc_u64 s[40:41], s[36:37], 1
	s_sub_co_u32 s1, s4, s38
	s_cselect_b32 s4, -1, 0
	s_sub_co_i32 s9, s5, s39
	s_wait_alu 0xfffe
	s_cmp_lg_u32 s4, 0
	s_add_nc_u64 s[42:43], s[36:37], 2
	s_sub_co_ci_u32 s9, s9, s7
	s_sub_co_u32 s17, s1, s6
	s_cselect_b32 s21, -1, 0
	s_delay_alu instid0(SALU_CYCLE_1)
	s_cmp_lg_u32 s21, 0
	s_wait_alu 0xfffe
	s_sub_co_ci_u32 s9, s9, 0
	s_wait_alu 0xfffe
	s_cmp_ge_u32 s9, s7
	s_cselect_b32 s21, -1, 0
	s_cmp_ge_u32 s17, s6
	s_cselect_b32 s17, -1, 0
	s_cmp_eq_u32 s9, s7
	s_wait_alu 0xfffe
	s_cselect_b32 s9, s17, s21
	s_wait_alu 0xfffe
	s_cmp_lg_u32 s9, 0
	s_cselect_b32 s9, s42, s40
	s_cselect_b32 s17, s43, s41
	s_cmp_lg_u32 s4, 0
	s_sub_co_ci_u32 s4, s5, s39
	s_wait_alu 0xfffe
	s_cmp_ge_u32 s4, s7
	s_cselect_b32 s5, -1, 0
	s_cmp_ge_u32 s1, s6
	s_cselect_b32 s1, -1, 0
	s_cmp_eq_u32 s4, s7
	s_wait_alu 0xfffe
	s_cselect_b32 s1, s1, s5
	s_wait_alu 0xfffe
	s_cmp_lg_u32 s1, 0
	s_cselect_b32 s5, s17, s37
	s_cselect_b32 s4, s9, s36
	s_xor_b64 s[2:3], s[2:3], 0
	s_wait_alu 0xfffe
	s_xor_b64 s[4:5], s[4:5], s[2:3]
	s_wait_alu 0xfffe
	s_sub_nc_u64 s[38:39], s[4:5], s[2:3]
	s_mov_b32 s2, 0
.LBB12_11:                              ;   in Loop: Header=BB12_9 Depth=1
	s_wait_alu 0xfffe
	s_and_not1_b32 vcc_lo, exec_lo, s2
	s_wait_alu 0xfffe
	s_cbranch_vccnz .LBB12_13
; %bb.12:                               ;   in Loop: Header=BB12_9 Depth=1
	v_readfirstlane_b32 s1, v0
	s_sub_co_i32 s2, 0, s16
	s_wait_alu 0xfffe
	s_mul_i32 s2, s2, s1
	s_wait_alu 0xfffe
	s_mul_hi_u32 s2, s1, s2
	s_wait_alu 0xfffe
	s_add_co_i32 s1, s1, s2
	s_wait_alu 0xfffe
	s_mul_hi_u32 s1, s0, s1
	s_wait_alu 0xfffe
	s_mul_i32 s2, s1, s16
	s_wait_alu 0xfffe
	s_sub_co_i32 s0, s0, s2
	s_add_co_i32 s2, s1, 1
	s_wait_alu 0xfffe
	s_sub_co_i32 s3, s0, s16
	s_cmp_ge_u32 s0, s16
	s_cselect_b32 s1, s2, s1
	s_wait_alu 0xfffe
	s_cselect_b32 s0, s3, s0
	s_add_co_i32 s2, s1, 1
	s_wait_alu 0xfffe
	s_cmp_ge_u32 s0, s16
	s_cselect_b32 s38, s2, s1
.LBB12_13:                              ;   in Loop: Header=BB12_9 Depth=1
	v_readfirstlane_b32 s9, v0
	s_cmp_lg_u32 s20, s38
	s_mov_b32 s0, -1
                                        ; implicit-def: $sgpr21
                                        ; implicit-def: $vgpr6
                                        ; implicit-def: $vgpr7
                                        ; implicit-def: $sgpr17
                                        ; implicit-def: $sgpr27
	s_cbranch_scc1 .LBB12_16
; %bb.14:                               ;   in Loop: Header=BB12_9 Depth=1
	s_wait_alu 0xfffe
	s_and_not1_b32 vcc_lo, exec_lo, s0
	s_wait_alu 0xfffe
	s_cbranch_vccz .LBB12_19
.LBB12_15:                              ;   in Loop: Header=BB12_9 Depth=1
	s_and_not1_b32 vcc_lo, exec_lo, s21
	s_wait_alu 0xfffe
	s_cbranch_vccnz .LBB12_20
	s_branch .LBB12_23
.LBB12_16:                              ;   in Loop: Header=BB12_9 Depth=1
	s_add_co_i32 s0, s34, s16
	s_mov_b32 s1, s8
	s_wait_alu 0xfffe
	s_lshl_b32 s0, s0, 6
	v_max_num_f32_e64 v6, s26, s26
	s_wait_alu 0xfffe
	s_add_co_i32 s0, s0, s15
	s_mov_b32 s39, s8
	s_wait_alu 0xfffe
	s_lshl_b64 s[0:1], s[0:1], 3
	s_mul_u64 s[40:41], s[38:39], s[22:23]
	s_wait_alu 0xfffe
	s_add_nc_u64 s[0:1], s[10:11], s[0:1]
	s_mov_b32 s27, s20
	s_load_b64 s[36:37], s[0:1], 0x0
	v_readfirstlane_b32 s0, v6
	s_wait_kmcnt 0x0
	v_max_num_f32_e64 v7, s36, s36
	s_delay_alu instid0(VALU_DEP_1) | instskip(SKIP_2) | instid1(SALU_CYCLE_2)
	v_readfirstlane_b32 s1, v7
	s_max_num_f32 s9, s0, s1
	s_wait_alu 0xfffe
	s_sub_f32 s33, s26, s9
	s_sub_f32 s35, s36, s9
	s_wait_alu 0xfffe
	s_delay_alu instid0(SALU_CYCLE_1)
	s_cmp_nlt_f32 s33, 0xc2ce8ed0
	s_cselect_b32 s0, -1, 0
	s_cmp_ngt_f32 s33, 0x42b17218
	s_cselect_b32 s1, -1, 0
	s_cmp_ge_f32 s33, 0xc1a00000
	s_cselect_b32 s2, -1, 0
	s_cmp_nlt_f32 s35, 0xc2ce8ed0
	s_cselect_b32 s3, -1, 0
	s_cmp_ngt_f32 s35, 0x42b17218
	s_cselect_b32 s4, -1, 0
	s_cmp_ge_f32 s35, 0xc1a00000
	s_cselect_b32 s5, -1, 0
	s_add_co_i32 s17, s41, s38
	s_wait_alu 0xfffe
	s_lshr_b32 s17, s17, s13
	s_wait_alu 0xfffe
	s_mul_i32 s21, s17, s14
	s_delay_alu instid0(SALU_CYCLE_1)
	s_cmp_eq_u32 s21, s38
	s_cselect_b32 s21, -1, 0
	s_cmp_lt_u32 s17, s12
	s_cselect_b32 s17, -1, 0
	s_wait_alu 0xfffe
	s_or_b32 s17, s17, s21
	s_mov_b32 s21, -1
	s_wait_alu 0xfffe
	s_and_b32 vcc_lo, exec_lo, s17
	s_mov_b32 s17, s34
	s_wait_alu 0xfffe
	s_cbranch_vccnz .LBB12_18
; %bb.17:                               ;   in Loop: Header=BB12_9 Depth=1
	s_add_co_i32 s17, s34, -1
	s_mov_b32 s21, 0
	s_mov_b32 s27, s38
.LBB12_18:                              ;   in Loop: Header=BB12_9 Depth=1
	v_mad_co_u64_u32 v[6:7], null, 0x1400, s34, v[3:4]
	s_mul_f32 s36, s35, 0x3fb8aa3b
	s_mul_f32 s38, s33, 0x3fb8aa3b
	s_wait_alu 0xfffe
	s_delay_alu instid0(SALU_CYCLE_1)
	s_xor_b32 s39, s36, 0x80000000
	s_rndne_f32 s40, s36
	v_ashrrev_i32_e32 v7, 31, v6
	s_fmamk_f32 s39, s35, 0x3fb8aa3b, s39
	s_xor_b32 s41, s38, 0x80000000
	s_sub_f32 s36, s36, s40
	s_rndne_f32 s42, s38
	v_lshlrev_b64_e32 v[6:7], 2, v[6:7]
	s_fmamk_f32 s35, s35, 0x32a5705f, s39
	s_fmamk_f32 s39, s33, 0x3fb8aa3b, s41
	s_sub_f32 s38, s38, s42
	s_wait_alu 0xfffe
	s_add_f32 s35, s36, s35
	v_add_co_u32 v6, vcc_lo, s24, v6
	s_wait_alu 0xfffd
	v_add_co_ci_u32_e64 v7, null, s25, v7, vcc_lo
	s_fmamk_f32 s33, s33, 0x32a5705f, s39
	s_wait_alu 0xfffe
	v_s_exp_f32 s35, s35
	s_cvt_i32_f32 s36, s40
	global_load_b32 v6, v[6:7], off
	s_add_f32 s33, s38, s33
	s_wait_alu 0xfffe
	s_delay_alu instid0(SALU_CYCLE_2) | instskip(SKIP_2) | instid1(VALU_DEP_1)
	v_s_exp_f32 s33, s33
	v_ldexp_f32 v7, s35, s36
	s_cvt_i32_f32 s35, s42
	v_cndmask_b32_e64 v7, 0, v7, s3
	s_wait_alu 0xf1fe
	s_delay_alu instid0(TRANS32_DEP_1) | instid1(SALU_CYCLE_1)
	v_ldexp_f32 v8, s33, s35
	s_delay_alu instid0(VALU_DEP_2) | instskip(NEXT) | instid1(VALU_DEP_2)
	v_cndmask_b32_e64 v7, 0x7f800000, v7, s4
	v_cndmask_b32_e64 v8, 0, v8, s0
	s_delay_alu instid0(VALU_DEP_2) | instskip(NEXT) | instid1(VALU_DEP_2)
	v_cndmask_b32_e64 v7, 0, v7, s5
	v_cndmask_b32_e64 v8, 0x7f800000, v8, s1
	s_delay_alu instid0(VALU_DEP_1) | instskip(SKIP_1) | instid1(VALU_DEP_3)
	v_cndmask_b32_e64 v8, 0, v8, s2
	s_wait_loadcnt 0x0
	v_mul_f32_e32 v6, v6, v7
	v_mul_f32_e32 v7, s37, v7
	s_delay_alu instid0(VALU_DEP_1) | instskip(NEXT) | instid1(VALU_DEP_3)
	v_fmac_f32_e32 v7, v4, v8
	v_fmac_f32_e32 v6, v5, v8
	s_cbranch_execnz .LBB12_15
.LBB12_19:                              ;   in Loop: Header=BB12_9 Depth=1
	s_wait_loadcnt 0x0
	v_dual_mov_b32 v7, v4 :: v_dual_mov_b32 v6, v5
	s_add_co_i32 s17, s34, -1
	s_mov_b32 s27, s20
	s_mov_b32 s9, s26
	s_cbranch_execz .LBB12_23
.LBB12_20:                              ;   in Loop: Header=BB12_9 Depth=1
	s_wait_loadcnt 0x0
	v_dual_mov_b32 v4, v7 :: v_dual_mov_b32 v5, v6
	s_wait_alu 0xfffe
	s_mov_b32 s20, s27
	s_mov_b32 s34, s17
	;; [unrolled: 1-line block ×3, first 2 shown]
	s_branch .LBB12_9
.LBB12_21:
                                        ; implicit-def: $sgpr20_sgpr21
	s_branch .LBB12_2
.LBB12_22:
                                        ; implicit-def: $sgpr10_sgpr11
	s_load_b96 s[12:14], s[0:1], 0x44
	s_branch .LBB12_5
.LBB12_23:
	v_div_scale_f32 v0, null, v7, v7, v6
	s_delay_alu instid0(VALU_DEP_1) | instskip(NEXT) | instid1(TRANS32_DEP_1)
	v_rcp_f32_e32 v3, v0
	v_fma_f32 v4, -v0, v3, 1.0
	s_delay_alu instid0(VALU_DEP_1) | instskip(SKIP_2) | instid1(VALU_DEP_1)
	v_fmac_f32_e32 v3, v4, v3
	v_div_scale_f32 v4, vcc_lo, v6, v7, v6
	s_wait_loadcnt 0x0
	v_mul_f32_e32 v5, v4, v3
	s_delay_alu instid0(VALU_DEP_1) | instskip(NEXT) | instid1(VALU_DEP_1)
	v_fma_f32 v8, -v0, v5, v4
	v_fmac_f32_e32 v5, v8, v3
	s_delay_alu instid0(VALU_DEP_1) | instskip(SKIP_1) | instid1(VALU_DEP_1)
	v_fma_f32 v0, -v0, v5, v4
	s_wait_alu 0xfffd
	v_div_fmas_f32 v0, v0, v3, v5
	s_delay_alu instid0(VALU_DEP_1)
	v_div_fixup_f32 v0, v0, v7, v6
	global_store_b32 v[1:2], v0, off
.LBB12_24:
	s_endpgm
	.section	.rodata,"a",@progbits
	.p2align	6, 0x0
	.amdhsa_kernel _ZL33flash_attn_stream_k_fixup_generalILi80ELi32ELi2EEvPfPK15HIP_vector_typeIfLj2EEiiiiS1_IjLj3EES5_S5_S5_
		.amdhsa_group_segment_fixed_size 0
		.amdhsa_private_segment_fixed_size 0
		.amdhsa_kernarg_size 336
		.amdhsa_user_sgpr_count 2
		.amdhsa_user_sgpr_dispatch_ptr 0
		.amdhsa_user_sgpr_queue_ptr 0
		.amdhsa_user_sgpr_kernarg_segment_ptr 1
		.amdhsa_user_sgpr_dispatch_id 0
		.amdhsa_user_sgpr_private_segment_size 0
		.amdhsa_wavefront_size32 1
		.amdhsa_uses_dynamic_stack 0
		.amdhsa_enable_private_segment 0
		.amdhsa_system_sgpr_workgroup_id_x 1
		.amdhsa_system_sgpr_workgroup_id_y 1
		.amdhsa_system_sgpr_workgroup_id_z 1
		.amdhsa_system_sgpr_workgroup_info 0
		.amdhsa_system_vgpr_workitem_id 0
		.amdhsa_next_free_vgpr 9
		.amdhsa_next_free_sgpr 44
		.amdhsa_reserve_vcc 1
		.amdhsa_float_round_mode_32 0
		.amdhsa_float_round_mode_16_64 0
		.amdhsa_float_denorm_mode_32 3
		.amdhsa_float_denorm_mode_16_64 3
		.amdhsa_fp16_overflow 0
		.amdhsa_workgroup_processor_mode 1
		.amdhsa_memory_ordered 1
		.amdhsa_forward_progress 1
		.amdhsa_inst_pref_size 28
		.amdhsa_round_robin_scheduling 0
		.amdhsa_exception_fp_ieee_invalid_op 0
		.amdhsa_exception_fp_denorm_src 0
		.amdhsa_exception_fp_ieee_div_zero 0
		.amdhsa_exception_fp_ieee_overflow 0
		.amdhsa_exception_fp_ieee_underflow 0
		.amdhsa_exception_fp_ieee_inexact 0
		.amdhsa_exception_int_div_zero 0
	.end_amdhsa_kernel
	.section	.text._ZL33flash_attn_stream_k_fixup_generalILi80ELi32ELi2EEvPfPK15HIP_vector_typeIfLj2EEiiiiS1_IjLj3EES5_S5_S5_,"axG",@progbits,_ZL33flash_attn_stream_k_fixup_generalILi80ELi32ELi2EEvPfPK15HIP_vector_typeIfLj2EEiiiiS1_IjLj3EES5_S5_S5_,comdat
.Lfunc_end12:
	.size	_ZL33flash_attn_stream_k_fixup_generalILi80ELi32ELi2EEvPfPK15HIP_vector_typeIfLj2EEiiiiS1_IjLj3EES5_S5_S5_, .Lfunc_end12-_ZL33flash_attn_stream_k_fixup_generalILi80ELi32ELi2EEvPfPK15HIP_vector_typeIfLj2EEiiiiS1_IjLj3EES5_S5_S5_
                                        ; -- End function
	.set _ZL33flash_attn_stream_k_fixup_generalILi80ELi32ELi2EEvPfPK15HIP_vector_typeIfLj2EEiiiiS1_IjLj3EES5_S5_S5_.num_vgpr, 9
	.set _ZL33flash_attn_stream_k_fixup_generalILi80ELi32ELi2EEvPfPK15HIP_vector_typeIfLj2EEiiiiS1_IjLj3EES5_S5_S5_.num_agpr, 0
	.set _ZL33flash_attn_stream_k_fixup_generalILi80ELi32ELi2EEvPfPK15HIP_vector_typeIfLj2EEiiiiS1_IjLj3EES5_S5_S5_.numbered_sgpr, 44
	.set _ZL33flash_attn_stream_k_fixup_generalILi80ELi32ELi2EEvPfPK15HIP_vector_typeIfLj2EEiiiiS1_IjLj3EES5_S5_S5_.num_named_barrier, 0
	.set _ZL33flash_attn_stream_k_fixup_generalILi80ELi32ELi2EEvPfPK15HIP_vector_typeIfLj2EEiiiiS1_IjLj3EES5_S5_S5_.private_seg_size, 0
	.set _ZL33flash_attn_stream_k_fixup_generalILi80ELi32ELi2EEvPfPK15HIP_vector_typeIfLj2EEiiiiS1_IjLj3EES5_S5_S5_.uses_vcc, 1
	.set _ZL33flash_attn_stream_k_fixup_generalILi80ELi32ELi2EEvPfPK15HIP_vector_typeIfLj2EEiiiiS1_IjLj3EES5_S5_S5_.uses_flat_scratch, 0
	.set _ZL33flash_attn_stream_k_fixup_generalILi80ELi32ELi2EEvPfPK15HIP_vector_typeIfLj2EEiiiiS1_IjLj3EES5_S5_S5_.has_dyn_sized_stack, 0
	.set _ZL33flash_attn_stream_k_fixup_generalILi80ELi32ELi2EEvPfPK15HIP_vector_typeIfLj2EEiiiiS1_IjLj3EES5_S5_S5_.has_recursion, 0
	.set _ZL33flash_attn_stream_k_fixup_generalILi80ELi32ELi2EEvPfPK15HIP_vector_typeIfLj2EEiiiiS1_IjLj3EES5_S5_S5_.has_indirect_call, 0
	.section	.AMDGPU.csdata,"",@progbits
; Kernel info:
; codeLenInByte = 3540
; TotalNumSgprs: 46
; NumVgprs: 9
; ScratchSize: 0
; MemoryBound: 0
; FloatMode: 240
; IeeeMode: 1
; LDSByteSize: 0 bytes/workgroup (compile time only)
; SGPRBlocks: 0
; VGPRBlocks: 1
; NumSGPRsForWavesPerEU: 46
; NumVGPRsForWavesPerEU: 9
; Occupancy: 16
; WaveLimiterHint : 0
; COMPUTE_PGM_RSRC2:SCRATCH_EN: 0
; COMPUTE_PGM_RSRC2:USER_SGPR: 2
; COMPUTE_PGM_RSRC2:TRAP_HANDLER: 0
; COMPUTE_PGM_RSRC2:TGID_X_EN: 1
; COMPUTE_PGM_RSRC2:TGID_Y_EN: 1
; COMPUTE_PGM_RSRC2:TGID_Z_EN: 1
; COMPUTE_PGM_RSRC2:TIDIG_COMP_CNT: 0
	.section	.text._ZL26flash_attn_combine_resultsILi80EEvPKfPK15HIP_vector_typeIfLj2EEPfi,"axG",@progbits,_ZL26flash_attn_combine_resultsILi80EEvPKfPK15HIP_vector_typeIfLj2EEPfi,comdat
	.globl	_ZL26flash_attn_combine_resultsILi80EEvPKfPK15HIP_vector_typeIfLj2EEPfi ; -- Begin function _ZL26flash_attn_combine_resultsILi80EEvPKfPK15HIP_vector_typeIfLj2EEPfi
	.p2align	8
	.type	_ZL26flash_attn_combine_resultsILi80EEvPKfPK15HIP_vector_typeIfLj2EEPfi,@function
_ZL26flash_attn_combine_resultsILi80EEvPKfPK15HIP_vector_typeIfLj2EEPfi: ; @_ZL26flash_attn_combine_resultsILi80EEvPKfPK15HIP_vector_typeIfLj2EEPfi
; %bb.0:
	s_clause 0x2
	s_load_b64 s[2:3], s[0:1], 0x20
	s_load_b96 s[12:14], s[0:1], 0x10
	s_load_b128 s[8:11], s[0:1], 0x0
	s_lshr_b32 s0, ttmp7, 16
	v_lshlrev_b32_e32 v5, 2, v0
	s_mov_b32 s4, exec_lo
	s_wait_kmcnt 0x0
	s_mul_i32 s0, s2, s0
	s_and_b32 s2, ttmp7, 0xffff
	s_add_co_i32 s0, s0, ttmp9
	s_lshl_b32 s1, s14, 1
	s_mul_i32 s15, s0, s3
	s_delay_alu instid0(SALU_CYCLE_1) | instskip(NEXT) | instid1(SALU_CYCLE_1)
	s_add_co_i32 s15, s15, s2
	s_mul_i32 s2, s15, s14
	v_cmpx_gt_i32_e64 s1, v0
	s_cbranch_execz .LBB13_3
; %bb.1:
	s_ashr_i32 s3, s2, 31
	v_dual_mov_b32 v4, v0 :: v_dual_add_nc_u32 v3, 0, v5
	s_lshl_b64 s[6:7], s[2:3], 3
	s_mov_b32 s3, 0
	s_add_nc_u64 s[6:7], s[10:11], s[6:7]
	s_delay_alu instid0(SALU_CYCLE_1)
	v_add_co_u32 v1, s0, s6, v5
	s_wait_alu 0xf1ff
	v_add_co_ci_u32_e64 v2, null, s7, 0, s0
.LBB13_2:                               ; =>This Inner Loop Header: Depth=1
	global_load_b32 v6, v[1:2], off
	v_add_nc_u32_e32 v4, 0x50, v4
	v_add_co_u32 v1, vcc_lo, 0x140, v1
	s_wait_alu 0xfffd
	v_add_co_ci_u32_e64 v2, null, 0, v2, vcc_lo
	s_delay_alu instid0(VALU_DEP_3)
	v_cmp_le_i32_e64 s0, s1, v4
	s_or_b32 s3, s0, s3
	s_wait_loadcnt 0x0
	ds_store_b32 v3, v6
	v_add_nc_u32_e32 v3, 0x140, v3
	s_and_not1_b32 exec_lo, exec_lo, s3
	s_cbranch_execnz .LBB13_2
.LBB13_3:
	s_or_b32 exec_lo, exec_lo, s4
	v_mov_b32_e32 v1, 0
	s_wait_dscnt 0x0
	s_barrier_signal -1
	s_barrier_wait -1
	global_inv scope:SCOPE_SE
	ds_load_b32 v6, v1
	s_cmp_lt_i32 s14, 2
	s_cbranch_scc1 .LBB13_11
; %bb.4:
	s_add_co_i32 s1, s14, -2
	s_add_co_i32 s0, s14, -1
	s_wait_alu 0xfffe
	s_cmp_lt_u32 s1, 7
	s_cbranch_scc1 .LBB13_8
; %bb.5:
	s_mov_b32 s3, 0
	s_add_co_i32 s1, 0, 8
	s_and_b32 s4, s0, -8
.LBB13_6:                               ; =>This Inner Loop Header: Depth=1
	s_wait_alu 0xfffe
	v_mov_b32_e32 v9, s1
	s_mov_b32 s5, s3
	s_add_co_i32 s3, s3, 8
	s_add_co_i32 s1, s1, 64
	s_cmp_eq_u32 s4, s3
	ds_load_2addr_b32 v[1:2], v9 offset1:2
	ds_load_2addr_b32 v[3:4], v9 offset0:4 offset1:6
	ds_load_2addr_b32 v[7:8], v9 offset0:8 offset1:10
	;; [unrolled: 1-line block ×3, first 2 shown]
	s_wait_dscnt 0x3
	v_max3_num_f32 v1, v6, v1, v2
	s_wait_dscnt 0x2
	s_delay_alu instid0(VALU_DEP_1) | instskip(SKIP_1) | instid1(VALU_DEP_1)
	v_max3_num_f32 v1, v1, v3, v4
	s_wait_dscnt 0x1
	v_max3_num_f32 v1, v1, v7, v8
	s_wait_dscnt 0x0
	s_delay_alu instid0(VALU_DEP_1)
	v_max3_num_f32 v6, v1, v9, v10
	s_cbranch_scc0 .LBB13_6
; %bb.7:
	s_add_co_i32 s1, s5, 9
	s_and_b32 s0, s0, 7
	s_wait_alu 0xfffe
	s_cmp_eq_u32 s0, 0
	s_cbranch_scc0 .LBB13_9
	s_branch .LBB13_11
.LBB13_8:
	s_mov_b32 s1, 1
	s_and_b32 s0, s0, 7
	s_wait_alu 0xfffe
	s_cmp_eq_u32 s0, 0
	s_cbranch_scc1 .LBB13_11
.LBB13_9:
	s_lshl_b32 s1, s1, 3
	s_wait_alu 0xfffe
	s_add_co_i32 s1, s1, 0
.LBB13_10:                              ; =>This Inner Loop Header: Depth=1
	s_wait_dscnt 0x0
	s_wait_alu 0xfffe
	s_delay_alu instid0(VALU_DEP_1)
	v_dual_mov_b32 v1, s1 :: v_dual_max_num_f32 v2, v6, v6
	s_add_co_i32 s0, s0, -1
	s_add_co_i32 s1, s1, 8
	s_wait_alu 0xfffe
	s_cmp_lg_u32 s0, 0
	ds_load_b32 v1, v1
	s_wait_dscnt 0x0
	v_max_num_f32_e32 v1, v1, v1
	s_delay_alu instid0(VALU_DEP_1)
	v_max_num_f32_e32 v6, v2, v1
	s_cbranch_scc1 .LBB13_10
.LBB13_11:
	s_cmp_lt_i32 s14, 1
	s_cbranch_scc1 .LBB13_16
; %bb.12:
	s_mul_i32 s6, s2, 0x50
	s_wait_alu 0xfffe
	s_ashr_i32 s7, s6, 31
	s_cmp_lt_u32 s14, 8
	s_cbranch_scc1 .LBB13_17
; %bb.13:
	v_dual_mov_b32 v4, 0 :: v_dual_add_nc_u32 v1, 0x140, v0
	v_dual_mov_b32 v7, 0 :: v_dual_mov_b32 v8, 0
	s_wait_alu 0xfffe
	s_lshl_b64 s[0:1], s[6:7], 2
	s_and_b32 s16, s14, 0x7ffffff8
	s_wait_alu 0xfffe
	s_add_nc_u64 s[10:11], s[8:9], s[0:1]
	s_mov_b32 s17, 0
	s_mov_b32 s18, 0
.LBB13_14:                              ; =>This Inner Loop Header: Depth=1
	v_dual_mov_b32 v2, v4 :: v_dual_add_nc_u32 v3, 0xfffffec0, v1
	s_add_co_i32 s17, s17, 8
	s_delay_alu instid0(VALU_DEP_1) | instskip(SKIP_1) | instid1(VALU_DEP_3)
	v_lshlrev_b64_e32 v[9:10], 2, v[3:4]
	v_add_nc_u32_e32 v3, 0xffffff10, v1
	v_lshlrev_b64_e32 v[11:12], 2, v[1:2]
	s_delay_alu instid0(VALU_DEP_2) | instskip(NEXT) | instid1(VALU_DEP_4)
	v_lshlrev_b64_e32 v[13:14], 2, v[3:4]
	v_add_co_u32 v9, vcc_lo, s10, v9
	s_wait_alu 0xfffd
	v_add_co_ci_u32_e64 v10, null, s11, v10, vcc_lo
	v_add_nc_u32_e32 v3, 0xffffff60, v1
	v_add_co_u32 v11, vcc_lo, s10, v11
	global_load_b32 v25, v[9:10], off
	s_wait_alu 0xfffd
	v_add_co_ci_u32_e64 v12, null, s11, v12, vcc_lo
	v_add_co_u32 v13, vcc_lo, s10, v13
	v_lshlrev_b64_e32 v[15:16], 2, v[3:4]
	s_wait_alu 0xfffd
	v_add_co_ci_u32_e64 v14, null, s11, v14, vcc_lo
	global_load_b32 v29, v[11:12], off
	v_add_nc_u32_e32 v3, 0xffffffb0, v1
	global_load_b32 v26, v[13:14], off
	v_add_co_u32 v13, vcc_lo, s10, v15
	s_wait_alu 0xfffd
	v_add_co_ci_u32_e64 v14, null, s11, v16, vcc_lo
	v_lshlrev_b64_e32 v[9:10], 2, v[3:4]
	v_add_nc_u32_e32 v3, 0x50, v1
	global_load_b32 v27, v[13:14], off
	v_add_co_u32 v9, vcc_lo, s10, v9
	v_lshlrev_b64_e32 v[15:16], 2, v[3:4]
	v_add_nc_u32_e32 v3, 0xa0, v1
	s_wait_alu 0xfffd
	v_add_co_ci_u32_e64 v10, null, s11, v10, vcc_lo
	global_load_b32 v28, v[9:10], off
	v_lshlrev_b64_e32 v[13:14], 2, v[3:4]
	v_add_nc_u32_e32 v3, 0xf0, v1
	v_add_co_u32 v9, vcc_lo, s10, v15
	s_wait_alu 0xfffd
	v_add_co_ci_u32_e64 v10, null, s11, v16, vcc_lo
	s_delay_alu instid0(VALU_DEP_3)
	v_lshlrev_b64_e32 v[2:3], 2, v[3:4]
	v_add_nc_u32_e32 v1, 0x280, v1
	global_load_b32 v30, v[9:10], off
	v_add_co_u32 v9, vcc_lo, s10, v13
	s_wait_alu 0xfffd
	v_add_co_ci_u32_e64 v10, null, s11, v14, vcc_lo
	v_add_co_u32 v2, vcc_lo, s10, v2
	s_wait_alu 0xfffd
	v_add_co_ci_u32_e64 v3, null, s11, v3, vcc_lo
	s_clause 0x1
	global_load_b32 v31, v[9:10], off
	global_load_b32 v2, v[2:3], off
	s_wait_alu 0xfffe
	v_mov_b32_e32 v3, s18
	ds_load_2addr_b64 v[9:12], v3 offset1:1
	ds_load_2addr_b64 v[13:16], v3 offset0:2 offset1:3
	ds_load_2addr_b64 v[17:20], v3 offset0:4 offset1:5
	;; [unrolled: 1-line block ×3, first 2 shown]
	s_add_co_i32 s18, s18, 64
	s_cmp_eq_u32 s16, s17
	s_wait_dscnt 0x3
	v_sub_f32_e32 v3, v9, v6
	v_sub_f32_e32 v9, v11, v6
	s_wait_dscnt 0x2
	v_sub_f32_e32 v11, v13, v6
	v_sub_f32_e32 v13, v15, v6
	;; [unrolled: 3-line block ×3, first 2 shown]
	s_wait_dscnt 0x0
	v_sub_f32_e32 v19, v21, v6
	s_delay_alu instid0(VALU_DEP_2) | instskip(SKIP_1) | instid1(VALU_DEP_2)
	v_dual_sub_f32 v21, v23, v6 :: v_dual_mul_f32 v36, 0x3fb8aa3b, v17
	v_mul_f32_e32 v32, 0x3fb8aa3b, v9
	v_dual_mul_f32 v38, 0x3fb8aa3b, v21 :: v_dual_mul_f32 v33, 0x3fb8aa3b, v11
	v_cmp_ngt_f32_e32 vcc_lo, 0xc2ce8ed0, v11
	s_delay_alu instid0(VALU_DEP_4) | instskip(NEXT) | instid1(VALU_DEP_4)
	v_xor_b32_e32 v49, 0x80000000, v36
	v_xor_b32_e32 v41, 0x80000000, v32
	v_rndne_f32_e32 v42, v32
	v_xor_b32_e32 v43, 0x80000000, v33
	v_rndne_f32_e32 v44, v33
	v_rndne_f32_e32 v50, v36
	s_delay_alu instid0(VALU_DEP_4) | instskip(NEXT) | instid1(VALU_DEP_4)
	v_dual_fmac_f32 v41, 0x3fb8aa3b, v9 :: v_dual_sub_f32 v32, v32, v42
	v_fmac_f32_e32 v43, 0x3fb8aa3b, v11
	s_delay_alu instid0(VALU_DEP_4) | instskip(SKIP_1) | instid1(VALU_DEP_4)
	v_sub_f32_e32 v33, v33, v44
	v_cvt_i32_f32_e32 v42, v42
	v_fmac_f32_e32 v41, 0x32a5705f, v9
	v_cvt_i32_f32_e32 v44, v44
	v_fmac_f32_e32 v43, 0x32a5705f, v11
	v_dual_fmac_f32 v49, 0x3fb8aa3b, v17 :: v_dual_sub_f32 v36, v36, v50
	s_delay_alu instid0(VALU_DEP_4) | instskip(SKIP_1) | instid1(VALU_DEP_4)
	v_add_f32_e32 v32, v32, v41
	v_dual_mul_f32 v34, 0x3fb8aa3b, v13 :: v_dual_mul_f32 v23, 0x3fb8aa3b, v3
	v_add_f32_e32 v33, v33, v43
	v_cmp_ngt_f32_e64 s5, 0xc2ce8ed0, v3
	s_delay_alu instid0(VALU_DEP_4) | instskip(NEXT) | instid1(VALU_DEP_3)
	v_exp_f32_e32 v32, v32
	v_xor_b32_e32 v45, 0x80000000, v34
	v_xor_b32_e32 v39, 0x80000000, v23
	v_rndne_f32_e32 v40, v23
	v_rndne_f32_e32 v46, v34
	v_exp_f32_e32 v33, v33
	v_fmac_f32_e32 v45, 0x3fb8aa3b, v13
	v_fmac_f32_e32 v39, 0x3fb8aa3b, v3
	v_sub_f32_e32 v23, v23, v40
	v_cvt_i32_f32_e32 v40, v40
	s_delay_alu instid0(VALU_DEP_4) | instskip(NEXT) | instid1(VALU_DEP_4)
	v_dual_sub_f32 v34, v34, v46 :: v_dual_fmac_f32 v45, 0x32a5705f, v13
	v_fmac_f32_e32 v39, 0x32a5705f, v3
	v_ldexp_f32 v32, v32, v42
	v_cvt_i32_f32_e32 v46, v46
	s_delay_alu instid0(TRANS32_DEP_1) | instskip(NEXT) | instid1(VALU_DEP_4)
	v_ldexp_f32 v33, v33, v44
	v_dual_add_f32 v34, v34, v45 :: v_dual_add_f32 v23, v23, v39
	v_cmp_ngt_f32_e64 s0, 0xc2ce8ed0, v13
	v_fmac_f32_e32 v49, 0x32a5705f, v17
	v_xor_b32_e32 v53, 0x80000000, v38
	s_delay_alu instid0(VALU_DEP_4)
	v_exp_f32_e32 v34, v34
	v_exp_f32_e32 v23, v23
	v_cvt_i32_f32_e32 v50, v50
	v_add_f32_e32 v36, v36, v49
	v_cmp_ngt_f32_e64 s1, 0xc2ce8ed0, v15
	v_rndne_f32_e32 v54, v38
	v_cmp_ngt_f32_e64 s2, 0xc2ce8ed0, v17
	s_delay_alu instid0(VALU_DEP_4) | instskip(NEXT) | instid1(TRANS32_DEP_3)
	v_exp_f32_e32 v36, v36
	v_ldexp_f32 v34, v34, v46
	s_delay_alu instid0(TRANS32_DEP_2) | instskip(SKIP_3) | instid1(VALU_DEP_3)
	v_ldexp_f32 v23, v23, v40
	v_sub_f32_e32 v38, v38, v54
	v_cvt_i32_f32_e32 v54, v54
	s_wait_alu 0xf1ff
	v_cndmask_b32_e64 v23, 0, v23, s5
	v_cmp_ngt_f32_e64 s5, 0xc2ce8ed0, v9
	s_delay_alu instid0(TRANS32_DEP_1) | instskip(SKIP_1) | instid1(VALU_DEP_2)
	v_ldexp_f32 v36, v36, v50
	s_wait_alu 0xf1ff
	v_cndmask_b32_e64 v32, 0, v32, s5
	v_cmp_nlt_f32_e64 s5, 0x42b17218, v3
	s_wait_alu 0xf1ff
	s_delay_alu instid0(VALU_DEP_1)
	v_cndmask_b32_e64 v3, 0x7f800000, v23, s5
	s_wait_alu 0xfffd
	v_cndmask_b32_e32 v23, 0, v33, vcc_lo
	v_cmp_nlt_f32_e32 vcc_lo, 0x42b17218, v9
	s_wait_alu 0xfffd
	v_dual_fmac_f32 v8, v3, v10 :: v_dual_cndmask_b32 v9, 0x7f800000, v32
	v_cmp_nlt_f32_e32 vcc_lo, 0x42b17218, v11
	s_delay_alu instid0(VALU_DEP_2)
	v_fmac_f32_e32 v8, v9, v12
	s_wait_alu 0xfffd
	v_cndmask_b32_e32 v10, 0x7f800000, v23, vcc_lo
	v_cmp_nlt_f32_e32 vcc_lo, 0x42b17218, v13
	v_fmac_f32_e32 v53, 0x3fb8aa3b, v21
	v_cmp_ngt_f32_e64 s4, 0xc2ce8ed0, v21
	s_delay_alu instid0(VALU_DEP_2) | instskip(NEXT) | instid1(VALU_DEP_1)
	v_dual_fmac_f32 v8, v10, v14 :: v_dual_fmac_f32 v53, 0x32a5705f, v21
	v_add_f32_e32 v38, v38, v53
	v_cmp_ngt_f32_e64 s3, 0xc2ce8ed0, v19
	s_delay_alu instid0(VALU_DEP_2) | instskip(NEXT) | instid1(TRANS32_DEP_1)
	v_exp_f32_e32 v38, v38
	v_ldexp_f32 v38, v38, v54
	s_wait_loadcnt 0x7
	v_fmac_f32_e32 v7, v25, v3
	v_cndmask_b32_e64 v3, 0, v34, s0
	s_wait_alu 0xfffd
	s_delay_alu instid0(VALU_DEP_1) | instskip(SKIP_2) | instid1(VALU_DEP_2)
	v_cndmask_b32_e32 v3, 0x7f800000, v3, vcc_lo
	v_cmp_nlt_f32_e32 vcc_lo, 0x42b17218, v15
	s_wait_loadcnt 0x5
	v_dual_fmac_f32 v7, v26, v9 :: v_dual_fmac_f32 v8, v3, v16
	v_mul_f32_e32 v35, 0x3fb8aa3b, v15
	s_delay_alu instid0(VALU_DEP_1)
	v_xor_b32_e32 v47, 0x80000000, v35
	v_rndne_f32_e32 v48, v35
	s_wait_loadcnt 0x4
	v_fmac_f32_e32 v7, v27, v10
	v_cndmask_b32_e64 v10, 0, v36, s2
	v_fmac_f32_e32 v47, 0x3fb8aa3b, v15
	v_sub_f32_e32 v35, v35, v48
	v_cvt_i32_f32_e32 v48, v48
	s_delay_alu instid0(VALU_DEP_3) | instskip(SKIP_2) | instid1(VALU_DEP_2)
	v_fmac_f32_e32 v47, 0x32a5705f, v15
	s_wait_loadcnt 0x3
	v_fmac_f32_e32 v7, v28, v3
	v_add_f32_e32 v35, v35, v47
	s_delay_alu instid0(VALU_DEP_1) | instskip(NEXT) | instid1(TRANS32_DEP_1)
	v_exp_f32_e32 v35, v35
	v_ldexp_f32 v35, v35, v48
	s_delay_alu instid0(VALU_DEP_1) | instskip(SKIP_1) | instid1(VALU_DEP_1)
	v_cndmask_b32_e64 v9, 0, v35, s1
	s_wait_alu 0xfffd
	v_cndmask_b32_e32 v9, 0x7f800000, v9, vcc_lo
	v_cmp_nlt_f32_e32 vcc_lo, 0x42b17218, v17
	s_delay_alu instid0(VALU_DEP_2)
	v_fmac_f32_e32 v8, v9, v18
	s_wait_alu 0xfffd
	v_cndmask_b32_e32 v10, 0x7f800000, v10, vcc_lo
	v_mul_f32_e32 v37, 0x3fb8aa3b, v19
	v_fmac_f32_e32 v7, v29, v9
	v_cmp_nlt_f32_e32 vcc_lo, 0x42b17218, v19
	s_wait_alu 0xf1ff
	v_cndmask_b32_e64 v9, 0, v38, s4
	v_fmac_f32_e32 v8, v10, v20
	v_xor_b32_e32 v51, 0x80000000, v37
	v_rndne_f32_e32 v52, v37
	s_wait_loadcnt 0x2
	v_fmac_f32_e32 v7, v30, v10
	s_delay_alu instid0(VALU_DEP_3) | instskip(NEXT) | instid1(VALU_DEP_3)
	v_fmac_f32_e32 v51, 0x3fb8aa3b, v19
	v_sub_f32_e32 v37, v37, v52
	v_cvt_i32_f32_e32 v52, v52
	s_delay_alu instid0(VALU_DEP_3) | instskip(NEXT) | instid1(VALU_DEP_1)
	v_fmac_f32_e32 v51, 0x32a5705f, v19
	v_add_f32_e32 v37, v37, v51
	s_delay_alu instid0(VALU_DEP_1) | instskip(NEXT) | instid1(TRANS32_DEP_1)
	v_exp_f32_e32 v37, v37
	v_ldexp_f32 v37, v37, v52
	s_delay_alu instid0(VALU_DEP_1) | instskip(SKIP_1) | instid1(VALU_DEP_1)
	v_cndmask_b32_e64 v3, 0, v37, s3
	s_wait_alu 0xfffd
	v_cndmask_b32_e32 v3, 0x7f800000, v3, vcc_lo
	v_cmp_nlt_f32_e32 vcc_lo, 0x42b17218, v21
	s_wait_alu 0xfffd
	s_delay_alu instid0(VALU_DEP_2) | instskip(SKIP_1) | instid1(VALU_DEP_1)
	v_dual_fmac_f32 v8, v3, v22 :: v_dual_cndmask_b32 v9, 0x7f800000, v9
	s_wait_loadcnt 0x1
	v_dual_fmac_f32 v7, v31, v3 :: v_dual_fmac_f32 v8, v9, v24
	s_wait_loadcnt 0x0
	s_delay_alu instid0(VALU_DEP_1)
	v_fmac_f32_e32 v7, v2, v9
	s_cbranch_scc0 .LBB13_14
; %bb.15:
	s_and_b32 s1, s14, 7
	s_wait_alu 0xfffe
	s_cmp_eq_u32 s1, 0
	s_cbranch_scc0 .LBB13_18
	s_branch .LBB13_20
.LBB13_16:
	v_mov_b32_e32 v0, 0x7fc00000
	s_branch .LBB13_21
.LBB13_17:
	v_dual_mov_b32 v7, 0 :: v_dual_mov_b32 v8, 0
	s_mov_b32 s16, 0
	s_and_b32 s1, s14, 7
	s_wait_alu 0xfffe
	s_cmp_eq_u32 s1, 0
	s_cbranch_scc1 .LBB13_20
.LBB13_18:
	v_mad_co_u64_u32 v[0:1], null, 0x50, s16, v[0:1]
	v_mov_b32_e32 v1, 0
	s_lshl_b64 s[2:3], s[6:7], 2
	s_lshl_b32 s0, s16, 3
	s_wait_alu 0xfffe
	s_add_nc_u64 s[2:3], s[8:9], s[2:3]
	s_delay_alu instid0(VALU_DEP_2) | instskip(SKIP_1) | instid1(VALU_DEP_1)
	v_lshlrev_b64_e32 v[0:1], 2, v[0:1]
	s_wait_alu 0xfffe
	v_add_co_u32 v0, vcc_lo, s2, v0
	s_wait_alu 0xfffd
	s_delay_alu instid0(VALU_DEP_2)
	v_add_co_ci_u32_e64 v1, null, s3, v1, vcc_lo
	s_add_co_i32 s2, s0, 0
.LBB13_19:                              ; =>This Inner Loop Header: Depth=1
	global_load_b32 v4, v[0:1], off
	s_wait_alu 0xfffe
	v_mov_b32_e32 v2, s2
	s_add_co_i32 s1, s1, -1
	s_add_co_i32 s2, s2, 8
	s_wait_alu 0xfffe
	s_cmp_lg_u32 s1, 0
	ds_load_b64 v[2:3], v2
	s_wait_dscnt 0x0
	v_sub_f32_e32 v2, v2, v6
	s_delay_alu instid0(VALU_DEP_1) | instskip(SKIP_1) | instid1(VALU_DEP_2)
	v_mul_f32_e32 v9, 0x3fb8aa3b, v2
	v_cmp_ngt_f32_e32 vcc_lo, 0xc2ce8ed0, v2
	v_xor_b32_e32 v10, 0x80000000, v9
	v_rndne_f32_e32 v11, v9
	s_delay_alu instid0(VALU_DEP_1) | instskip(NEXT) | instid1(VALU_DEP_1)
	v_dual_fmac_f32 v10, 0x3fb8aa3b, v2 :: v_dual_sub_f32 v9, v9, v11
	v_fmac_f32_e32 v10, 0x32a5705f, v2
	s_delay_alu instid0(VALU_DEP_1) | instskip(SKIP_1) | instid1(VALU_DEP_2)
	v_add_f32_e32 v9, v9, v10
	v_cvt_i32_f32_e32 v10, v11
	v_exp_f32_e32 v9, v9
	s_delay_alu instid0(TRANS32_DEP_1) | instskip(SKIP_1) | instid1(VALU_DEP_1)
	v_ldexp_f32 v9, v9, v10
	s_wait_alu 0xfffd
	v_cndmask_b32_e32 v9, 0, v9, vcc_lo
	v_cmp_nlt_f32_e64 s0, 0x42b17218, v2
	v_add_co_u32 v0, vcc_lo, 0x140, v0
	s_wait_alu 0xfffd
	v_add_co_ci_u32_e64 v1, null, 0, v1, vcc_lo
	s_wait_alu 0xf1ff
	v_cndmask_b32_e64 v2, 0x7f800000, v9, s0
	s_wait_loadcnt 0x0
	s_delay_alu instid0(VALU_DEP_1)
	v_dual_fmac_f32 v8, v2, v3 :: v_dual_fmac_f32 v7, v4, v2
	s_cbranch_scc1 .LBB13_19
.LBB13_20:
	s_delay_alu instid0(VALU_DEP_1) | instskip(NEXT) | instid1(VALU_DEP_1)
	v_div_scale_f32 v0, null, v8, v8, v7
	v_rcp_f32_e32 v1, v0
	s_delay_alu instid0(TRANS32_DEP_1) | instskip(NEXT) | instid1(VALU_DEP_1)
	v_fma_f32 v2, -v0, v1, 1.0
	v_fmac_f32_e32 v1, v2, v1
	v_div_scale_f32 v2, vcc_lo, v7, v8, v7
	s_delay_alu instid0(VALU_DEP_1) | instskip(NEXT) | instid1(VALU_DEP_1)
	v_mul_f32_e32 v3, v2, v1
	v_fma_f32 v4, -v0, v3, v2
	s_delay_alu instid0(VALU_DEP_1) | instskip(NEXT) | instid1(VALU_DEP_1)
	v_fmac_f32_e32 v3, v4, v1
	v_fma_f32 v0, -v0, v3, v2
	s_wait_alu 0xfffd
	s_delay_alu instid0(VALU_DEP_1) | instskip(NEXT) | instid1(VALU_DEP_1)
	v_div_fmas_f32 v0, v0, v1, v3
	v_div_fixup_f32 v0, v0, v8, v7
.LBB13_21:
	s_mul_i32 s0, s15, 0x50
	s_wait_alu 0xfffe
	s_ashr_i32 s1, s0, 31
	s_wait_alu 0xfffe
	s_lshl_b64 s[0:1], s[0:1], 2
	s_wait_alu 0xfffe
	s_add_nc_u64 s[0:1], s[12:13], s[0:1]
	global_store_b32 v5, v0, s[0:1]
	s_endpgm
	.section	.rodata,"a",@progbits
	.p2align	6, 0x0
	.amdhsa_kernel _ZL26flash_attn_combine_resultsILi80EEvPKfPK15HIP_vector_typeIfLj2EEPfi
		.amdhsa_group_segment_fixed_size 0
		.amdhsa_private_segment_fixed_size 0
		.amdhsa_kernarg_size 288
		.amdhsa_user_sgpr_count 2
		.amdhsa_user_sgpr_dispatch_ptr 0
		.amdhsa_user_sgpr_queue_ptr 0
		.amdhsa_user_sgpr_kernarg_segment_ptr 1
		.amdhsa_user_sgpr_dispatch_id 0
		.amdhsa_user_sgpr_private_segment_size 0
		.amdhsa_wavefront_size32 1
		.amdhsa_uses_dynamic_stack 0
		.amdhsa_enable_private_segment 0
		.amdhsa_system_sgpr_workgroup_id_x 1
		.amdhsa_system_sgpr_workgroup_id_y 1
		.amdhsa_system_sgpr_workgroup_id_z 1
		.amdhsa_system_sgpr_workgroup_info 0
		.amdhsa_system_vgpr_workitem_id 0
		.amdhsa_next_free_vgpr 55
		.amdhsa_next_free_sgpr 19
		.amdhsa_reserve_vcc 1
		.amdhsa_float_round_mode_32 0
		.amdhsa_float_round_mode_16_64 0
		.amdhsa_float_denorm_mode_32 3
		.amdhsa_float_denorm_mode_16_64 3
		.amdhsa_fp16_overflow 0
		.amdhsa_workgroup_processor_mode 1
		.amdhsa_memory_ordered 1
		.amdhsa_forward_progress 1
		.amdhsa_inst_pref_size 21
		.amdhsa_round_robin_scheduling 0
		.amdhsa_exception_fp_ieee_invalid_op 0
		.amdhsa_exception_fp_denorm_src 0
		.amdhsa_exception_fp_ieee_div_zero 0
		.amdhsa_exception_fp_ieee_overflow 0
		.amdhsa_exception_fp_ieee_underflow 0
		.amdhsa_exception_fp_ieee_inexact 0
		.amdhsa_exception_int_div_zero 0
	.end_amdhsa_kernel
	.section	.text._ZL26flash_attn_combine_resultsILi80EEvPKfPK15HIP_vector_typeIfLj2EEPfi,"axG",@progbits,_ZL26flash_attn_combine_resultsILi80EEvPKfPK15HIP_vector_typeIfLj2EEPfi,comdat
.Lfunc_end13:
	.size	_ZL26flash_attn_combine_resultsILi80EEvPKfPK15HIP_vector_typeIfLj2EEPfi, .Lfunc_end13-_ZL26flash_attn_combine_resultsILi80EEvPKfPK15HIP_vector_typeIfLj2EEPfi
                                        ; -- End function
	.set _ZL26flash_attn_combine_resultsILi80EEvPKfPK15HIP_vector_typeIfLj2EEPfi.num_vgpr, 55
	.set _ZL26flash_attn_combine_resultsILi80EEvPKfPK15HIP_vector_typeIfLj2EEPfi.num_agpr, 0
	.set _ZL26flash_attn_combine_resultsILi80EEvPKfPK15HIP_vector_typeIfLj2EEPfi.numbered_sgpr, 19
	.set _ZL26flash_attn_combine_resultsILi80EEvPKfPK15HIP_vector_typeIfLj2EEPfi.num_named_barrier, 0
	.set _ZL26flash_attn_combine_resultsILi80EEvPKfPK15HIP_vector_typeIfLj2EEPfi.private_seg_size, 0
	.set _ZL26flash_attn_combine_resultsILi80EEvPKfPK15HIP_vector_typeIfLj2EEPfi.uses_vcc, 1
	.set _ZL26flash_attn_combine_resultsILi80EEvPKfPK15HIP_vector_typeIfLj2EEPfi.uses_flat_scratch, 0
	.set _ZL26flash_attn_combine_resultsILi80EEvPKfPK15HIP_vector_typeIfLj2EEPfi.has_dyn_sized_stack, 0
	.set _ZL26flash_attn_combine_resultsILi80EEvPKfPK15HIP_vector_typeIfLj2EEPfi.has_recursion, 0
	.set _ZL26flash_attn_combine_resultsILi80EEvPKfPK15HIP_vector_typeIfLj2EEPfi.has_indirect_call, 0
	.section	.AMDGPU.csdata,"",@progbits
; Kernel info:
; codeLenInByte = 2608
; TotalNumSgprs: 21
; NumVgprs: 55
; ScratchSize: 0
; MemoryBound: 0
; FloatMode: 240
; IeeeMode: 1
; LDSByteSize: 0 bytes/workgroup (compile time only)
; SGPRBlocks: 0
; VGPRBlocks: 6
; NumSGPRsForWavesPerEU: 21
; NumVGPRsForWavesPerEU: 55
; Occupancy: 16
; WaveLimiterHint : 0
; COMPUTE_PGM_RSRC2:SCRATCH_EN: 0
; COMPUTE_PGM_RSRC2:USER_SGPR: 2
; COMPUTE_PGM_RSRC2:TRAP_HANDLER: 0
; COMPUTE_PGM_RSRC2:TGID_X_EN: 1
; COMPUTE_PGM_RSRC2:TGID_Y_EN: 1
; COMPUTE_PGM_RSRC2:TGID_Z_EN: 1
; COMPUTE_PGM_RSRC2:TIDIG_COMP_CNT: 0
	.section	.text._ZL18flash_attn_ext_f16ILi96ELi96ELi32ELi2ELb0ELb0EEvPKcS1_S1_S1_S1_PKiPfP15HIP_vector_typeIfLj2EEffffjfiS5_IjLj3EEiiiiiiiiiiiliiliiiiil,"axG",@progbits,_ZL18flash_attn_ext_f16ILi96ELi96ELi32ELi2ELb0ELb0EEvPKcS1_S1_S1_S1_PKiPfP15HIP_vector_typeIfLj2EEffffjfiS5_IjLj3EEiiiiiiiiiiiliiliiiiil,comdat
	.globl	_ZL18flash_attn_ext_f16ILi96ELi96ELi32ELi2ELb0ELb0EEvPKcS1_S1_S1_S1_PKiPfP15HIP_vector_typeIfLj2EEffffjfiS5_IjLj3EEiiiiiiiiiiiliiliiiiil ; -- Begin function _ZL18flash_attn_ext_f16ILi96ELi96ELi32ELi2ELb0ELb0EEvPKcS1_S1_S1_S1_PKiPfP15HIP_vector_typeIfLj2EEffffjfiS5_IjLj3EEiiiiiiiiiiiliiliiiiil
	.p2align	8
	.type	_ZL18flash_attn_ext_f16ILi96ELi96ELi32ELi2ELb0ELb0EEvPKcS1_S1_S1_S1_PKiPfP15HIP_vector_typeIfLj2EEffffjfiS5_IjLj3EEiiiiiiiiiiiliiliiiiil,@function
_ZL18flash_attn_ext_f16ILi96ELi96ELi32ELi2ELb0ELb0EEvPKcS1_S1_S1_S1_PKiPfP15HIP_vector_typeIfLj2EEffffjfiS5_IjLj3EEiiiiiiiiiiiliiliiiiil: ; @_ZL18flash_attn_ext_f16ILi96ELi96ELi32ELi2ELb0ELb0EEvPKcS1_S1_S1_S1_PKiPfP15HIP_vector_typeIfLj2EEffffjfiS5_IjLj3EEiiiiiiiiiiiliiliiiiil
; %bb.0:
	s_mov_b64 s[10:11], s[0:1]
	s_clause 0x1
	s_load_b64 s[0:1], s[0:1], 0x80
	s_load_b128 s[24:27], s[10:11], 0x64
	s_mov_b32 s22, ttmp9
	s_mov_b32 s23, 0
                                        ; implicit-def: $vgpr255 : SGPR spill to VGPR lane
	s_mov_b64 s[64:65], s[10:11]
	s_wait_kmcnt 0x0
	s_abs_i32 s2, s1
	s_abs_i32 s5, s25
	s_cvt_f32_u32 s3, s2
	s_sub_co_i32 s4, 0, s2
	s_delay_alu instid0(SALU_CYCLE_2) | instskip(NEXT) | instid1(TRANS32_DEP_1)
	v_rcp_iflag_f32_e32 v1, s3
	v_readfirstlane_b32 s3, v1
	s_mul_f32 s3, s3, 0x4f7ffffe
	s_wait_alu 0xfffe
	s_delay_alu instid0(SALU_CYCLE_2) | instskip(SKIP_1) | instid1(SALU_CYCLE_2)
	s_cvt_u32_f32 s3, s3
	s_wait_alu 0xfffe
	s_mul_i32 s4, s4, s3
	s_delay_alu instid0(SALU_CYCLE_1) | instskip(NEXT) | instid1(SALU_CYCLE_1)
	s_mul_hi_u32 s4, s3, s4
	s_add_co_i32 s3, s3, s4
	s_xor_b32 s4, s25, s1
	s_wait_alu 0xfffe
	s_mul_hi_u32 s3, s5, s3
	s_ashr_i32 s4, s4, 31
	s_wait_alu 0xfffe
	s_mul_i32 s6, s3, s2
	s_delay_alu instid0(SALU_CYCLE_1)
	s_sub_co_i32 s5, s5, s6
	s_add_co_i32 s6, s3, 1
	s_sub_co_i32 s7, s5, s2
	s_cmp_ge_u32 s5, s2
	s_cselect_b32 s3, s6, s3
	s_cselect_b32 s5, s7, s5
	s_wait_alu 0xfffe
	s_add_co_i32 s6, s3, 1
	s_cmp_ge_u32 s5, s2
	s_cselect_b32 s2, s6, s3
	s_add_co_i32 s0, s0, 63
	s_wait_alu 0xfffe
	s_xor_b32 s2, s2, s4
	s_add_co_i32 s3, s24, 31
	s_ashr_i32 s5, s0, 31
	s_wait_alu 0xfffe
	s_sub_co_i32 s33, s2, s4
	s_lshr_b32 s6, s3, 5
	s_lshr_b32 s2, s5, 26
	s_add_co_i32 s3, s33, 1
	s_wait_alu 0xfffe
	s_add_co_i32 s0, s0, s2
	s_lshr_b32 s2, s3, 31
	s_ashr_i32 s98, s0, 6
	s_wait_alu 0xfffe
	s_add_co_i32 s3, s3, s2
	s_mul_i32 s95, s6, s98
	s_wait_alu 0xfffe
	s_ashr_i32 s0, s3, 1
	v_writelane_b32 v255, s6, 0
	s_mul_i32 s96, s95, s0
	s_mov_b32 s0, s23
	s_mul_i32 s97, s96, s1
	s_delay_alu instid0(SALU_CYCLE_1)
	s_mul_i32 s2, s97, s26
	s_wait_alu 0xfffe
	s_ashr_i32 s3, s2, 31
	s_wait_alu 0xfffe
	s_mul_u64 s[8:9], s[2:3], s[22:23]
	s_load_b32 s22, s[10:11], 0xd0
	s_mov_b32 s1, s9
	s_delay_alu instid0(SALU_CYCLE_1)
	s_cmp_lg_u64 s[0:1], 0
	s_wait_kmcnt 0x0
	s_add_nc_u64 s[4:5], s[22:23], 0
	s_cbranch_scc0 .LBB14_578
; %bb.1:
	s_xor_b64 s[10:11], s[4:5], 0
	s_mov_b32 s13, s23
	s_cvt_f32_u32 s0, s10
	s_cvt_f32_u32 s1, s11
	s_sub_nc_u64 s[6:7], 0, s[10:11]
	s_mov_b32 s17, s23
	s_delay_alu instid0(SALU_CYCLE_1) | instskip(NEXT) | instid1(SALU_CYCLE_3)
	s_fmamk_f32 s0, s1, 0x4f800000, s0
	v_s_rcp_f32 s0, s0
	s_delay_alu instid0(TRANS32_DEP_1) | instskip(SKIP_1) | instid1(SALU_CYCLE_2)
	s_mul_f32 s0, s0, 0x5f7ffffc
	s_wait_alu 0xfffe
	s_mul_f32 s1, s0, 0x2f800000
	s_wait_alu 0xfffe
	s_delay_alu instid0(SALU_CYCLE_2) | instskip(SKIP_1) | instid1(SALU_CYCLE_2)
	s_trunc_f32 s1, s1
	s_wait_alu 0xfffe
	s_fmamk_f32 s0, s1, 0xcf800000, s0
	s_cvt_u32_f32 s1, s1
	s_wait_alu 0xfffe
	s_delay_alu instid0(SALU_CYCLE_1) | instskip(SKIP_1) | instid1(SALU_CYCLE_2)
	s_cvt_u32_f32 s0, s0
	s_wait_alu 0xfffe
	s_mul_u64 s[14:15], s[6:7], s[0:1]
	s_delay_alu instid0(SALU_CYCLE_1)
	s_mul_hi_u32 s19, s0, s15
	s_mul_i32 s18, s0, s15
	s_mul_hi_u32 s12, s0, s14
	s_mul_i32 s20, s1, s14
	s_add_nc_u64 s[12:13], s[12:13], s[18:19]
	s_mul_hi_u32 s16, s1, s14
	s_mul_hi_u32 s21, s1, s15
	s_add_co_u32 s12, s12, s20
	s_add_co_ci_u32 s16, s13, s16
	s_mul_i32 s14, s1, s15
	s_add_co_ci_u32 s15, s21, 0
	s_delay_alu instid0(SALU_CYCLE_1) | instskip(SKIP_3) | instid1(SALU_CYCLE_1)
	s_add_nc_u64 s[12:13], s[16:17], s[14:15]
	s_mov_b32 s15, s23
	s_add_co_u32 s0, s0, s12
	s_cselect_b32 s12, -1, 0
	s_cmp_lg_u32 s12, 0
	s_add_co_ci_u32 s1, s1, s13
	s_mov_b32 s13, s23
	s_wait_alu 0xfffe
	s_mul_u64 s[6:7], s[6:7], s[0:1]
	s_wait_alu 0xfffe
	s_mul_hi_u32 s17, s0, s7
	s_mul_i32 s16, s0, s7
	s_mul_hi_u32 s12, s0, s6
	s_mul_i32 s18, s1, s6
	s_add_nc_u64 s[12:13], s[12:13], s[16:17]
	s_mul_hi_u32 s14, s1, s6
	s_mul_hi_u32 s19, s1, s7
	s_mul_i32 s6, s1, s7
	s_add_co_u32 s7, s12, s18
	s_add_co_ci_u32 s14, s13, s14
	s_add_co_ci_u32 s7, s19, 0
	s_mov_b32 s13, s23
	s_wait_alu 0xfffe
	s_add_nc_u64 s[6:7], s[14:15], s[6:7]
	s_wait_alu 0xfffe
	s_add_co_u32 s14, s0, s6
	s_cselect_b32 s0, -1, 0
	s_wait_alu 0xfffe
	s_cmp_lg_u32 s0, 0
	s_add_co_ci_u32 s18, s1, s7
	s_ashr_i32 s0, s9, 31
	s_wait_alu 0xfffe
	s_mov_b32 s1, s0
	s_wait_alu 0xfffe
	s_add_nc_u64 s[6:7], s[8:9], s[0:1]
	s_wait_alu 0xfffe
	s_xor_b64 s[6:7], s[6:7], s[0:1]
	s_wait_alu 0xfffe
	s_mul_hi_u32 s17, s6, s18
	s_mul_i32 s16, s6, s18
	s_mul_hi_u32 s12, s6, s14
	s_mul_hi_u32 s19, s7, s14
	s_mul_i32 s14, s7, s14
	s_add_nc_u64 s[12:13], s[12:13], s[16:17]
	s_mul_hi_u32 s9, s7, s18
	s_add_co_u32 s12, s12, s14
	s_add_co_ci_u32 s14, s13, s19
	s_mul_i32 s16, s7, s18
	s_add_co_ci_u32 s17, s9, 0
	s_delay_alu instid0(SALU_CYCLE_1) | instskip(NEXT) | instid1(SALU_CYCLE_1)
	s_add_nc_u64 s[12:13], s[14:15], s[16:17]
	s_mul_u64 s[14:15], s[10:11], s[12:13]
	s_delay_alu instid0(SALU_CYCLE_1)
	s_sub_co_u32 s6, s6, s14
	s_cselect_b32 s9, -1, 0
	s_sub_co_i32 s14, s7, s15
	s_cmp_lg_u32 s9, 0
	s_sub_co_ci_u32 s14, s14, s11
	s_wait_alu 0xfffe
	s_sub_co_u32 s16, s6, s10
	s_cselect_b32 s17, -1, 0
	s_delay_alu instid0(SALU_CYCLE_1) | instskip(SKIP_1) | instid1(SALU_CYCLE_1)
	s_cmp_lg_u32 s17, 0
	s_sub_co_ci_u32 s14, s14, 0
	s_cmp_ge_u32 s14, s11
	s_cselect_b32 s18, -1, 0
	s_cmp_ge_u32 s16, s10
	s_add_nc_u64 s[16:17], s[12:13], 1
	s_cselect_b32 s19, -1, 0
	s_cmp_eq_u32 s14, s11
	s_cselect_b32 s14, s19, s18
	s_add_nc_u64 s[18:19], s[12:13], 2
	s_cmp_lg_u32 s14, 0
	s_cselect_b32 s14, s18, s16
	s_cselect_b32 s16, s19, s17
	s_cmp_lg_u32 s9, 0
	s_sub_co_ci_u32 s7, s7, s15
	s_wait_alu 0xfffe
	s_cmp_ge_u32 s7, s11
	s_cselect_b32 s9, -1, 0
	s_cmp_ge_u32 s6, s10
	s_cselect_b32 s6, -1, 0
	s_cmp_eq_u32 s7, s11
	s_wait_alu 0xfffe
	s_cselect_b32 s6, s6, s9
	s_wait_alu 0xfffe
	s_cmp_lg_u32 s6, 0
	s_cselect_b32 s7, s16, s13
	s_cselect_b32 s6, s14, s12
	s_xor_b64 s[0:1], s[0:1], 0
	s_wait_alu 0xfffe
	s_xor_b64 s[6:7], s[6:7], s[0:1]
	s_wait_alu 0xfffe
	s_sub_nc_u64 s[48:49], s[6:7], s[0:1]
	s_load_b64 s[46:47], s[64:65], 0x74
	v_cvt_f32_u32_e32 v1, s22
	s_and_not1_b32 vcc_lo, exec_lo, s23
	s_cbranch_vccnz .LBB14_3
.LBB14_2:
	s_delay_alu instid0(VALU_DEP_1) | instskip(SKIP_1) | instid1(TRANS32_DEP_1)
	v_rcp_iflag_f32_e32 v2, v1
	s_sub_co_i32 s1, 0, s22
	v_mul_f32_e32 v2, 0x4f7ffffe, v2
	s_delay_alu instid0(VALU_DEP_1) | instskip(NEXT) | instid1(VALU_DEP_1)
	v_cvt_u32_f32_e32 v2, v2
	v_readfirstlane_b32 s0, v2
	s_wait_alu 0xfffe
	s_mul_i32 s1, s1, s0
	s_wait_alu 0xfffe
	s_mul_hi_u32 s1, s0, s1
	s_wait_alu 0xfffe
	s_add_co_i32 s0, s0, s1
	s_wait_alu 0xfffe
	s_mul_hi_u32 s0, s8, s0
	s_wait_alu 0xfffe
	s_mul_i32 s1, s0, s22
	s_add_co_i32 s6, s0, 1
	s_wait_alu 0xfffe
	s_sub_co_i32 s1, s8, s1
	s_wait_alu 0xfffe
	s_sub_co_i32 s7, s1, s22
	s_cmp_ge_u32 s1, s22
	s_cselect_b32 s0, s6, s0
	s_wait_alu 0xfffe
	s_cselect_b32 s1, s7, s1
	s_add_co_i32 s6, s0, 1
	s_wait_alu 0xfffe
	s_cmp_ge_u32 s1, s22
	s_cselect_b32 s48, s6, s0
.LBB14_3:
	s_add_co_i32 s8, ttmp9, 1
	s_mov_b32 s9, 0
	s_delay_alu instid0(SALU_CYCLE_1)
	s_mul_u64 s[2:3], s[2:3], s[8:9]
	s_mov_b32 s0, s9
	s_wait_alu 0xfffe
	s_mov_b32 s1, s3
	s_wait_alu 0xfffe
	s_cmp_lg_u64 s[0:1], 0
	s_cbranch_scc0 .LBB14_579
; %bb.4:
	s_xor_b64 s[4:5], s[4:5], 0
	s_delay_alu instid0(SALU_CYCLE_1) | instskip(SKIP_3) | instid1(SALU_CYCLE_1)
	s_cvt_f32_u32 s0, s4
	s_cvt_f32_u32 s1, s5
	s_sub_nc_u64 s[6:7], 0, s[4:5]
	s_wait_alu 0xfffe
	s_fmamk_f32 s0, s1, 0x4f800000, s0
	s_wait_alu 0xfffe
	s_delay_alu instid0(SALU_CYCLE_2) | instskip(NEXT) | instid1(TRANS32_DEP_1)
	v_s_rcp_f32 s0, s0
	s_mul_f32 s0, s0, 0x5f7ffffc
	s_wait_alu 0xfffe
	s_delay_alu instid0(SALU_CYCLE_2) | instskip(SKIP_1) | instid1(SALU_CYCLE_2)
	s_mul_f32 s1, s0, 0x2f800000
	s_wait_alu 0xfffe
	s_trunc_f32 s1, s1
	s_wait_alu 0xfffe
	s_delay_alu instid0(SALU_CYCLE_2) | instskip(SKIP_2) | instid1(SALU_CYCLE_1)
	s_fmamk_f32 s0, s1, 0xcf800000, s0
	s_cvt_u32_f32 s1, s1
	s_wait_alu 0xfffe
	s_cvt_u32_f32 s0, s0
	s_wait_alu 0xfffe
	s_delay_alu instid0(SALU_CYCLE_2) | instskip(NEXT) | instid1(SALU_CYCLE_1)
	s_mul_u64 s[10:11], s[6:7], s[0:1]
	s_mul_hi_u32 s13, s0, s11
	s_mul_i32 s12, s0, s11
	s_mul_hi_u32 s8, s0, s10
	s_mul_i32 s15, s1, s10
	s_add_nc_u64 s[12:13], s[8:9], s[12:13]
	s_mul_hi_u32 s14, s1, s10
	s_mul_hi_u32 s16, s1, s11
	s_add_co_u32 s8, s12, s15
	s_add_co_ci_u32 s8, s13, s14
	s_mul_i32 s10, s1, s11
	s_add_co_ci_u32 s11, s16, 0
	s_delay_alu instid0(SALU_CYCLE_1) | instskip(NEXT) | instid1(SALU_CYCLE_1)
	s_add_nc_u64 s[10:11], s[8:9], s[10:11]
	s_add_co_u32 s0, s0, s10
	s_cselect_b32 s8, -1, 0
	s_delay_alu instid0(SALU_CYCLE_1)
	s_cmp_lg_u32 s8, 0
	s_add_co_ci_u32 s1, s1, s11
	s_wait_alu 0xfffe
	s_mul_u64 s[6:7], s[6:7], s[0:1]
	s_wait_alu 0xfffe
	s_mul_hi_u32 s11, s0, s7
	s_mul_i32 s10, s0, s7
	s_mul_hi_u32 s8, s0, s6
	s_mul_i32 s13, s1, s6
	s_add_nc_u64 s[10:11], s[8:9], s[10:11]
	s_mul_hi_u32 s12, s1, s6
	s_mul_hi_u32 s14, s1, s7
	s_mul_i32 s6, s1, s7
	s_add_co_u32 s7, s10, s13
	s_add_co_ci_u32 s8, s11, s12
	s_add_co_ci_u32 s7, s14, 0
	s_wait_alu 0xfffe
	s_add_nc_u64 s[6:7], s[8:9], s[6:7]
	s_wait_alu 0xfffe
	s_add_co_u32 s12, s0, s6
	s_cselect_b32 s0, -1, 0
	s_wait_alu 0xfffe
	s_cmp_lg_u32 s0, 0
	s_add_co_ci_u32 s13, s1, s7
	s_ashr_i32 s0, s3, 31
	s_wait_alu 0xfffe
	s_mov_b32 s1, s0
	s_wait_alu 0xfffe
	s_add_nc_u64 s[6:7], s[2:3], s[0:1]
	s_wait_alu 0xfffe
	s_xor_b64 s[6:7], s[6:7], s[0:1]
	s_wait_alu 0xfffe
	s_mul_hi_u32 s11, s6, s13
	s_mul_i32 s10, s6, s13
	s_mul_hi_u32 s8, s6, s12
	s_mul_i32 s15, s7, s12
	s_add_nc_u64 s[10:11], s[8:9], s[10:11]
	s_mul_hi_u32 s14, s7, s12
	s_mul_hi_u32 s3, s7, s13
	s_add_co_u32 s8, s10, s15
	s_add_co_ci_u32 s8, s11, s14
	s_mul_i32 s12, s7, s13
	s_wait_alu 0xfffe
	s_add_co_ci_u32 s13, s3, 0
	s_delay_alu instid0(SALU_CYCLE_1) | instskip(NEXT) | instid1(SALU_CYCLE_1)
	s_add_nc_u64 s[10:11], s[8:9], s[12:13]
	s_mul_u64 s[12:13], s[4:5], s[10:11]
	s_delay_alu instid0(SALU_CYCLE_1)
	s_sub_co_u32 s3, s6, s12
	s_cselect_b32 s6, -1, 0
	s_sub_co_i32 s8, s7, s13
	s_wait_alu 0xfffe
	s_cmp_lg_u32 s6, 0
	s_sub_co_ci_u32 s8, s8, s5
	s_sub_co_u32 s12, s3, s4
	s_cselect_b32 s14, -1, 0
	s_delay_alu instid0(SALU_CYCLE_1) | instskip(SKIP_2) | instid1(SALU_CYCLE_1)
	s_cmp_lg_u32 s14, 0
	s_add_nc_u64 s[14:15], s[10:11], 1
	s_sub_co_ci_u32 s8, s8, 0
	s_cmp_ge_u32 s8, s5
	s_cselect_b32 s16, -1, 0
	s_cmp_ge_u32 s12, s4
	s_cselect_b32 s12, -1, 0
	s_cmp_eq_u32 s8, s5
	s_cselect_b32 s8, s12, s16
	s_add_nc_u64 s[16:17], s[10:11], 2
	s_cmp_lg_u32 s8, 0
	s_cselect_b32 s8, s16, s14
	s_cselect_b32 s12, s17, s15
	s_cmp_lg_u32 s6, 0
	s_sub_co_ci_u32 s6, s7, s13
	s_wait_alu 0xfffe
	s_cmp_ge_u32 s6, s5
	s_cselect_b32 s7, -1, 0
	s_cmp_ge_u32 s3, s4
	s_cselect_b32 s3, -1, 0
	s_cmp_eq_u32 s6, s5
	s_wait_alu 0xfffe
	s_cselect_b32 s3, s3, s7
	s_wait_alu 0xfffe
	s_cmp_lg_u32 s3, 0
	s_cselect_b32 s5, s12, s11
	s_cselect_b32 s4, s8, s10
	s_xor_b64 s[0:1], s[0:1], 0
	s_wait_alu 0xfffe
	s_xor_b64 s[4:5], s[4:5], s[0:1]
	s_delay_alu instid0(SALU_CYCLE_1)
	s_sub_nc_u64 s[54:55], s[4:5], s[0:1]
	s_load_b64 s[36:37], s[64:65], 0x5c
	s_and_not1_b32 vcc_lo, exec_lo, s9
	s_cbranch_vccnz .LBB14_6
.LBB14_5:
	v_rcp_iflag_f32_e32 v1, v1
	s_sub_co_i32 s1, 0, s22
	s_delay_alu instid0(TRANS32_DEP_1) | instskip(NEXT) | instid1(VALU_DEP_1)
	v_mul_f32_e32 v1, 0x4f7ffffe, v1
	v_cvt_u32_f32_e32 v1, v1
	s_delay_alu instid0(VALU_DEP_1)
	v_readfirstlane_b32 s0, v1
	s_wait_alu 0xfffe
	s_mul_i32 s1, s1, s0
	s_wait_alu 0xfffe
	s_mul_hi_u32 s1, s0, s1
	s_wait_alu 0xfffe
	s_add_co_i32 s0, s0, s1
	s_wait_alu 0xfffe
	s_mul_hi_u32 s0, s2, s0
	s_wait_alu 0xfffe
	s_mul_i32 s1, s0, s22
	s_wait_alu 0xfffe
	s_sub_co_i32 s1, s2, s1
	s_add_co_i32 s2, s0, 1
	s_wait_alu 0xfffe
	s_sub_co_i32 s3, s1, s22
	s_cmp_ge_u32 s1, s22
	s_cselect_b32 s0, s2, s0
	s_wait_alu 0xfffe
	s_cselect_b32 s1, s3, s1
	s_add_co_i32 s2, s0, 1
	s_wait_alu 0xfffe
	s_cmp_ge_u32 s1, s22
	s_cselect_b32 s54, s2, s0
.LBB14_6:
	v_writelane_b32 v255, s22, 1
	s_abs_i32 s55, s98
	s_ashr_i32 s7, s27, 3
	s_cvt_f32_u32 s0, s55
	s_sub_co_i32 s4, 0, s55
	v_writelane_b32 v255, s23, 2
	s_clause 0x4
	s_load_b512 s[8:23], s[64:65], 0x0
	s_load_b32 s1, s[64:65], 0x40
	s_load_b64 s[34:35], s[64:65], 0x8c
	s_load_b128 s[28:31], s[64:65], 0x98
	s_load_b64 s[2:3], s[64:65], 0xa8
	v_rcp_iflag_f32_e32 v1, s0
	s_wait_kmcnt 0x0
	s_ashr_i32 s44, s46, 3
	v_bfe_u32 v231, v0, 10, 10
	v_and_b32_e32 v232, 0x3ff, v0
	v_bfe_u32 v131, v0, 10, 1
	v_lshrrev_b32_e32 v153, 10, v0
	s_mov_b32 s57, 0
	v_add_nc_u32_e32 v130, 4, v231
	v_add_nc_u32_e32 v129, 8, v231
	;; [unrolled: 1-line block ×3, first 2 shown]
	v_readfirstlane_b32 s0, v1
	v_add_nc_u32_e32 v233, 16, v231
	v_add_nc_u32_e32 v127, 20, v231
	;; [unrolled: 1-line block ×4, first 2 shown]
	s_mul_f32 s0, s0, 0x4f7ffffe
	s_cvt_f16_f32 s1, s1
	s_mov_b32 s5, s35
	s_ashr_i32 s26, s34, 2
	v_writelane_b32 v255, s2, 3
	s_wait_alu 0xfffe
	s_cvt_u32_f32 s0, s0
	s_ashr_i32 s34, s30, 2
	v_add_nc_u32_e32 v227, 32, v231
	v_add_nc_u32_e32 v144, 36, v231
	v_writelane_b32 v255, s3, 4
	s_clause 0x1
	s_load_b64 s[42:43], s[64:65], 0xb8
	s_load_b64 s[2:3], s[64:65], 0xc8
	s_mul_i32 s4, s4, s0
	v_add_nc_u32_e32 v143, 40, v231
	s_mul_hi_u32 s4, s0, s4
	v_add_nc_u32_e32 v135, 44, v231
	s_add_co_i32 s52, s0, s4
	v_add_nc_u32_e32 v230, 48, v231
	v_add_nc_u32_e32 v134, 52, v231
	;; [unrolled: 1-line block ×3, first 2 shown]
	v_dual_mov_b32 v1, v232 :: v_dual_add_nc_u32 v132, 60, v231
	s_mov_b32 s53, s57
	s_clause 0x2
	scratch_store_b32 off, v231, off offset:20
	scratch_store_b64 off, v[1:2], off offset:24
	scratch_store_b32 off, v233, off offset:32
	s_wait_kmcnt 0x0
	s_ashr_i32 s38, s43, 1
	v_writelane_b32 v255, s2, 5
	v_writelane_b32 v255, s3, 6
	s_ashr_i32 s3, s98, 31
	s_ashr_i32 s2, s48, 31
	s_wait_alu 0xfffe
	v_writelane_b32 v255, s3, 7
	s_abs_i32 s3, s48
	s_wait_alu 0xfffe
	s_mul_hi_u32 s0, s3, s52
	s_wait_alu 0xfffe
	s_mul_i32 s0, s0, s55
	v_writelane_b32 v255, s4, 8
	s_wait_alu 0xfffe
	s_sub_co_i32 s0, s3, s0
	s_wait_alu 0xfffe
	s_sub_co_i32 s3, s0, s55
	s_cmp_ge_u32 s0, s55
	v_writelane_b32 v255, s5, 9
	s_wait_alu 0xfffe
	s_cselect_b32 s0, s3, s0
	s_wait_alu 0xfffe
	s_sub_co_i32 s3, s0, s55
	s_cmp_ge_u32 s0, s55
	v_writelane_b32 v255, s44, 10
	s_wait_alu 0xfffe
	s_cselect_b32 s0, s3, s0
	s_sub_co_i32 s3, s54, s48
	s_wait_alu 0xfffe
	s_xor_b32 s0, s0, s2
	s_wait_alu 0xfffe
	s_sub_co_i32 s94, s0, s2
	v_writelane_b32 v255, s42, 11
	s_add_co_i32 s3, s3, s94
	s_wait_alu 0xfffe
	s_min_i32 s49, s98, s3
	s_cmp_gt_i32 s54, s48
	v_writelane_b32 v255, s43, 12
	s_cselect_b32 s0, -1, 0
	s_cmp_le_i32 s54, s48
	s_cselect_b32 s2, -1, 0
	s_cmp_gt_i32 s98, s3
	v_writelane_b32 v255, s1, 13
	s_cselect_b32 s3, -1, 0
	s_wait_alu 0xfffe
	s_or_b32 s2, s3, s2
	s_wait_alu 0xfffe
	s_and_b32 vcc_lo, exec_lo, s2
	s_cbranch_vccnz .LBB14_477
; %bb.7:
	v_dual_mov_b32 v196, 0 :: v_dual_lshlrev_b32 v139, 2, v232
	v_bfe_u32 v14, v0, 2, 8
	v_bfe_u32 v1, v0, 3, 7
	v_lshlrev_b32_e32 v33, 4, v231
	s_delay_alu instid0(VALU_DEP_4)
	v_and_b32_e32 v30, 12, v139
	v_lshlrev_b32_e32 v25, 1, v231
	v_lshl_add_u32 v10, v231, 3, v14
	v_bfe_u32 v26, v0, 4, 6
	v_lshl_add_u32 v12, v231, 2, v1
	v_and_b32_e32 v32, 28, v139
	v_and_or_b32 v17, v0, 14, v33
	v_mul_u32_u24_e32 v29, 0xd0, v10
	v_lshlrev_b32_e32 v39, 2, v30
	v_add_nc_u32_e32 v28, v25, v26
	v_mul_u32_u24_e32 v31, 0xd0, v12
	v_lshrrev_b32_e32 v16, 1, v0
	v_lshrrev_b32_e32 v35, 1, v17
	v_or_b32_e32 v36, 12, v232
	v_add3_u32 v29, 0, v29, v39
	v_lshlrev_b32_e32 v39, 2, v32
	v_and_b32_e32 v34, 56, v16
	v_mad_u32_u24 v35, 0x90, v35, 0
	v_and_b32_e32 v36, 0x7c, v36
	v_and_b32_e32 v154, 15, v0
	v_add3_u32 v147, 0, v31, v39
	v_add_nc_u32_e32 v31, 40, v28
	v_add_nc_u16 v25, v25, v26
	s_cmp_eq_u64 s[16:17], 0
	v_lshl_add_u32 v148, v34, 1, v35
	v_add_nc_u32_e32 v149, v35, v36
	v_lshrrev_b32_e32 v167, 1, v31
	v_add_nc_u32_e32 v31, 56, v28
	v_or_b32_e32 v35, v33, v232
	s_cselect_b32 s0, -1, 0
	s_cmp_lg_u64 s[18:19], 0
	v_lshlrev_b32_e32 v37, 1, v14
	v_lshrrev_b16 v25, 1, v25
	v_mad_u32_u24 v42, 0xd0, v28, 0
	v_add_nc_u32_e32 v26, 8, v28
	v_bfe_u32 v202, v232, 4, 1
	v_lshlrev_b32_e32 v27, 2, v154
	s_wait_alu 0xfffe
	v_writelane_b32 v255, s0, 14
	s_cselect_b32 s0, -1, 0
	s_wait_alu 0xfffe
	s_lshl_b32 s56, ttmp9, 6
	v_lshrrev_b32_e32 v169, 1, v31
	v_lshlrev_b32_e32 v31, 3, v35
	s_lshl_b64 s[4:5], s[56:57], 3
	v_add_nc_u32_e32 v141, 0, v27
	v_or_b32_e32 v40, 7, v37
	v_and_b32_e32 v159, 0xffff, v25
	v_add_nc_u32_e32 v25, v42, v27
	v_lshrrev_b32_e32 v160, 1, v26
	v_add_nc_u32_e32 v26, 24, v28
	v_or_b32_e32 v33, v33, v154
	s_wait_alu 0xfffe
	s_add_nc_u64 s[40:41], s[22:23], s[4:5]
	v_or_b32_e32 v38, 6, v37
	v_add_co_u32 v39, s30, s40, v31
	v_and_b32_e32 v37, 56, v37
	v_mul_u32_u24_e32 v157, 0xd0, v40
	v_add_nc_u32_e32 v145, 0x80, v29
	v_add_nc_u32_e32 v146, 0x1a80, v29
	v_mad_u32_u24 v152, 0xd0, v40, v141
	v_mul_u32_u24_e32 v155, 0xd0, v28
	v_add_nc_u32_e32 v29, 32, v28
	v_lshrrev_b32_e32 v162, 1, v26
	v_add_nc_u32_e32 v26, 48, v28
	v_bfe_u32 v36, v0, 10, 4
	v_mul_u32_u24_e32 v33, 0xd0, v33
	v_lshlrev_b32_e32 v34, 2, v34
	v_add_co_ci_u32_e64 v40, null, s41, 0, s30
	scratch_store_b32 off, v25, off offset:8 ; 4-byte Folded Spill
	v_add_nc_u32_e32 v25, 16, v28
	v_and_b32_e32 v28, 15, v28
	s_abs_i32 s102, s96
	v_mad_u32_u24 v150, 0xd0, v37, v141
	v_and_or_b32 v37, 0xf0, v233, v36
	v_lshrrev_b32_e32 v161, 1, v25
	v_add3_u32 v221, 0, v33, v34
	v_and_or_b32 v34, 0xf0, v230, v36
	v_and_or_b32 v25, 0x3f0, v25, v28
	s_cvt_f32_u32 s40, s102
	v_mul_u32_u24_e32 v156, 0xd0, v38
	v_mad_u32_u24 v151, 0xd0, v38, v141
	v_add_nc_u32_e32 v43, 0x680, v42
	v_lshrrev_b32_e32 v163, 1, v29
	v_lshrrev_b32_e32 v168, 1, v26
	v_and_or_b32 v38, 0xf0, v227, v36
	scratch_store_b64 off, v[39:40], off offset:380 ; 8-byte Folded Spill
	v_mul_u32_u24_e32 v31, 0xd0, v37
	s_abs_i32 s101, s97
	s_wait_alu 0xfffe
	v_rcp_iflag_f32_e32 v39, s40
	v_mul_u32_u24_e32 v40, 0xd0, v34
	v_and_or_b32 v29, 0x3f0, v29, v28
	v_and_or_b32 v26, 0x3f0, v26, v28
	v_mul_u32_u24_e32 v28, 0xd0, v25
	v_mad_u32_u24 v37, 0xd0, v37, 0
	v_mad_u32_u24 v34, 0xd0, v34, 0
	v_mad_u32_u24 v25, 0xd0, v25, 0
	v_mul_lo_u32 v15, s34, v10
	s_cvt_f32_u32 s30, s101
	s_abs_i32 s103, s95
	s_clause 0x3
	scratch_store_b32 off, v34, off offset:616
	scratch_store_b32 off, v43, off offset:496
	;; [unrolled: 1-line block ×4, first 2 shown]
	v_mad_u32_u24 v37, 0xd0, v38, 0
	v_add_nc_u32_e32 v34, 0x1380, v42
	v_add_nc_u32_e32 v25, v25, v27
	s_wait_alu 0xfffe
	v_rcp_iflag_f32_e32 v36, s30
	s_cvt_f32_u32 s30, s103
	v_ashrrev_i32_e32 v16, 31, v15
	v_readfirstlane_b32 s41, v39
	v_mul_u32_u24_e32 v39, 0xd0, v29
	s_wait_alu 0xfffe
	v_rcp_iflag_f32_e32 v41, s30
	scratch_store_b32 off, v37, off offset:596 ; 4-byte Folded Spill
	v_mad_u32_u24 v29, 0xd0, v29, 0
	s_clause 0x2
	scratch_store_b32 off, v25, off offset:512
	scratch_store_b32 off, v42, off offset:388
	scratch_store_b32 off, v34, off offset:520
	v_add_nc_u32_e32 v34, v34, v27
	s_abs_i32 s104, s42
	v_lshlrev_b64_e32 v[122:123], 2, v[15:16]
	v_add_nc_u32_e32 v37, 0x2080, v42
	s_clause 0x1
	scratch_store_b32 off, v34, off offset:524
	scratch_store_b32 off, v29, off offset:544
	v_add_nc_u32_e32 v29, v29, v27
	s_cvt_f32_u32 s30, s104
	v_lshl_add_u32 v19, s34, 5, v15
	v_readfirstlane_b32 s40, v36
	s_clause 0x1
	scratch_store_b32 off, v29, off offset:548
	scratch_store_b32 off, v37, off offset:552
	s_wait_alu 0xfffe
	v_rcp_iflag_f32_e32 v36, s30
	v_readfirstlane_b32 s30, v41
	v_mul_u32_u24_e32 v41, 0xd0, v26
	v_mad_u32_u24 v26, 0xd0, v26, 0
	v_add_nc_u32_e32 v29, v37, v27
	v_add_co_u32 v15, vcc_lo, s12, v122
	s_clause 0x1
	scratch_store_b32 off, v29, off offset:556
	scratch_store_b32 off, v26, off offset:568
	v_add_nc_u32_e32 v26, v26, v27
	v_add_co_ci_u32_e64 v16, null, s13, v123, vcc_lo
	v_add_co_u32 v15, vcc_lo, 0x80, v15
	v_add_nc_u32_e32 v25, 0x2d80, v42
	v_mul_lo_u32 v1, s26, v10
	v_ashrrev_i32_e32 v20, 31, v19
	s_clause 0x2
	scratch_store_b32 off, v26, off offset:572
	scratch_store_b32 off, v25, off offset:580
	;; [unrolled: 1-line block ×3, first 2 shown]
	s_wait_alu 0xfffd
	v_add_co_ci_u32_e64 v15, null, 0, v16, vcc_lo
	v_mul_u32_u24_e32 v2, 0xd0, v154
	v_and_b32_e32 v4, 0x70, v0
	v_lshlrev_b64_e32 v[199:200], 2, v[19:20]
	v_add_nc_u32_e32 v25, v25, v27
	scratch_store_b32 off, v15, off offset:396 ; 4-byte Folded Spill
	v_and_b32_e32 v15, 1, v0
	v_lshl_add_u32 v5, s26, 5, v1
	v_add3_u32 v142, 0, v2, v4
	v_ashrrev_i32_e32 v2, 31, v1
	s_clause 0x1
	scratch_store_b32 off, v25, off offset:584
	scratch_store_b32 off, v15, off offset:12
	v_add_co_u32 v15, vcc_lo, s12, v199
	v_ashrrev_i32_e32 v6, 31, v5
	v_lshlrev_b64_e32 v[136:137], 2, v[1:2]
	v_and_b32_e32 v25, 3, v0
	s_wait_alu 0xfffd
	v_add_co_ci_u32_e64 v16, null, s13, v200, vcc_lo
	v_and_b32_e32 v0, 7, v0
	v_add_co_u32 v15, vcc_lo, 0x80, v15
	v_lshlrev_b64_e32 v[93:94], 2, v[5:6]
	v_add_nc_u32_e32 v193, 0, v139
	s_delay_alu instid0(VALU_DEP_4)
	v_lshlrev_b32_e32 v188, 4, v0
	scratch_store_b32 off, v15, off offset:400 ; 4-byte Folded Spill
	s_wait_alu 0xfffd
	v_add_co_ci_u32_e64 v15, null, 0, v16, vcc_lo
	v_add_co_u32 v0, vcc_lo, s10, v136
	s_wait_alu 0xfffd
	v_add_co_ci_u32_e64 v1, null, s11, v137, vcc_lo
	v_add_co_u32 v2, vcc_lo, s10, v93
	;; [unrolled: 3-line block ×3, first 2 shown]
	v_mul_u32_u24_e32 v33, 0xd0, v38
	v_mul_u32_u24_e32 v35, 0xd0, v35
	v_readfirstlane_b32 s42, v36
	scratch_store_b32 off, v0, off offset:408 ; 4-byte Folded Spill
	s_wait_alu 0xfffd
	v_add_co_ci_u32_e64 v0, null, 0, v1, vcc_lo
	v_add_nc_u32_e32 v36, v43, v27
	v_mul_lo_u32 v3, s26, v12
	s_and_b32 s100, 0xffff, s1
	scratch_store_b32 off, v0, off offset:412 ; 4-byte Folded Spill
	v_add_co_u32 v0, vcc_lo, 0x80, v2
	v_add_nc_u32_e32 v1, 0xd00, v36
	s_lshl_b32 s1, s26, 4
	v_mul_lo_u32 v13, s34, v12
	scratch_store_b32 off, v0, off offset:416 ; 4-byte Folded Spill
	s_wait_alu 0xfffd
	v_add_co_ci_u32_e64 v0, null, 0, v5, vcc_lo
	scratch_store_b32 off, v1, off offset:264 ; 4-byte Folded Spill
	v_add_nc_u32_e32 v1, 0x1380, v36
	v_mad_co_u64_u32 v[225:226], null, v131, s44, v[232:233]
	scratch_store_b32 off, v0, off offset:420 ; 4-byte Folded Spill
	v_add_nc_u32_e32 v0, v193, v31
	scratch_store_b32 off, v1, off offset:268 ; 4-byte Folded Spill
	v_add_nc_u32_e32 v1, 0x1a00, v36
	s_wait_alu 0xfffe
	v_add_nc_u32_e32 v7, s1, v3
	v_ashrrev_i32_e32 v14, 31, v13
	scratch_store_b32 off, v0, off offset:532 ; 4-byte Folded Spill
	v_add_nc_u32_e32 v0, v193, v33
	scratch_store_b32 off, v1, off offset:272 ; 4-byte Folded Spill
	v_add_nc_u32_e32 v1, 0x2080, v36
	v_add_nc_u32_e32 v9, s1, v7
	v_lshlrev_b64_e32 v[245:246], 2, v[13:14]
	scratch_store_b32 off, v0, off offset:592 ; 4-byte Folded Spill
	v_add_nc_u32_e32 v0, v193, v40
	scratch_store_b32 off, v1, off offset:276 ; 4-byte Folded Spill
	v_add_nc_u32_e32 v11, s1, v9
	s_lshl_b32 s1, s34, 4
	v_ashrrev_i32_e32 v4, 31, v3
	scratch_store_b32 off, v0, off offset:612 ; 4-byte Folded Spill
	v_add_nc_u32_e32 v0, v141, v28
	s_wait_alu 0xfffe
	v_add_nc_u32_e32 v17, s1, v13
	s_mul_f32 s40, s40, 0x4f7ffffe
	v_lshlrev_b64_e32 v[95:96], 2, v[3:4]
	v_writelane_b32 v255, s0, 15
	scratch_store_b32 off, v0, off offset:504 ; 4-byte Folded Spill
	v_add_nc_u32_e32 v0, v141, v39
	v_ashrrev_i32_e32 v18, 31, v17
	v_add_nc_u32_e32 v21, s1, v17
	s_wait_alu 0xfffe
	s_cvt_u32_f32 s40, s40
	v_ashrrev_i32_e32 v8, 31, v7
	scratch_store_b32 off, v0, off offset:536 ; 4-byte Folded Spill
	v_add_nc_u32_e32 v0, v141, v41
	v_lshlrev_b64_e32 v[75:76], 2, v[17:18]
	v_ashrrev_i32_e32 v22, 31, v21
	v_add_nc_u32_e32 v23, s1, v21
	s_sub_co_i32 s43, 0, s101
	scratch_store_b32 off, v0, off offset:564 ; 4-byte Folded Spill
	v_add_nc_u32_e32 v0, 0, v35
	v_lshlrev_b64_e32 v[104:105], 2, v[21:22]
	v_ashrrev_i32_e32 v24, 31, v23
	s_ashr_i32 s45, s97, 31
	s_wait_alu 0xfffe
	s_mul_i32 s43, s43, s40
	scratch_store_b32 off, v0, off offset:424 ; 4-byte Folded Spill
	v_mul_lo_u32 v0, v202, s44
	v_lshlrev_b64_e32 v[91:92], 2, v[23:24]
	v_writelane_b32 v255, s45, 16
	s_wait_alu 0xfffe
	s_mul_hi_u32 s43, s40, s43
	v_lshlrev_b64_e32 v[97:98], 2, v[7:8]
	s_wait_alu 0xfffe
	s_add_co_i32 s50, s40, s43
	s_mov_b32 s51, s57
	v_writelane_b32 v255, s50, 17
	v_add3_u32 v224, v0, v154, 32
	v_add_nc_u32_e32 v0, 0x680, v36
	s_mul_f32 s41, s41, 0x4f7ffffe
	v_ashrrev_i32_e32 v10, 31, v9
	v_writelane_b32 v255, s51, 18
	s_sub_co_i32 s40, 0, s102
	s_clause 0x1
	scratch_store_b32 off, v0, off offset:260
	scratch_store_b32 off, v15, off offset:404
	v_mad_u32_u24 v0, 0xd0, v231, 0
	s_wait_alu 0xfffe
	s_cvt_u32_f32 s41, s41
	v_lshlrev_b64_e32 v[99:100], 2, v[9:10]
	s_ashr_i32 s43, s96, 31
	v_ashrrev_i32_e32 v12, 31, v11
	v_add_nc_u32_e32 v1, 0x340, v0
	s_wait_alu 0xfffe
	s_mul_i32 s40, s40, s41
	v_writelane_b32 v255, s43, 19
	s_wait_alu 0xfffe
	s_mul_hi_u32 s40, s41, s40
	v_lshlrev_b64_e32 v[101:102], 2, v[11:12]
	scratch_store_b32 off, v1, off offset:500 ; 4-byte Folded Spill
	v_add_nc_u32_e32 v1, 0x680, v0
	s_clause 0x1
	scratch_store_b32 off, v1, off offset:516
	scratch_store_b32 off, v36, off offset:16
	v_add_nc_u32_e32 v1, 0x2700, v36
	s_wait_alu 0xfffe
	s_add_co_i32 s40, s41, s40
	s_mov_b32 s41, s57
	s_wait_alu 0xfffe
	v_writelane_b32 v255, s40, 20
	s_mul_f32 s30, s30, 0x4f7ffffe
	scratch_store_b32 off, v1, off offset:280 ; 4-byte Folded Spill
	v_add_nc_u32_e32 v1, 0x9c0, v0
	s_mov_b32 s51, s57
	v_writelane_b32 v255, s41, 21
	s_wait_alu 0xfffe
	s_cvt_u32_f32 s30, s30
	s_ashr_i32 s41, s95, 31
	scratch_store_b32 off, v1, off offset:528 ; 4-byte Folded Spill
	v_add_nc_u32_e32 v1, 0x1040, v0
	s_wait_alu 0xfffe
	v_writelane_b32 v255, s41, 22
	s_sub_co_i32 s41, 0, s103
	s_mul_f32 s40, s42, 0x4f7ffffe
	s_wait_alu 0xfffe
	s_mul_i32 s41, s41, s30
	scratch_store_b32 off, v1, off offset:560 ; 4-byte Folded Spill
	v_add_nc_u32_e32 v1, 0x1380, v0
	s_wait_alu 0xfffe
	s_mul_hi_u32 s41, s30, s41
	s_cvt_u32_f32 s40, s40
	s_wait_alu 0xfffe
	s_add_co_i32 s50, s30, s41
	s_sub_co_i32 s42, 0, s104
	scratch_store_b32 off, v1, off offset:576 ; 4-byte Folded Spill
	v_add_nc_u32_e32 v1, 0x16c0, v0
	s_wait_alu 0xfffe
	v_writelane_b32 v255, s50, 23
	s_movk_i32 s0, 0xd00
	s_movk_i32 s6, 0x340
	;; [unrolled: 1-line block ×3, first 2 shown]
	scratch_store_b32 off, v1, off offset:588 ; 4-byte Folded Spill
	v_add_nc_u32_e32 v1, 0x1d40, v0
	s_movk_i32 s4, 0x9c0
	s_movk_i32 s1, 0x1040
	s_mul_i32 s42, s42, s40
	v_writelane_b32 v255, s51, 24
	scratch_store_b32 off, v1, off offset:600 ; 4-byte Folded Spill
	v_add_nc_u32_e32 v1, 0x2080, v0
	v_mad_u32_u24 v170, 0xd00, v231, v142
	v_lshlrev_b32_e32 v173, 1, v232
	v_bfe_u32 v174, v153, 1, 9
	v_mul_u32_u24_e32 v175, 0xd0, v231
	scratch_store_b32 off, v1, off offset:604 ; 4-byte Folded Spill
	v_add_nc_u32_e32 v1, 0x23c0, v0
	v_lshrrev_b32_e32 v176, 1, v130
	s_wait_alu 0xfffe
	v_mad_u32_u24 v177, 0xd0, v231, s6
	v_lshrrev_b32_e32 v179, 1, v129
	v_mad_u32_u24 v180, 0xd0, v231, s5
	scratch_store_b32 off, v1, off offset:608 ; 4-byte Folded Spill
	v_add_nc_u32_e32 v1, 0x2a40, v0
	v_lshrrev_b32_e32 v181, 1, v128
	v_mad_u32_u24 v185, 0xd0, v231, s4
	v_lshrrev_b32_e32 v192, 1, v233
	v_mad_u32_u24 v197, 0xd0, v231, s0
	scratch_store_b32 off, v1, off offset:620 ; 4-byte Folded Spill
	v_add_nc_u32_e32 v1, 0x2d80, v0
	s_clause 0x1
	scratch_store_b32 off, v1, off offset:624
	scratch_store_b32 off, v0, off offset:428
	v_add_nc_u32_e32 v0, 0x30c0, v0
	v_lshrrev_b32_e32 v198, 1, v127
	v_mad_u32_u24 v201, 0xd0, v231, s1
	s_mul_hi_u32 s30, s40, s42
	v_lshrrev_b32_e32 v204, 1, v126
	scratch_store_b32 off, v0, off offset:628 ; 4-byte Folded Spill
	v_add_co_u32 v0, vcc_lo, s12, v245
	v_lshrrev_b32_e32 v205, 1, v125
	s_wait_alu 0xfffe
	s_add_co_i32 s40, s40, s30
	v_lshrrev_b32_e32 v206, 1, v227
	scratch_store_b32 off, v0, off offset:432 ; 4-byte Folded Spill
	s_wait_alu 0xfffd
	v_add_co_ci_u32_e64 v0, null, s13, v246, vcc_lo
	s_mov_b32 s41, s57
	v_lshrrev_b32_e32 v207, 1, v144
	s_wait_alu 0xfffe
	v_writelane_b32 v255, s40, 25
	scratch_store_b32 off, v0, off offset:436 ; 4-byte Folded Spill
	v_add_co_u32 v0, vcc_lo, s12, v75
	v_lshrrev_b32_e32 v210, 1, v143
	v_lshrrev_b32_e32 v211, 1, v135
	;; [unrolled: 1-line block ×3, first 2 shown]
	scratch_store_b32 off, v0, off offset:440 ; 4-byte Folded Spill
	s_wait_alu 0xfffd
	v_add_co_ci_u32_e64 v0, null, s13, v76, vcc_lo
	v_lshrrev_b32_e32 v213, 1, v134
	v_lshrrev_b32_e32 v216, 1, v133
	;; [unrolled: 1-line block ×3, first 2 shown]
	scratch_store_b32 off, v0, off offset:444 ; 4-byte Folded Spill
	v_add_co_u32 v0, vcc_lo, s12, v104
	s_movk_i32 s3, 0x1380
	v_cmp_gt_u32_e64 s2, 16, v232
	v_writelane_b32 v255, s41, 26
	scratch_store_b32 off, v0, off offset:448 ; 4-byte Folded Spill
	s_wait_alu 0xfffd
	v_add_co_ci_u32_e64 v0, null, s13, v105, vcc_lo
	v_lshlrev_b32_e32 v182, 4, v25
	v_lshlrev_b32_e32 v194, 2, v30
	;; [unrolled: 1-line block ×3, first 2 shown]
	scratch_store_b32 off, v0, off offset:452 ; 4-byte Folded Spill
	v_add_co_u32 v0, vcc_lo, s12, v91
	v_mul_u32_u24_e32 v140, 0x90, v231
	v_add_nc_u32_e32 v203, 0xd00, v147
	v_add_nc_u32_e32 v178, 0x1a00, v147
	scratch_store_b32 off, v0, off offset:456 ; 4-byte Folded Spill
	s_wait_alu 0xfffd
	v_add_co_ci_u32_e64 v0, null, s13, v92, vcc_lo
	v_add_nc_u32_e32 v209, 0x2700, v147
	v_add_nc_u32_e32 v124, 32, v148
	;; [unrolled: 1-line block ×3, first 2 shown]
	scratch_store_b32 off, v0, off offset:460 ; 4-byte Folded Spill
	v_add_co_u32 v0, vcc_lo, s10, v95
	v_add_nc_u32_e32 v219, 64, v148
	v_add_nc_u32_e32 v223, 0x48, v148
	;; [unrolled: 1-line block ×3, first 2 shown]
	scratch_store_b32 off, v0, off offset:464 ; 4-byte Folded Spill
	s_wait_alu 0xfffd
	v_add_co_ci_u32_e64 v0, null, s11, v96, vcc_lo
	v_add_nc_u32_e32 v215, 0x68, v148
	s_wait_alu 0xfffe
	v_mad_u32_u24 v229, 0xd0, v231, s3
	v_mbcnt_lo_u32_b32 v234, -1, 0
	scratch_store_b32 off, v0, off offset:468 ; 4-byte Folded Spill
	v_add_co_u32 v0, vcc_lo, s10, v97
	s_ashr_i32 s39, s38, 31
	s_ashr_i32 s27, s26, 31
	;; [unrolled: 1-line block ×3, first 2 shown]
	scratch_store_b32 off, v0, off offset:472 ; 4-byte Folded Spill
	s_wait_alu 0xfffd
	v_add_co_ci_u32_e64 v0, null, s11, v98, vcc_lo
	s_mul_i32 s100, s100, 0x10001
	s_lshl_b64 s[66:67], s[38:39], 1
	s_wait_alu 0xfffe
	s_lshl_b64 s[68:69], s[34:35], 8
	scratch_store_b32 off, v0, off offset:476 ; 4-byte Folded Spill
	v_add_co_u32 v0, vcc_lo, s10, v99
	s_lshl_b64 s[70:71], s[26:27], 8
	scratch_store_b32 off, v0, off offset:480 ; 4-byte Folded Spill
	s_wait_alu 0xfffd
	v_add_co_ci_u32_e64 v0, null, s11, v100, vcc_lo
	scratch_store_b32 off, v0, off offset:484 ; 4-byte Folded Spill
	v_add_co_u32 v0, vcc_lo, s10, v101
	scratch_store_b32 off, v0, off offset:488 ; 4-byte Folded Spill
	s_wait_alu 0xfffd
	v_add_co_ci_u32_e64 v0, null, s11, v102, vcc_lo
	scratch_store_b32 off, v0, off offset:492 ; 4-byte Folded Spill
	v_mov_b32_e32 v0, v131
	s_clause 0x1f
	scratch_store_b32 off, v125, off offset:44
	scratch_store_b32 off, v126, off offset:48
	scratch_store_b32 off, v127, off offset:52
	scratch_store_b32 off, v128, off offset:56
	scratch_store_b32 off, v129, off offset:60
	scratch_store_b32 off, v130, off offset:64
	scratch_store_b64 off, v[0:1], off offset:68
	scratch_store_b32 off, v132, off offset:76
	scratch_store_b32 off, v133, off offset:80
	scratch_store_b32 off, v134, off offset:84
	scratch_store_b32 off, v135, off offset:88
	scratch_store_b32 off, v143, off offset:92
	scratch_store_b32 off, v144, off offset:96
	scratch_store_b32 off, v153, off offset:100
	scratch_store_b32 off, v154, off offset:104
	scratch_store_b32 off, v156, off offset:108
	scratch_store_b32 off, v157, off offset:112
	scratch_store_b32 off, v159, off offset:116
	scratch_store_b32 off, v160, off offset:120
	scratch_store_b32 off, v161, off offset:124
	scratch_store_b32 off, v162, off offset:128
	scratch_store_b32 off, v163, off offset:132
	scratch_store_b32 off, v167, off offset:136
	scratch_store_b32 off, v168, off offset:140
	scratch_store_b32 off, v169, off offset:144
	scratch_store_b32 off, v170, off offset:148
	scratch_store_b32 off, v173, off offset:152
	scratch_store_b32 off, v174, off offset:156
	scratch_store_b32 off, v175, off offset:160
	scratch_store_b32 off, v176, off offset:164
	scratch_store_b32 off, v177, off offset:168
	scratch_store_b32 off, v179, off offset:172
	s_clause 0x6
	scratch_store_b32 off, v180, off offset:176
	scratch_store_b32 off, v181, off offset:180
	;; [unrolled: 1-line block ×7, first 2 shown]
	v_mov_b32_e32 v0, v202
	s_clause 0xa
	scratch_store_b64 off, v[0:1], off offset:204
	scratch_store_b32 off, v204, off offset:212
	scratch_store_b32 off, v205, off offset:216
	scratch_store_b32 off, v206, off offset:220
	scratch_store_b32 off, v207, off offset:224
	scratch_store_b32 off, v210, off offset:228
	scratch_store_b32 off, v211, off offset:232
	scratch_store_b32 off, v212, off offset:236
	scratch_store_b32 off, v213, off offset:240
	scratch_store_b32 off, v216, off offset:244
	scratch_store_b32 off, v217, off offset:248
	v_mov_b32_e32 v0, v224
	scratch_store_b64 off, v[0:1], off offset:252 ; 8-byte Folded Spill
	v_mov_b32_e32 v0, v225
	scratch_store_b64 off, v[0:1], off offset:284 ; 8-byte Folded Spill
	s_branch .LBB14_9
.LBB14_8:                               ;   in Loop: Header=BB14_9 Depth=1
	s_wait_alu 0xfffe
	s_or_b32 exec_lo, exec_lo, s0
	s_add_co_i32 s3, s48, s98
	s_mov_b32 s94, 0
	s_wait_alu 0xfffe
	s_abs_i32 s56, s3
	s_delay_alu instid0(SALU_CYCLE_1)
	s_mul_u64 s[0:1], s[56:57], s[52:53]
	s_wait_alu 0xfffe
	s_mul_i32 s0, s1, s55
	s_ashr_i32 s1, s3, 31
	s_wait_alu 0xfffe
	s_sub_co_i32 s0, s56, s0
	s_wait_alu 0xfffe
	s_sub_co_i32 s4, s0, s55
	s_cmp_ge_u32 s0, s55
	s_wait_alu 0xfffe
	s_cselect_b32 s0, s4, s0
	s_wait_alu 0xfffe
	s_sub_co_i32 s4, s0, s55
	s_cmp_ge_u32 s0, s55
	s_wait_alu 0xfffe
	s_cselect_b32 s0, s4, s0
	s_wait_alu 0xfffe
	s_xor_b32 s0, s0, s1
	s_wait_alu 0xfffe
	s_sub_co_i32 s0, s1, s0
	s_wait_alu 0xfffe
	s_add_co_i32 s48, s3, s0
	s_delay_alu instid0(SALU_CYCLE_1)
	s_sub_co_i32 s1, s54, s48
	s_wait_alu 0xfffe
	s_min_i32 s49, s98, s1
	s_cmp_gt_i32 s54, s48
	s_cselect_b32 s0, -1, 0
	s_cmp_le_i32 s98, s1
	s_cselect_b32 s1, -1, 0
	s_wait_alu 0xfffe
	s_and_b32 s1, s1, s0
	s_wait_alu 0xfffe
	s_and_b32 vcc_lo, exec_lo, s1
	s_wait_alu 0xfffe
	s_cbranch_vccz .LBB14_477
.LBB14_9:                               ; =>This Loop Header: Depth=1
                                        ;     Child Loop BB14_112 Depth 2
                                        ;     Child Loop BB14_343 Depth 2
	v_readlane_b32 s0, v255, 17
	v_readlane_b32 s1, v255, 18
	s_abs_i32 s56, s48
	v_readlane_b32 s4, v255, 16
	v_readlane_b32 s6, v255, 19
	;; [unrolled: 1-line block ×3, first 2 shown]
	s_mul_u64 s[0:1], s[56:57], s[0:1]
	s_ashr_i32 s0, s48, 31
	s_wait_alu 0xfffe
	s_mul_i32 s3, s1, s101
	s_xor_b32 s0, s0, s4
	s_wait_alu 0xfffe
	s_sub_co_i32 s3, s56, s3
	s_add_co_i32 s4, s1, 1
	s_wait_alu 0xfffe
	s_sub_co_i32 s5, s3, s101
	s_cmp_ge_u32 s3, s101
	v_readlane_b32 s41, v255, 24
	s_cselect_b32 s1, s4, s1
	s_wait_alu 0xfffe
	s_cselect_b32 s3, s5, s3
	s_add_co_i32 s4, s1, 1
	s_wait_alu 0xfffe
	s_cmp_ge_u32 s3, s101
	s_cselect_b32 s1, s4, s1
	s_wait_alu 0xfffe
	s_xor_b32 s1, s1, s0
	s_wait_alu 0xfffe
	s_sub_co_i32 s4, s1, s0
	s_wait_alu 0xfffe
	s_mul_i32 s0, s4, s97
	s_wait_alu 0xfffe
	s_sub_co_i32 s3, s48, s0
	v_readlane_b32 s0, v255, 20
	v_readlane_b32 s1, v255, 21
	s_wait_alu 0xfffe
	s_abs_i32 s56, s3
	s_delay_alu instid0(SALU_CYCLE_1)
	s_mul_u64 s[0:1], s[56:57], s[0:1]
	s_ashr_i32 s0, s3, 31
	s_wait_alu 0xfffe
	s_mul_i32 s5, s1, s102
	s_xor_b32 s0, s0, s6
	s_wait_alu 0xfffe
	s_sub_co_i32 s5, s56, s5
	s_add_co_i32 s6, s1, 1
	s_wait_alu 0xfffe
	s_sub_co_i32 s30, s5, s102
	s_cmp_ge_u32 s5, s102
	s_cselect_b32 s1, s6, s1
	s_wait_alu 0xfffe
	s_cselect_b32 s5, s30, s5
	s_add_co_i32 s6, s1, 1
	s_wait_alu 0xfffe
	s_cmp_ge_u32 s5, s102
	s_cselect_b32 s1, s6, s1
	v_readlane_b32 s6, v255, 22
	s_wait_alu 0xfffe
	s_xor_b32 s1, s1, s0
	s_wait_alu 0xfffe
	s_sub_co_i32 s0, s1, s0
	s_wait_alu 0xfffe
	s_mul_i32 s1, s0, s96
	s_wait_alu 0xfffe
	s_sub_co_i32 s3, s3, s1
	s_wait_alu 0xfffe
	s_abs_i32 s56, s3
	s_ashr_i32 s1, s3, 31
	s_mul_u64 s[40:41], s[56:57], s[40:41]
	s_wait_alu 0xfffe
	s_xor_b32 s1, s1, s6
	s_mul_i32 s5, s41, s103
	s_add_co_i32 s6, s41, 1
	s_wait_alu 0xfffe
	s_sub_co_i32 s5, s56, s5
	s_wait_alu 0xfffe
	s_sub_co_i32 s30, s5, s103
	s_cmp_ge_u32 s5, s103
	s_cselect_b32 s6, s6, s41
	s_wait_alu 0xfffe
	s_cselect_b32 s5, s30, s5
	s_add_co_i32 s30, s6, 1
	s_wait_alu 0xfffe
	s_cmp_ge_u32 s5, s103
	s_cselect_b32 s5, s30, s6
	v_readlane_b32 s6, v255, 7
	s_wait_alu 0xfffe
	s_xor_b32 s5, s5, s1
	s_wait_alu 0xfffe
	s_sub_co_i32 s1, s5, s1
	s_wait_alu 0xfffe
	s_mul_i32 s5, s1, s95
	s_wait_alu 0xfffe
	s_sub_co_i32 s3, s3, s5
	s_wait_alu 0xfffe
	s_abs_i32 s56, s3
	s_ashr_i32 s3, s3, 31
	s_mul_u64 s[40:41], s[56:57], s[52:53]
	s_wait_alu 0xfffe
	s_xor_b32 s3, s3, s6
	s_mul_i32 s5, s41, s55
	s_add_co_i32 s6, s41, 1
	s_wait_alu 0xfffe
	s_sub_co_i32 s5, s56, s5
	s_wait_alu 0xfffe
	s_sub_co_i32 s30, s5, s55
	s_cmp_ge_u32 s5, s55
	s_cselect_b32 s6, s6, s41
	s_wait_alu 0xfffe
	s_cselect_b32 s5, s30, s5
	s_add_co_i32 s30, s6, 1
	s_wait_alu 0xfffe
	s_cmp_ge_u32 s5, s55
	s_cselect_b32 s5, s30, s6
	v_readlane_b32 s6, v255, 15
	s_wait_alu 0xfffe
	s_xor_b32 s5, s5, s3
	s_and_not1_b32 vcc_lo, exec_lo, s6
	s_wait_alu 0xfffe
	s_sub_co_i32 s6, s5, s3
	s_cbranch_vccnz .LBB14_11
; %bb.10:                               ;   in Loop: Header=BB14_9 Depth=1
	v_readlane_b32 s3, v255, 0
	s_mul_i32 s3, s4, s3
	s_wait_alu 0xfffe
	s_add_co_i32 s40, s6, s3
	s_wait_alu 0xfffe
	s_ashr_i32 s41, s40, 31
	s_wait_alu 0xfffe
	s_lshl_b64 s[40:41], s[40:41], 2
	s_wait_alu 0xfffe
	s_add_nc_u64 s[40:41], s[18:19], s[40:41]
	global_load_b32 v0, v196, s[40:41]
	s_wait_loadcnt 0x0
	v_readfirstlane_b32 s3, v0
	s_ashr_i32 s5, s3, 31
	s_wait_alu 0xfffe
	s_lshr_b32 s5, s5, 26
	s_wait_alu 0xfffe
	s_add_co_i32 s3, s3, s5
	s_wait_alu 0xfffe
	s_ashr_i32 s3, s3, 6
	s_wait_alu 0xfffe
	s_min_i32 s49, s49, s3
.LBB14_11:                              ;   in Loop: Header=BB14_9 Depth=1
	v_readlane_b32 s44, v255, 25
	v_readlane_b32 s45, v255, 26
	s_abs_i32 s56, s4
	s_lshl_b32 s67, s1, 1
	s_mul_i32 s3, s0, s33
	s_mul_i32 s42, s4, s47
	s_mul_u64 s[44:45], s[56:57], s[44:45]
	s_wait_alu 0xfffe
	s_add_co_i32 s40, s67, s3
	s_mul_i32 s1, s45, s104
	s_load_b64 s[44:45], s[64:65], 0x8c
	s_mul_i32 s50, s40, s46
	s_sub_co_i32 s1, s56, s1
	s_ashr_i32 s43, s42, 31
	s_wait_alu 0xfffe
	s_ashr_i32 s51, s50, 31
	s_ashr_i32 s5, s4, 31
	s_sub_co_i32 s3, s1, s104
	s_add_nc_u64 s[42:43], s[8:9], s[42:43]
	s_wait_alu 0xfffe
	s_mul_u64 s[84:85], s[28:29], s[4:5]
	s_add_nc_u64 s[90:91], s[42:43], s[50:51]
	s_add_nc_u64 s[42:43], s[10:11], s[84:85]
	s_mul_i32 s88, s0, s31
	v_or_b32_e32 v248, s67, v131
	s_wait_kmcnt 0x0
	s_mul_i32 s82, s0, s45
	s_load_b64 s[44:45], s[64:65], 0xc8
	s_ashr_i32 s83, s82, 31
	s_cmp_ge_u32 s1, s104
	s_add_nc_u64 s[78:79], s[42:43], s[82:83]
	s_cselect_b32 s1, s3, s1
	s_wait_alu 0xfffe
	s_sub_co_i32 s3, s1, s104
	s_cmp_ge_u32 s1, s104
	s_wait_alu 0xfffe
	s_cselect_b32 s1, s3, s1
	s_mul_i32 s3, s24, s25
	s_wait_alu 0xfffe
	s_xor_b32 s1, s1, s5
	s_mul_i32 s3, s3, s4
	s_wait_alu 0xfffe
	s_sub_co_i32 s42, s1, s5
	s_add_co_i32 s1, s40, s3
	s_wait_alu 0xfffe
	s_ashr_i32 s43, s42, 31
	s_ashr_i32 s41, s40, 31
	v_readlane_b32 s3, v255, 14
	s_mul_i32 s56, s1, 48
	s_wait_alu 0xfffe
	s_lshl_b64 s[0:1], s[40:41], 2
	s_wait_kmcnt 0x0
	s_mul_u64 s[42:43], s[44:45], s[42:43]
	s_load_b64 s[44:45], s[64:65], 0xa8
	s_add_nc_u64 s[80:81], s[14:15], s[42:43]
	s_lshl_b64 s[42:43], s[56:57], 3
	s_ashr_i32 s89, s88, 31
	s_add_nc_u64 s[0:1], s[16:17], s[0:1]
	s_and_b32 s3, s3, exec_lo
	s_wait_alu 0xfffe
	s_add_nc_u64 s[72:73], s[20:21], s[42:43]
	s_cselect_b32 s75, 0, s1
	s_cselect_b32 s74, 0, s0
	s_cmp_lg_u32 s94, 0
	s_wait_kmcnt 0x0
	s_mul_u64 s[86:87], s[44:45], s[4:5]
	s_wait_alu 0xfffe
	s_add_nc_u64 s[4:5], s[12:13], s[86:87]
	s_wait_alu 0xfffe
	s_add_nc_u64 s[76:77], s[4:5], s[88:89]
	s_cbranch_scc0 .LBB14_114
; %bb.12:                               ;   in Loop: Header=BB14_9 Depth=1
	s_lshl_b32 s0, s6, 5
	v_cmp_le_i32_e64 s4, s33, v248
	s_wait_alu 0xfffe
	v_add_nc_u32_e32 v186, s0, v174
	v_cmp_gt_i32_e32 vcc_lo, s33, v248
	s_delay_alu instid0(VALU_DEP_2)
	v_cmp_le_i32_e64 s3, s24, v186
	s_or_b32 s1, s3, s4
	s_wait_alu 0xfffe
	s_and_saveexec_b32 s3, s1
	s_wait_alu 0xfffe
	s_xor_b32 s1, exec_lo, s3
; %bb.13:                               ;   in Loop: Header=BB14_9 Depth=1
	v_add_nc_u32_e32 v0, v193, v175
	ds_store_b32 v0, v196
; %bb.14:                               ;   in Loop: Header=BB14_9 Depth=1
	s_wait_alu 0xfffe
	s_and_not1_saveexec_b32 s1, s1
	s_cbranch_execz .LBB14_16
; %bb.15:                               ;   in Loop: Header=BB14_9 Depth=1
	v_mad_co_u64_u32 v[0:1], null, v186, s7, v[225:226]
	s_delay_alu instid0(VALU_DEP_1) | instskip(NEXT) | instid1(VALU_DEP_1)
	v_ashrrev_i32_e32 v1, 31, v0
	v_lshlrev_b64_e32 v[0:1], 3, v[0:1]
	s_delay_alu instid0(VALU_DEP_1) | instskip(SKIP_1) | instid1(VALU_DEP_2)
	v_add_co_u32 v0, s3, s90, v0
	s_wait_alu 0xf1ff
	v_add_co_ci_u32_e64 v1, null, s91, v1, s3
	global_load_b64 v[0:1], v[0:1], off
	s_wait_loadcnt 0x0
	v_cvt_f16_f32_e32 v0, v0
	v_cvt_f16_f32_e32 v1, v1
	s_delay_alu instid0(VALU_DEP_1) | instskip(SKIP_1) | instid1(VALU_DEP_2)
	v_pack_b32_f16 v0, v0, v1
	v_add_nc_u32_e32 v1, v193, v175
	v_pk_mul_f16 v0, v0, s100
	ds_store_b32 v1, v0
.LBB14_16:                              ;   in Loop: Header=BB14_9 Depth=1
	s_wait_alu 0xfffe
	s_or_b32 exec_lo, exec_lo, s1
	v_add_nc_u32_e32 v184, s0, v176
	s_xor_b32 s1, vcc_lo, -1
	s_delay_alu instid0(VALU_DEP_1)
	v_cmp_le_i32_e64 s3, s24, v184
	s_wait_alu 0xfffe
	s_or_b32 s3, s3, s1
	s_wait_alu 0xfffe
	s_and_saveexec_b32 s4, s3
	s_wait_alu 0xfffe
	s_xor_b32 s3, exec_lo, s4
; %bb.17:                               ;   in Loop: Header=BB14_9 Depth=1
	v_add_nc_u32_e32 v0, v193, v177
	ds_store_b32 v0, v196
; %bb.18:                               ;   in Loop: Header=BB14_9 Depth=1
	s_wait_alu 0xfffe
	s_and_not1_saveexec_b32 s3, s3
	s_cbranch_execz .LBB14_20
; %bb.19:                               ;   in Loop: Header=BB14_9 Depth=1
	v_mad_co_u64_u32 v[0:1], null, v184, s7, v[225:226]
	s_delay_alu instid0(VALU_DEP_1) | instskip(NEXT) | instid1(VALU_DEP_1)
	v_ashrrev_i32_e32 v1, 31, v0
	v_lshlrev_b64_e32 v[0:1], 3, v[0:1]
	s_delay_alu instid0(VALU_DEP_1) | instskip(SKIP_1) | instid1(VALU_DEP_2)
	v_add_co_u32 v0, vcc_lo, s90, v0
	s_wait_alu 0xfffd
	v_add_co_ci_u32_e64 v1, null, s91, v1, vcc_lo
	global_load_b64 v[0:1], v[0:1], off
	s_wait_loadcnt 0x0
	v_cvt_f16_f32_e32 v0, v0
	v_cvt_f16_f32_e32 v1, v1
	s_delay_alu instid0(VALU_DEP_1) | instskip(SKIP_1) | instid1(VALU_DEP_2)
	v_pack_b32_f16 v0, v0, v1
	v_add_nc_u32_e32 v1, v193, v177
	v_pk_mul_f16 v0, v0, s100
	ds_store_b32 v1, v0
.LBB14_20:                              ;   in Loop: Header=BB14_9 Depth=1
	s_wait_alu 0xfffe
	s_or_b32 exec_lo, exec_lo, s3
	v_add_nc_u32_e32 v222, s0, v179
	s_delay_alu instid0(VALU_DEP_1)
	v_cmp_le_i32_e32 vcc_lo, s24, v222
	s_or_b32 s3, vcc_lo, s1
	s_wait_alu 0xfffe
	s_and_saveexec_b32 s4, s3
	s_wait_alu 0xfffe
	s_xor_b32 s3, exec_lo, s4
; %bb.21:                               ;   in Loop: Header=BB14_9 Depth=1
	v_add_nc_u32_e32 v0, v193, v180
	ds_store_b32 v0, v196
; %bb.22:                               ;   in Loop: Header=BB14_9 Depth=1
	s_wait_alu 0xfffe
	s_and_not1_saveexec_b32 s3, s3
	s_cbranch_execz .LBB14_24
; %bb.23:                               ;   in Loop: Header=BB14_9 Depth=1
	v_mad_co_u64_u32 v[0:1], null, v222, s7, v[225:226]
	s_delay_alu instid0(VALU_DEP_1) | instskip(NEXT) | instid1(VALU_DEP_1)
	v_ashrrev_i32_e32 v1, 31, v0
	v_lshlrev_b64_e32 v[0:1], 3, v[0:1]
	s_delay_alu instid0(VALU_DEP_1) | instskip(SKIP_1) | instid1(VALU_DEP_2)
	v_add_co_u32 v0, vcc_lo, s90, v0
	s_wait_alu 0xfffd
	v_add_co_ci_u32_e64 v1, null, s91, v1, vcc_lo
	global_load_b64 v[0:1], v[0:1], off
	s_wait_loadcnt 0x0
	v_cvt_f16_f32_e32 v0, v0
	v_cvt_f16_f32_e32 v1, v1
	s_delay_alu instid0(VALU_DEP_1) | instskip(SKIP_1) | instid1(VALU_DEP_2)
	v_pack_b32_f16 v0, v0, v1
	v_add_nc_u32_e32 v1, v193, v180
	v_pk_mul_f16 v0, v0, s100
	ds_store_b32 v1, v0
.LBB14_24:                              ;   in Loop: Header=BB14_9 Depth=1
	s_wait_alu 0xfffe
	s_or_b32 exec_lo, exec_lo, s3
	v_add_nc_u32_e32 v220, s0, v181
	s_delay_alu instid0(VALU_DEP_1)
	v_cmp_le_i32_e32 vcc_lo, s24, v220
	s_or_b32 s3, vcc_lo, s1
	;; [unrolled: 36-line block ×6, first 2 shown]
	s_wait_alu 0xfffe
	s_and_saveexec_b32 s4, s3
	s_wait_alu 0xfffe
	s_xor_b32 s3, exec_lo, s4
; %bb.41:                               ;   in Loop: Header=BB14_9 Depth=1
	v_add_nc_u32_e32 v0, v193, v229
	ds_store_b32 v0, v196 offset:832
; %bb.42:                               ;   in Loop: Header=BB14_9 Depth=1
	s_wait_alu 0xfffe
	s_and_not1_saveexec_b32 s3, s3
	s_cbranch_execz .LBB14_44
; %bb.43:                               ;   in Loop: Header=BB14_9 Depth=1
	v_mad_co_u64_u32 v[0:1], null, v183, s7, v[225:226]
	s_delay_alu instid0(VALU_DEP_1) | instskip(NEXT) | instid1(VALU_DEP_1)
	v_ashrrev_i32_e32 v1, 31, v0
	v_lshlrev_b64_e32 v[0:1], 3, v[0:1]
	s_delay_alu instid0(VALU_DEP_1) | instskip(SKIP_1) | instid1(VALU_DEP_2)
	v_add_co_u32 v0, vcc_lo, s90, v0
	s_wait_alu 0xfffd
	v_add_co_ci_u32_e64 v1, null, s91, v1, vcc_lo
	global_load_b64 v[0:1], v[0:1], off
	s_wait_loadcnt 0x0
	v_cvt_f16_f32_e32 v0, v0
	v_cvt_f16_f32_e32 v1, v1
	s_delay_alu instid0(VALU_DEP_1) | instskip(SKIP_1) | instid1(VALU_DEP_2)
	v_pack_b32_f16 v0, v0, v1
	v_add_nc_u32_e32 v1, v193, v229
	v_pk_mul_f16 v0, v0, s100
	ds_store_b32 v1, v0 offset:832
.LBB14_44:                              ;   in Loop: Header=BB14_9 Depth=1
	s_wait_alu 0xfffe
	s_or_b32 exec_lo, exec_lo, s3
	v_add_nc_u32_e32 v90, s0, v206
	s_delay_alu instid0(VALU_DEP_1)
	v_cmp_le_i32_e32 vcc_lo, s24, v90
	s_or_b32 s3, vcc_lo, s1
	s_wait_alu 0xfffe
	s_and_saveexec_b32 s4, s3
	s_wait_alu 0xfffe
	s_xor_b32 s3, exec_lo, s4
; %bb.45:                               ;   in Loop: Header=BB14_9 Depth=1
	v_add_nc_u32_e32 v0, v193, v229
	ds_store_b32 v0, v196 offset:1664
; %bb.46:                               ;   in Loop: Header=BB14_9 Depth=1
	s_wait_alu 0xfffe
	s_and_not1_saveexec_b32 s3, s3
	s_cbranch_execz .LBB14_48
; %bb.47:                               ;   in Loop: Header=BB14_9 Depth=1
	v_mad_co_u64_u32 v[0:1], null, v90, s7, v[225:226]
	s_delay_alu instid0(VALU_DEP_1) | instskip(NEXT) | instid1(VALU_DEP_1)
	v_ashrrev_i32_e32 v1, 31, v0
	v_lshlrev_b64_e32 v[0:1], 3, v[0:1]
	s_delay_alu instid0(VALU_DEP_1) | instskip(SKIP_1) | instid1(VALU_DEP_2)
	v_add_co_u32 v0, vcc_lo, s90, v0
	s_wait_alu 0xfffd
	v_add_co_ci_u32_e64 v1, null, s91, v1, vcc_lo
	global_load_b64 v[0:1], v[0:1], off
	s_wait_loadcnt 0x0
	v_cvt_f16_f32_e32 v0, v0
	v_cvt_f16_f32_e32 v1, v1
	s_delay_alu instid0(VALU_DEP_1) | instskip(SKIP_1) | instid1(VALU_DEP_2)
	v_pack_b32_f16 v0, v0, v1
	v_add_nc_u32_e32 v1, v193, v229
	v_pk_mul_f16 v0, v0, s100
	ds_store_b32 v1, v0 offset:1664
.LBB14_48:                              ;   in Loop: Header=BB14_9 Depth=1
	s_wait_alu 0xfffe
	s_or_b32 exec_lo, exec_lo, s3
	v_add_nc_u32_e32 v208, s0, v207
	s_delay_alu instid0(VALU_DEP_1)
	v_cmp_le_i32_e32 vcc_lo, s24, v208
	s_or_b32 s3, vcc_lo, s1
	;; [unrolled: 36-line block ×8, first 2 shown]
	s_wait_alu 0xfffe
	s_and_saveexec_b32 s3, s1
	s_wait_alu 0xfffe
	s_xor_b32 s1, exec_lo, s3
; %bb.73:                               ;   in Loop: Header=BB14_9 Depth=1
	v_add_nc_u32_e32 v0, v193, v229
	ds_store_b32 v0, v196 offset:7488
; %bb.74:                               ;   in Loop: Header=BB14_9 Depth=1
	s_wait_alu 0xfffe
	s_and_not1_saveexec_b32 s1, s1
	s_cbranch_execz .LBB14_76
; %bb.75:                               ;   in Loop: Header=BB14_9 Depth=1
	v_mad_co_u64_u32 v[0:1], null, v158, s7, v[225:226]
	s_delay_alu instid0(VALU_DEP_1) | instskip(NEXT) | instid1(VALU_DEP_1)
	v_ashrrev_i32_e32 v1, 31, v0
	v_lshlrev_b64_e32 v[0:1], 3, v[0:1]
	s_delay_alu instid0(VALU_DEP_1) | instskip(SKIP_1) | instid1(VALU_DEP_2)
	v_add_co_u32 v0, vcc_lo, s90, v0
	s_wait_alu 0xfffd
	v_add_co_ci_u32_e64 v1, null, s91, v1, vcc_lo
	global_load_b64 v[0:1], v[0:1], off
	s_wait_loadcnt 0x0
	v_cvt_f16_f32_e32 v0, v0
	v_cvt_f16_f32_e32 v1, v1
	s_delay_alu instid0(VALU_DEP_1) | instskip(SKIP_1) | instid1(VALU_DEP_2)
	v_pack_b32_f16 v0, v0, v1
	v_add_nc_u32_e32 v1, v193, v229
	v_pk_mul_f16 v0, v0, s100
	ds_store_b32 v1, v0 offset:7488
.LBB14_76:                              ;   in Loop: Header=BB14_9 Depth=1
	s_wait_alu 0xfffe
	s_or_b32 exec_lo, exec_lo, s1
	v_add_nc_u32_e32 v138, s0, v159
	v_or_b32_e32 v166, s67, v202
	s_delay_alu instid0(VALU_DEP_2) | instskip(NEXT) | instid1(VALU_DEP_2)
	v_cmp_le_i32_e64 s3, s24, v138
	v_cmp_le_i32_e64 s4, s33, v166
	v_cmp_gt_i32_e32 vcc_lo, s33, v166
	s_or_b32 s1, s3, s4
	s_wait_alu 0xfffe
	s_and_saveexec_b32 s3, s1
	s_wait_alu 0xfffe
	s_xor_b32 s1, exec_lo, s3
	s_cbranch_execz .LBB14_78
; %bb.77:                               ;   in Loop: Header=BB14_9 Depth=1
	scratch_load_b32 v0, off, off offset:8  ; 4-byte Folded Reload
	s_wait_loadcnt 0x0
	ds_store_b32 v0, v196 offset:128
.LBB14_78:                              ;   in Loop: Header=BB14_9 Depth=1
	s_wait_alu 0xfffe
	s_and_not1_saveexec_b32 s1, s1
	s_cbranch_execz .LBB14_80
; %bb.79:                               ;   in Loop: Header=BB14_9 Depth=1
	v_mad_co_u64_u32 v[0:1], null, v138, s7, v[224:225]
	s_delay_alu instid0(VALU_DEP_1) | instskip(NEXT) | instid1(VALU_DEP_1)
	v_ashrrev_i32_e32 v1, 31, v0
	v_lshlrev_b64_e32 v[0:1], 3, v[0:1]
	s_delay_alu instid0(VALU_DEP_1) | instskip(SKIP_1) | instid1(VALU_DEP_2)
	v_add_co_u32 v0, s3, s90, v0
	s_wait_alu 0xf1ff
	v_add_co_ci_u32_e64 v1, null, s91, v1, s3
	global_load_b64 v[0:1], v[0:1], off
	s_wait_loadcnt 0x0
	v_cvt_f16_f32_e32 v0, v0
	v_cvt_f16_f32_e32 v1, v1
	s_delay_alu instid0(VALU_DEP_1) | instskip(SKIP_1) | instid1(VALU_DEP_2)
	v_pack_b32_f16 v0, v0, v1
	v_add_nc_u32_e32 v1, v141, v155
	v_pk_mul_f16 v0, v0, s100
	ds_store_b32 v1, v0 offset:128
.LBB14_80:                              ;   in Loop: Header=BB14_9 Depth=1
	s_wait_alu 0xfffe
	s_or_b32 exec_lo, exec_lo, s1
	v_add_nc_u32_e32 v254, s0, v160
	s_xor_b32 s1, vcc_lo, -1
	s_delay_alu instid0(VALU_DEP_1)
	v_cmp_le_i32_e64 s3, s24, v254
	s_wait_alu 0xfffe
	s_or_b32 s3, s3, s1
	s_wait_alu 0xfffe
	s_and_saveexec_b32 s4, s3
	s_wait_alu 0xfffe
	s_xor_b32 s3, exec_lo, s4
	s_cbranch_execz .LBB14_82
; %bb.81:                               ;   in Loop: Header=BB14_9 Depth=1
	scratch_load_b32 v0, off, off offset:16 ; 4-byte Folded Reload
	s_wait_loadcnt 0x0
	ds_store_b32 v0, v196 offset:128
.LBB14_82:                              ;   in Loop: Header=BB14_9 Depth=1
	s_wait_alu 0xfffe
	s_and_not1_saveexec_b32 s3, s3
	s_cbranch_execz .LBB14_84
; %bb.83:                               ;   in Loop: Header=BB14_9 Depth=1
	v_mad_co_u64_u32 v[0:1], null, v254, s7, v[224:225]
	s_delay_alu instid0(VALU_DEP_1) | instskip(NEXT) | instid1(VALU_DEP_1)
	v_ashrrev_i32_e32 v1, 31, v0
	v_lshlrev_b64_e32 v[0:1], 3, v[0:1]
	s_delay_alu instid0(VALU_DEP_1) | instskip(SKIP_1) | instid1(VALU_DEP_2)
	v_add_co_u32 v0, vcc_lo, s90, v0
	s_wait_alu 0xfffd
	v_add_co_ci_u32_e64 v1, null, s91, v1, vcc_lo
	global_load_b64 v[0:1], v[0:1], off
	s_wait_loadcnt 0x0
	v_cvt_f16_f32_e32 v0, v0
	v_cvt_f16_f32_e32 v1, v1
	s_delay_alu instid0(VALU_DEP_1) | instskip(SKIP_1) | instid1(VALU_DEP_2)
	v_pack_b32_f16 v0, v0, v1
	v_add_nc_u32_e32 v1, v141, v155
	v_pk_mul_f16 v0, v0, s100
	ds_store_b32 v1, v0 offset:1792
.LBB14_84:                              ;   in Loop: Header=BB14_9 Depth=1
	s_wait_alu 0xfffe
	s_or_b32 exec_lo, exec_lo, s3
	v_add_nc_u32_e32 v253, s0, v161
	s_delay_alu instid0(VALU_DEP_1)
	v_cmp_le_i32_e32 vcc_lo, s24, v253
	s_or_b32 s3, vcc_lo, s1
	s_wait_alu 0xfffe
	s_and_saveexec_b32 s4, s3
	s_wait_alu 0xfffe
	s_xor_b32 s3, exec_lo, s4
	s_cbranch_execz .LBB14_86
; %bb.85:                               ;   in Loop: Header=BB14_9 Depth=1
	scratch_load_b32 v0, off, off offset:260 ; 4-byte Folded Reload
	s_wait_loadcnt 0x0
	ds_store_b32 v0, v196 offset:128
.LBB14_86:                              ;   in Loop: Header=BB14_9 Depth=1
	s_wait_alu 0xfffe
	s_and_not1_saveexec_b32 s3, s3
	s_cbranch_execz .LBB14_88
; %bb.87:                               ;   in Loop: Header=BB14_9 Depth=1
	v_mad_co_u64_u32 v[0:1], null, v253, s7, v[224:225]
	s_delay_alu instid0(VALU_DEP_1) | instskip(NEXT) | instid1(VALU_DEP_1)
	v_ashrrev_i32_e32 v1, 31, v0
	v_lshlrev_b64_e32 v[0:1], 3, v[0:1]
	s_delay_alu instid0(VALU_DEP_1) | instskip(SKIP_1) | instid1(VALU_DEP_2)
	v_add_co_u32 v0, vcc_lo, s90, v0
	s_wait_alu 0xfffd
	v_add_co_ci_u32_e64 v1, null, s91, v1, vcc_lo
	global_load_b64 v[0:1], v[0:1], off
	s_wait_loadcnt 0x0
	v_cvt_f16_f32_e32 v0, v0
	v_cvt_f16_f32_e32 v1, v1
	s_delay_alu instid0(VALU_DEP_1) | instskip(SKIP_1) | instid1(VALU_DEP_2)
	v_pack_b32_f16 v0, v0, v1
	v_add_nc_u32_e32 v1, v141, v155
	v_pk_mul_f16 v0, v0, s100
	ds_store_b32 v1, v0 offset:3456
.LBB14_88:                              ;   in Loop: Header=BB14_9 Depth=1
	s_wait_alu 0xfffe
	s_or_b32 exec_lo, exec_lo, s3
	v_add_nc_u32_e32 v242, s0, v162
	s_delay_alu instid0(VALU_DEP_1)
	v_cmp_le_i32_e32 vcc_lo, s24, v242
	s_or_b32 s3, vcc_lo, s1
	;; [unrolled: 38-line block ×4, first 2 shown]
	s_wait_alu 0xfffe
	s_and_saveexec_b32 s4, s3
	s_wait_alu 0xfffe
	s_xor_b32 s3, exec_lo, s4
	s_cbranch_execz .LBB14_98
; %bb.97:                               ;   in Loop: Header=BB14_9 Depth=1
	scratch_load_b32 v0, off, off offset:272 ; 4-byte Folded Reload
	s_wait_loadcnt 0x0
	ds_store_b32 v0, v196 offset:128
.LBB14_98:                              ;   in Loop: Header=BB14_9 Depth=1
	s_wait_alu 0xfffe
	s_and_not1_saveexec_b32 s3, s3
	s_cbranch_execz .LBB14_100
; %bb.99:                               ;   in Loop: Header=BB14_9 Depth=1
	v_mad_co_u64_u32 v[0:1], null, v237, s7, v[224:225]
	s_delay_alu instid0(VALU_DEP_1) | instskip(NEXT) | instid1(VALU_DEP_1)
	v_ashrrev_i32_e32 v1, 31, v0
	v_lshlrev_b64_e32 v[0:1], 3, v[0:1]
	s_delay_alu instid0(VALU_DEP_1) | instskip(SKIP_1) | instid1(VALU_DEP_2)
	v_add_co_u32 v0, vcc_lo, s90, v0
	s_wait_alu 0xfffd
	v_add_co_ci_u32_e64 v1, null, s91, v1, vcc_lo
	global_load_b64 v[0:1], v[0:1], off
	s_wait_loadcnt 0x0
	v_cvt_f16_f32_e32 v0, v0
	v_cvt_f16_f32_e32 v1, v1
	s_delay_alu instid0(VALU_DEP_1) | instskip(SKIP_1) | instid1(VALU_DEP_2)
	v_pack_b32_f16 v0, v0, v1
	v_add_nc_u32_e32 v1, v141, v155
	v_pk_mul_f16 v0, v0, s100
	ds_store_b32 v1, v0 offset:8448
.LBB14_100:                             ;   in Loop: Header=BB14_9 Depth=1
	s_wait_alu 0xfffe
	s_or_b32 exec_lo, exec_lo, s3
	v_add_nc_u32_e32 v236, s0, v168
	s_delay_alu instid0(VALU_DEP_1)
	v_cmp_le_i32_e32 vcc_lo, s24, v236
	s_or_b32 s3, vcc_lo, s1
	s_wait_alu 0xfffe
	s_and_saveexec_b32 s4, s3
	s_wait_alu 0xfffe
	s_xor_b32 s3, exec_lo, s4
	s_cbranch_execz .LBB14_102
; %bb.101:                              ;   in Loop: Header=BB14_9 Depth=1
	scratch_load_b32 v0, off, off offset:276 ; 4-byte Folded Reload
	s_wait_loadcnt 0x0
	ds_store_b32 v0, v196 offset:128
.LBB14_102:                             ;   in Loop: Header=BB14_9 Depth=1
	s_wait_alu 0xfffe
	s_and_not1_saveexec_b32 s3, s3
	s_cbranch_execz .LBB14_104
; %bb.103:                              ;   in Loop: Header=BB14_9 Depth=1
	v_mad_co_u64_u32 v[0:1], null, v236, s7, v[224:225]
	s_delay_alu instid0(VALU_DEP_1) | instskip(NEXT) | instid1(VALU_DEP_1)
	v_ashrrev_i32_e32 v1, 31, v0
	v_lshlrev_b64_e32 v[0:1], 3, v[0:1]
	s_delay_alu instid0(VALU_DEP_1) | instskip(SKIP_1) | instid1(VALU_DEP_2)
	v_add_co_u32 v0, vcc_lo, s90, v0
	s_wait_alu 0xfffd
	v_add_co_ci_u32_e64 v1, null, s91, v1, vcc_lo
	global_load_b64 v[0:1], v[0:1], off
	s_wait_loadcnt 0x0
	v_cvt_f16_f32_e32 v0, v0
	v_cvt_f16_f32_e32 v1, v1
	s_delay_alu instid0(VALU_DEP_1) | instskip(SKIP_1) | instid1(VALU_DEP_2)
	v_pack_b32_f16 v0, v0, v1
	v_add_nc_u32_e32 v1, v141, v155
	v_pk_mul_f16 v0, v0, s100
	ds_store_b32 v1, v0 offset:10112
.LBB14_104:                             ;   in Loop: Header=BB14_9 Depth=1
	s_wait_alu 0xfffe
	s_or_b32 exec_lo, exec_lo, s3
	v_add_nc_u32_e32 v235, s0, v169
	s_delay_alu instid0(VALU_DEP_1)
	v_cmp_le_i32_e32 vcc_lo, s24, v235
	s_or_b32 s1, vcc_lo, s1
	s_wait_alu 0xfffe
	s_and_saveexec_b32 s3, s1
	s_wait_alu 0xfffe
	s_xor_b32 s1, exec_lo, s3
	s_cbranch_execz .LBB14_106
; %bb.105:                              ;   in Loop: Header=BB14_9 Depth=1
	scratch_load_b32 v0, off, off offset:280 ; 4-byte Folded Reload
	s_wait_loadcnt 0x0
	ds_store_b32 v0, v196 offset:128
.LBB14_106:                             ;   in Loop: Header=BB14_9 Depth=1
	s_wait_alu 0xfffe
	s_and_not1_saveexec_b32 s1, s1
	s_cbranch_execz .LBB14_108
; %bb.107:                              ;   in Loop: Header=BB14_9 Depth=1
	v_mad_co_u64_u32 v[0:1], null, v235, s7, v[224:225]
	s_delay_alu instid0(VALU_DEP_1) | instskip(NEXT) | instid1(VALU_DEP_1)
	v_ashrrev_i32_e32 v1, 31, v0
	v_lshlrev_b64_e32 v[0:1], 3, v[0:1]
	s_delay_alu instid0(VALU_DEP_1) | instskip(SKIP_1) | instid1(VALU_DEP_2)
	v_add_co_u32 v0, vcc_lo, s90, v0
	s_wait_alu 0xfffd
	v_add_co_ci_u32_e64 v1, null, s91, v1, vcc_lo
	global_load_b64 v[0:1], v[0:1], off
	s_wait_loadcnt 0x0
	v_cvt_f16_f32_e32 v0, v0
	v_cvt_f16_f32_e32 v1, v1
	s_delay_alu instid0(VALU_DEP_1) | instskip(SKIP_1) | instid1(VALU_DEP_2)
	v_pack_b32_f16 v0, v0, v1
	v_add_nc_u32_e32 v1, v141, v155
	v_pk_mul_f16 v0, v0, s100
	ds_store_b32 v1, v0 offset:11776
.LBB14_108:                             ;   in Loop: Header=BB14_9 Depth=1
	s_wait_alu 0xfffe
	s_or_b32 exec_lo, exec_lo, s1
	s_wait_storecnt_dscnt 0x0
	s_barrier_signal -1
	s_barrier_wait -1
	global_inv scope:SCOPE_SE
	ds_load_b128 v[40:43], v170
	ds_load_b128 v[44:47], v170 offset:32
	ds_load_b128 v[36:39], v170 offset:64
	;; [unrolled: 1-line block ×5, first 2 shown]
	v_add_nc_u32_e32 v8, s0, v231
	v_add_nc_u32_e32 v9, s0, v130
	;; [unrolled: 1-line block ×8, first 2 shown]
	v_mul_hi_u32 v15, s36, v8
	v_mul_hi_u32 v14, s36, v9
	;; [unrolled: 1-line block ×8, first 2 shown]
	s_add_co_i32 s0, s49, -1
	s_mov_b32 s1, -1
	s_wait_alu 0xfffe
	s_cmp_lt_i32 s94, s0
	s_wait_loadcnt_dscnt 0x0
	s_barrier_signal -1
	s_barrier_wait -1
	global_inv scope:SCOPE_SE
                                        ; implicit-def: $vgpr108_vgpr109
                                        ; implicit-def: $vgpr106_vgpr107
                                        ; implicit-def: $vgpr110_vgpr111
                                        ; implicit-def: $vgpr112_vgpr113
                                        ; implicit-def: $vgpr114_vgpr115
                                        ; implicit-def: $vgpr190
                                        ; implicit-def: $vgpr191
                                        ; implicit-def: $vgpr120_vgpr121
                                        ; implicit-def: $vgpr118_vgpr119
                                        ; implicit-def: $vgpr116_vgpr117
	s_cbranch_scc1 .LBB14_110
; %bb.109:                              ;   in Loop: Header=BB14_9 Depth=1
	v_dual_mov_b32 v191, 32 :: v_dual_add_nc_u32 v16, v8, v15
	v_add_nc_u32_e32 v17, v9, v14
	v_add_nc_u32_e32 v18, v5, v13
	;; [unrolled: 1-line block ×3, first 2 shown]
	s_delay_alu instid0(VALU_DEP_4)
	v_lshrrev_b32_e32 v16, s37, v16
	v_add_nc_u32_e32 v20, v3, v11
	v_lshrrev_b32_e32 v17, s37, v17
	v_lshrrev_b32_e32 v18, s37, v18
	v_add_nc_u32_e32 v21, v2, v10
	v_mul_lo_u32 v16, v16, s24
	v_lshrrev_b32_e32 v19, s37, v19
	v_mul_lo_u32 v17, v17, s24
	v_mul_lo_u32 v18, v18, s24
	v_add_nc_u32_e32 v22, v1, v7
	v_add_nc_u32_e32 v23, v0, v6
	v_lshrrev_b32_e32 v20, s37, v20
	v_lshrrev_b32_e32 v21, s37, v21
	v_sub_nc_u32_e32 v16, v8, v16
	v_mul_lo_u32 v19, v19, s24
	v_sub_nc_u32_e32 v17, v9, v17
	v_xor_b32_e32 v190, 16, v234
	s_mov_b32 s1, 0
	v_mad_co_i64_i32 v[108:109], null, v16, s38, 0
	s_delay_alu instid0(VALU_DEP_3)
	v_mad_co_i64_i32 v[106:107], null, v17, s38, 0
	v_sub_nc_u32_e32 v16, v5, v18
	v_mul_lo_u32 v17, v20, s24
	v_mul_lo_u32 v18, v21, s24
	v_lshrrev_b32_e32 v20, s37, v22
	v_lshrrev_b32_e32 v21, s37, v23
	v_mad_co_i64_i32 v[110:111], null, v16, s38, 0
	v_sub_nc_u32_e32 v16, v4, v19
	s_delay_alu instid0(VALU_DEP_4) | instskip(NEXT) | instid1(VALU_DEP_4)
	v_mul_lo_u32 v19, v20, s24
	v_mul_lo_u32 v20, v21, s24
	v_sub_nc_u32_e32 v17, v3, v17
	s_delay_alu instid0(VALU_DEP_4) | instskip(SKIP_1) | instid1(VALU_DEP_3)
	v_mad_co_i64_i32 v[112:113], null, v16, s38, 0
	v_sub_nc_u32_e32 v16, v2, v18
	v_mad_co_i64_i32 v[114:115], null, v17, s38, 0
	v_sub_nc_u32_e32 v17, v1, v19
	v_sub_nc_u32_e32 v18, v0, v20
	s_delay_alu instid0(VALU_DEP_4) | instskip(NEXT) | instid1(VALU_DEP_3)
	v_mad_co_i64_i32 v[120:121], null, v16, s38, 0
	v_mad_co_i64_i32 v[118:119], null, v17, s38, 0
	s_delay_alu instid0(VALU_DEP_3)
	v_mad_co_i64_i32 v[116:117], null, v18, s38, 0
.LBB14_110:                             ;   in Loop: Header=BB14_9 Depth=1
	s_wait_alu 0xfffe
	s_and_not1_b32 vcc_lo, exec_lo, s1
	s_wait_alu 0xfffe
	s_cbranch_vccnz .LBB14_115
; %bb.111:                              ;   in Loop: Header=BB14_9 Depth=1
	v_dual_mov_b32 v187, 0 :: v_dual_add_nc_u32 v14, v9, v14
	v_add_nc_u32_e32 v7, v1, v7
	v_add_nc_u32_e32 v15, v8, v15
	v_xor_b32_e32 v190, 16, v234
	s_delay_alu instid0(VALU_DEP_4)
	v_lshrrev_b32_e32 v14, s37, v14
	v_add_nc_u32_e32 v13, v5, v13
	v_add_nc_u32_e32 v6, v0, v6
	v_lshrrev_b32_e32 v15, s37, v15
	v_cmp_gt_i32_e32 vcc_lo, 32, v190
	v_mul_lo_u32 v14, v14, s24
	v_add_nc_u32_e32 v12, v4, v12
	v_dual_mov_b32 v191, 32 :: v_dual_lshlrev_b32 v16, 1, v173
	v_mul_lo_u32 v15, v15, s24
	s_lshl_b32 s92, s94, 6
	s_clause 0x2
	scratch_store_b32 off, v237, off offset:40
	scratch_store_b32 off, v236, off offset:36
	;; [unrolled: 1-line block ×3, first 2 shown]
	v_add_co_u32 v192, s1, s80, v16
	v_sub_nc_u32_e32 v9, v9, v14
	v_mov_b32_e32 v14, v187
	v_lshrrev_b32_e32 v7, s37, v7
	v_sub_nc_u32_e32 v8, v8, v15
	v_mov_b32_e32 v189, 0xfeffffff
	v_mad_co_i64_i32 v[106:107], null, v9, s38, 0
	s_delay_alu instid0(VALU_DEP_4) | instskip(NEXT) | instid1(VALU_DEP_4)
	v_mul_lo_u32 v7, v7, s24
	v_mad_co_i64_i32 v[108:109], null, v8, s38, 0
	v_add_nc_u32_e32 v8, v2, v10
	s_wait_alu 0xf1ff
	v_add_co_ci_u32_e64 v202, null, s81, 0, s1
	v_dual_mov_b32 v15, v187 :: v_dual_mov_b32 v18, v187
	v_sub_nc_u32_e32 v1, v1, v7
	v_lshrrev_b32_e32 v8, s37, v8
	scratch_store_b32 off, v234, off        ; 4-byte Folded Spill
	v_mov_b32_e32 v16, 0
	v_mad_co_i64_i32 v[118:119], null, v1, s38, 0
	s_wait_alu 0xfffd
	v_cndmask_b32_e32 v1, v234, v190, vcc_lo
	v_lshrrev_b32_e32 v12, s37, v12
	s_delay_alu instid0(VALU_DEP_2) | instskip(NEXT) | instid1(VALU_DEP_2)
	v_lshlrev_b32_e32 v77, 2, v1
	v_mul_lo_u32 v9, v12, s24
	v_mov_b32_e32 v12, 0
	v_lshrrev_b32_e32 v13, s37, v13
	v_mov_b32_e32 v1, v187
	s_delay_alu instid0(VALU_DEP_2) | instskip(SKIP_1) | instid1(VALU_DEP_1)
	v_mul_lo_u32 v13, v13, s24
	v_sub_nc_u32_e32 v4, v4, v9
	v_mad_co_i64_i32 v[112:113], null, v4, s38, 0
	s_delay_alu instid0(VALU_DEP_3) | instskip(SKIP_2) | instid1(VALU_DEP_3)
	v_sub_nc_u32_e32 v5, v5, v13
	v_mov_b32_e32 v13, v187
	v_lshrrev_b32_e32 v6, s37, v6
	v_mad_co_i64_i32 v[110:111], null, v5, s38, 0
	v_mul_lo_u32 v5, v8, s24
	v_dual_mov_b32 v8, 0 :: v_dual_add_nc_u32 v11, v3, v11
	s_delay_alu instid0(VALU_DEP_4) | instskip(SKIP_1) | instid1(VALU_DEP_3)
	v_mul_lo_u32 v4, v6, s24
	v_mov_b32_e32 v17, v187
	v_dual_mov_b32 v19, v187 :: v_dual_mov_b32 v6, v8
	s_delay_alu instid0(VALU_DEP_4) | instskip(SKIP_3) | instid1(VALU_DEP_4)
	v_lshrrev_b32_e32 v11, s37, v11
	v_sub_nc_u32_e32 v2, v2, v5
	v_dual_mov_b32 v9, v8 :: v_dual_mov_b32 v20, v8
	v_sub_nc_u32_e32 v0, v0, v4
	v_mul_lo_u32 v10, v11, s24
	s_delay_alu instid0(VALU_DEP_4) | instskip(SKIP_1) | instid1(VALU_DEP_4)
	v_mad_co_i64_i32 v[120:121], null, v2, s38, 0
	v_dual_mov_b32 v11, v8 :: v_dual_mov_b32 v22, v8
	v_mad_co_i64_i32 v[116:117], null, v0, s38, 0
	v_dual_mov_b32 v21, v8 :: v_dual_mov_b32 v0, 0
	v_sub_nc_u32_e32 v3, v3, v10
	v_dual_mov_b32 v10, v8 :: v_dual_mov_b32 v23, v8
	v_mov_b32_e32 v2, v187
	v_mov_b32_e32 v4, v8
	s_delay_alu instid0(VALU_DEP_4)
	v_mad_co_i64_i32 v[114:115], null, v3, s38, 0
	v_mov_b32_e32 v5, v8
	v_mov_b32_e32 v7, v8
	;; [unrolled: 1-line block ×3, first 2 shown]
.LBB14_112:                             ;   Parent Loop BB14_9 Depth=1
                                        ; =>  This Inner Loop Header: Depth=2
	s_ashr_i32 s93, s92, 31
	v_lshlrev_b64_e32 v[48:49], 1, v[108:109]
	s_lshl_b64 s[4:5], s[92:93], 1
	v_lshlrev_b64_e32 v[50:51], 1, v[106:107]
	s_wait_alu 0xfffe
	v_add_co_u32 v64, vcc_lo, v192, s4
	s_wait_alu 0xfffd
	v_add_co_ci_u32_e64 v65, null, s5, v202, vcc_lo
	v_lshlrev_b64_e32 v[52:53], 1, v[110:111]
	s_delay_alu instid0(VALU_DEP_3)
	v_add_co_u32 v48, vcc_lo, v64, v48
	v_lshlrev_b64_e32 v[54:55], 1, v[112:113]
	s_wait_alu 0xfffd
	v_add_co_ci_u32_e64 v49, null, v65, v49, vcc_lo
	v_add_co_u32 v50, vcc_lo, v64, v50
	v_lshlrev_b64_e32 v[56:57], 1, v[114:115]
	s_wait_alu 0xfffd
	v_add_co_ci_u32_e64 v51, null, v65, v51, vcc_lo
	;; [unrolled: 4-line block ×5, first 2 shown]
	v_add_co_u32 v58, vcc_lo, v64, v58
	s_wait_alu 0xfffd
	v_add_co_ci_u32_e64 v59, null, v65, v59, vcc_lo
	v_add_co_u32 v60, vcc_lo, v64, v60
	s_wait_alu 0xfffd
	v_add_co_ci_u32_e64 v61, null, v65, v61, vcc_lo
	;; [unrolled: 3-line block ×3, first 2 shown]
	s_clause 0x7
	global_load_b32 v48, v[48:49], off
	global_load_b32 v49, v[50:51], off
	;; [unrolled: 1-line block ×8, first 2 shown]
	v_add_nc_u32_e32 v56, v193, v140
	s_mul_u64 s[4:5], s[92:93], s[26:27]
	s_add_co_i32 s94, s94, 1
	s_wait_alu 0xfffe
	s_lshl_b64 s[4:5], s[4:5], 2
	v_add_nc_u32_e32 v57, 0x3400, v56
	s_wait_alu 0xfffe
	s_add_nc_u64 s[4:5], s[78:79], s[4:5]
	s_wait_loadcnt 0x6
	ds_store_2addr_b32 v57, v48, v49 offset1:144
	v_add_nc_u32_e32 v48, 0x3800, v56
	s_wait_loadcnt 0x4
	ds_store_2addr_b32 v48, v50, v51 offset0:32 offset1:176
	v_add_nc_u32_e32 v48, 0x3c00, v56
	s_wait_loadcnt 0x2
	ds_store_2addr_b32 v48, v52, v53 offset0:64 offset1:208
	;; [unrolled: 3-line block ×3, first 2 shown]
	s_wait_alu 0xfffe
	v_add_co_u32 v48, vcc_lo, s4, v136
	s_wait_alu 0xfffd
	v_add_co_ci_u32_e64 v49, null, s5, v137, vcc_lo
	s_delay_alu instid0(VALU_DEP_2) | instskip(SKIP_1) | instid1(VALU_DEP_2)
	v_add_co_u32 v48, vcc_lo, v48, v194
	s_wait_alu 0xfffd
	v_add_co_ci_u32_e64 v49, null, 0, v49, vcc_lo
	v_add_co_u32 v50, vcc_lo, s4, v93
	s_wait_alu 0xfffd
	v_add_co_ci_u32_e64 v51, null, s5, v94, vcc_lo
	s_delay_alu instid0(VALU_DEP_2) | instskip(SKIP_1) | instid1(VALU_DEP_2)
	v_add_co_u32 v52, vcc_lo, v50, v194
	s_wait_alu 0xfffd
	v_add_co_ci_u32_e64 v53, null, 0, v51, vcc_lo
	s_clause 0x1
	global_load_b128 v[48:51], v[48:49], off offset:128
	global_load_b128 v[52:55], v[52:53], off offset:128
	s_wait_loadcnt 0x1
	ds_store_b128 v145, v[48:51]
	s_wait_loadcnt 0x0
	ds_store_b128 v146, v[52:55]
	v_add_co_u32 v48, vcc_lo, s4, v95
	s_wait_alu 0xfffd
	v_add_co_ci_u32_e64 v49, null, s5, v96, vcc_lo
	s_delay_alu instid0(VALU_DEP_2) | instskip(SKIP_1) | instid1(VALU_DEP_2)
	v_add_co_u32 v48, vcc_lo, v48, v195
	s_wait_alu 0xfffd
	v_add_co_ci_u32_e64 v49, null, 0, v49, vcc_lo
	v_add_co_u32 v50, vcc_lo, s4, v97
	s_wait_alu 0xfffd
	v_add_co_ci_u32_e64 v51, null, s5, v98, vcc_lo
	s_delay_alu instid0(VALU_DEP_2) | instskip(SKIP_1) | instid1(VALU_DEP_2)
	v_add_co_u32 v52, vcc_lo, v50, v195
	s_wait_alu 0xfffd
	v_add_co_ci_u32_e64 v53, null, 0, v51, vcc_lo
	s_clause 0x1
	global_load_b128 v[48:51], v[48:49], off
	global_load_b128 v[52:55], v[52:53], off
	s_wait_loadcnt 0x1
	ds_store_b128 v147, v[48:51]
	s_wait_loadcnt 0x0
	ds_store_b128 v203, v[52:55]
	v_add_co_u32 v48, vcc_lo, s4, v99
	s_wait_alu 0xfffd
	v_add_co_ci_u32_e64 v49, null, s5, v100, vcc_lo
	s_delay_alu instid0(VALU_DEP_2) | instskip(SKIP_1) | instid1(VALU_DEP_2)
	v_add_co_u32 v48, vcc_lo, v48, v195
	s_wait_alu 0xfffd
	v_add_co_ci_u32_e64 v49, null, 0, v49, vcc_lo
	v_add_co_u32 v50, vcc_lo, s4, v101
	s_wait_alu 0xfffd
	v_add_co_ci_u32_e64 v51, null, s5, v102, vcc_lo
	s_mul_u64 s[4:5], s[92:93], s[34:35]
	v_add_co_u32 v52, vcc_lo, v50, v195
	s_wait_alu 0xfffd
	v_add_co_ci_u32_e64 v53, null, 0, v51, vcc_lo
	s_clause 0x1
	global_load_b128 v[48:51], v[48:49], off
	global_load_b128 v[52:55], v[52:53], off
	s_wait_alu 0xfffe
	s_lshl_b64 s[4:5], s[4:5], 2
	s_add_co_i32 s92, s92, 64
	s_wait_alu 0xfffe
	s_add_nc_u64 s[4:5], s[76:77], s[4:5]
	s_cmp_lt_i32 s94, s0
	s_wait_loadcnt 0x1
	ds_store_b128 v178, v[48:51]
	s_wait_loadcnt 0x0
	ds_store_b128 v209, v[52:55]
	s_wait_storecnt_dscnt 0x0
	s_barrier_signal -1
	s_barrier_wait -1
	global_inv scope:SCOPE_SE
	ds_load_b128 v[48:51], v142
	ds_load_b128 v[62:65], v142 offset:32
	v_add_nc_u32_e32 v52, 0x3400, v148
	s_wait_dscnt 0x1
	v_wmma_f32_16x16x16_f16 v[54:61], v[48:51], v[40:43], 0
	s_wait_dscnt 0x0
	s_delay_alu instid0(VALU_DEP_1)
	v_wmma_f32_16x16x16_f16 v[54:61], v[62:65], v[44:47], v[54:61]
	ds_load_b128 v[48:51], v142 offset:64
	ds_load_b128 v[62:65], v142 offset:96
	s_wait_dscnt 0x1
	v_wmma_f32_16x16x16_f16 v[54:61], v[48:51], v[36:39], v[54:61]
	s_wait_dscnt 0x0
	s_delay_alu instid0(VALU_DEP_1)
	v_wmma_f32_16x16x16_f16 v[54:61], v[62:65], v[32:35], v[54:61]
	ds_load_b128 v[48:51], v142 offset:128
	ds_load_b128 v[62:65], v142 offset:160
	s_wait_dscnt 0x1
	v_wmma_f32_16x16x16_f16 v[54:61], v[48:51], v[28:31], v[54:61]
	ds_load_b128 v[48:51], v142 offset:3328
	ds_load_b128 v[67:70], v142 offset:3360
	;; [unrolled: 1-line block ×18, first 2 shown]
	s_wait_loadcnt_dscnt 0x0
	s_barrier_signal -1
	s_barrier_wait -1
	v_wmma_f32_16x16x16_f16 v[54:61], v[62:65], v[24:27], v[54:61]
	v_add_nc_u32_e32 v62, 0x3400, v124
	global_inv scope:SCOPE_SE
	ds_load_2addr_b32 v[52:53], v52 offset1:1
	ds_load_2addr_b32 v[130:131], v62 offset1:1
	ds_load_b32 v62, v149 offset:13312
	ds_load_b32 v65, v148 offset:13320
	s_wait_dscnt 0x3
	v_cvt_f32_f16_e32 v63, v52
	v_lshrrev_b32_e32 v52, 16, v52
	v_cvt_f32_f16_e32 v64, v53
	v_lshrrev_b32_e32 v53, 16, v53
	s_wait_dscnt 0x0
	v_cvt_f32_f16_e32 v66, v65
	v_lshrrev_b32_e32 v65, 16, v65
	v_lshrrev_b32_e32 v125, 16, v62
	v_cvt_f32_f16_e32 v62, v62
	v_cvt_f32_f16_e32 v52, v52
	;; [unrolled: 1-line block ×4, first 2 shown]
	v_cvt_f32_f16_e64 v144, v125
	s_delay_alu instid0(VALU_DEP_4) | instskip(NEXT) | instid1(VALU_DEP_4)
	v_dual_add_f32 v54, v54, v63 :: v_dual_add_f32 v55, v55, v52
	v_dual_add_f32 v56, v56, v64 :: v_dual_add_f32 v157, v57, v53
	v_add_f32_e32 v143, v58, v66
	v_dual_add_f32 v125, v59, v65 :: v_dual_add_f32 v58, v60, v62
	v_add_f32_e32 v57, v61, v144
	v_wmma_f32_16x16x16_f16 v[59:66], v[48:51], v[40:43], 0
	v_add_nc_u32_e32 v48, 0x3400, v103
	s_delay_alu instid0(VALU_DEP_2) | instskip(SKIP_3) | instid1(VALU_DEP_4)
	v_wmma_f32_16x16x16_f16 v[59:66], v[67:70], v[44:47], v[59:66]
	v_add_nc_u32_e32 v67, 0x3400, v214
	v_lshrrev_b32_e32 v70, 16, v130
	v_cvt_f32_f16_e64 v69, v130
	v_wmma_f32_16x16x16_f16 v[59:66], v[71:74], v[36:39], v[59:66]
	v_lshrrev_b32_e32 v72, 16, v131
	v_cvt_f32_f16_e64 v71, v131
	v_cvt_f32_f16_e32 v70, v70
	s_delay_alu instid0(VALU_DEP_4) | instskip(NEXT) | instid1(VALU_DEP_4)
	v_wmma_f32_16x16x16_f16 v[59:66], v[126:129], v[32:35], v[59:66]
	v_cvt_f32_f16_e32 v72, v72
	s_delay_alu instid0(VALU_DEP_2) | instskip(NEXT) | instid1(VALU_DEP_1)
	v_wmma_f32_16x16x16_f16 v[59:66], v[159:162], v[28:31], v[59:66]
	v_wmma_f32_16x16x16_f16 v[59:66], v[204:207], v[24:27], v[59:66]
	v_add_nc_u32_e32 v50, 0x3400, v219
	v_add_nc_u32_e32 v52, 0x3400, v223
	ds_load_2addr_b32 v[48:49], v48 offset1:1
	ds_load_2addr_b32 v[50:51], v50 offset1:1
	;; [unrolled: 1-line block ×4, first 2 shown]
	v_add_f32_e32 v131, v59, v69
	v_add_f32_e32 v185, v60, v70
	v_add_f32_e32 v201, v61, v71
	s_wait_dscnt 0x3
	v_cvt_f32_f16_e32 v73, v48
	v_lshrrev_b32_e32 v48, 16, v48
	v_lshrrev_b32_e32 v74, 16, v49
	v_cvt_f32_f16_e32 v49, v49
	s_wait_dscnt 0x1
	v_cvt_f32_f16_e32 v69, v52
	v_add_f32_e32 v217, v63, v73
	v_cvt_f32_f16_e32 v48, v48
	v_cvt_f32_f16_e32 v74, v74
	v_lshrrev_b32_e32 v52, 16, v52
	v_lshrrev_b32_e32 v70, 16, v53
	v_cvt_f32_f16_e32 v53, v53
	v_add_f32_e32 v216, v64, v48
	v_cvt_f32_f16_e32 v48, v50
	v_add_f32_e32 v204, v65, v49
	v_lshrrev_b32_e32 v49, 16, v50
	v_add_f32_e32 v173, v66, v74
	v_cvt_f32_f16_e32 v50, v51
	v_lshrrev_b32_e32 v51, 16, v51
	v_cvt_f32_f16_e32 v52, v52
	v_cvt_f32_f16_e32 v49, v49
	v_add_f32_e32 v156, v62, v72
	v_wmma_f32_16x16x16_f16 v[59:66], v[210:213], v[40:43], 0
	v_cvt_f32_f16_e32 v51, v51
	v_cvt_f32_f16_e32 v70, v70
	s_delay_alu instid0(VALU_DEP_3) | instskip(NEXT) | instid1(VALU_DEP_1)
	v_wmma_f32_16x16x16_f16 v[59:66], v[224:227], v[44:47], v[59:66]
	v_wmma_f32_16x16x16_f16 v[59:66], v[230:233], v[36:39], v[59:66]
	s_delay_alu instid0(VALU_DEP_1) | instskip(NEXT) | instid1(VALU_DEP_1)
	v_wmma_f32_16x16x16_f16 v[59:66], v[234:237], v[32:35], v[59:66]
	v_wmma_f32_16x16x16_f16 v[59:66], v[238:241], v[28:31], v[59:66]
	s_delay_alu instid0(VALU_DEP_1) | instskip(NEXT) | instid1(VALU_DEP_1)
	v_wmma_f32_16x16x16_f16 v[59:66], v[249:252], v[24:27], v[59:66]
	v_dual_add_f32 v181, v59, v48 :: v_dual_add_nc_u32 v48, 0x3400, v215
	s_delay_alu instid0(VALU_DEP_2) | instskip(NEXT) | instid1(VALU_DEP_3)
	v_add_f32_e32 v197, v60, v49
	v_add_f32_e32 v127, v62, v51
	s_wait_dscnt 0x0
	v_lshrrev_b32_e32 v51, 16, v67
	v_dual_add_f32 v130, v64, v52 :: v_dual_add_f32 v129, v65, v53
	ds_load_2addr_b32 v[48:49], v48 offset1:1
	v_cvt_f32_f16_e32 v52, v68
	v_cvt_f32_f16_e32 v51, v51
	v_add_f32_e32 v126, v61, v50
	v_cvt_f32_f16_e32 v50, v67
	v_add_f32_e32 v198, v63, v69
	v_lshrrev_b32_e32 v53, 16, v68
	s_delay_alu instid0(VALU_DEP_1)
	v_cvt_f32_f16_e32 v53, v53
	s_wait_dscnt 0x0
	v_cvt_f32_f16_e32 v67, v48
	v_lshrrev_b32_e32 v48, 16, v48
	v_lshrrev_b32_e32 v68, 16, v49
	v_cvt_f32_f16_e32 v49, v49
	s_delay_alu instid0(VALU_DEP_3) | instskip(SKIP_3) | instid1(VALU_DEP_2)
	v_cvt_f32_f16_e32 v48, v48
	v_add_f32_e32 v128, v66, v70
	v_wmma_f32_16x16x16_f16 v[59:66], v[167:170], v[40:43], 0
	v_cvt_f32_f16_e32 v68, v68
	v_wmma_f32_16x16x16_f16 v[59:66], v[174:177], v[44:47], v[59:66]
	s_delay_alu instid0(VALU_DEP_1) | instskip(NEXT) | instid1(VALU_DEP_1)
	v_wmma_f32_16x16x16_f16 v[59:66], v[86:89], v[36:39], v[59:66]
	v_wmma_f32_16x16x16_f16 v[59:66], v[132:135], v[32:35], v[59:66]
	s_delay_alu instid0(VALU_DEP_1) | instskip(NEXT) | instid1(VALU_DEP_1)
	v_wmma_f32_16x16x16_f16 v[59:66], v[78:81], v[28:31], v[59:66]
	v_wmma_f32_16x16x16_f16 v[59:66], v[82:85], v[24:27], v[59:66]
	s_delay_alu instid0(VALU_DEP_1) | instskip(SKIP_2) | instid1(VALU_DEP_3)
	v_add_f32_e32 v179, v64, v48
	s_wait_alu 0xfffe
	v_add_co_u32 v48, vcc_lo, s4, v122
	v_add_f32_e32 v176, v65, v49
	s_wait_alu 0xfffd
	v_add_co_ci_u32_e64 v49, null, s5, v123, vcc_lo
	s_delay_alu instid0(VALU_DEP_3) | instskip(SKIP_2) | instid1(VALU_DEP_3)
	v_add_co_u32 v48, vcc_lo, v48, v194
	v_add_f32_e32 v78, v59, v50
	s_wait_alu 0xfffd
	v_add_co_ci_u32_e64 v49, null, 0, v49, vcc_lo
	v_add_co_u32 v50, vcc_lo, s4, v199
	v_add_f32_e32 v153, v60, v51
	s_wait_alu 0xfffd
	v_add_co_ci_u32_e64 v51, null, s5, v200, vcc_lo
	v_add_f32_e32 v167, v61, v52
	v_add_co_u32 v52, vcc_lo, v50, v194
	v_add_f32_e32 v168, v62, v53
	s_wait_alu 0xfffd
	v_add_co_ci_u32_e64 v53, null, 0, v51, vcc_lo
	s_clause 0x1
	global_load_b128 v[48:51], v[48:49], off offset:128
	global_load_b128 v[59:62], v[52:53], off offset:128
	v_add_f32_e32 v174, v66, v68
	v_add_f32_e32 v180, v63, v67
	s_wait_loadcnt 0x1
	ds_store_b128 v145, v[48:51]
	s_wait_loadcnt 0x0
	ds_store_b128 v146, v[59:62]
	v_add_co_u32 v48, vcc_lo, s4, v245
	s_wait_alu 0xfffd
	v_add_co_ci_u32_e64 v49, null, s5, v246, vcc_lo
	s_delay_alu instid0(VALU_DEP_2) | instskip(SKIP_1) | instid1(VALU_DEP_2)
	v_add_co_u32 v48, vcc_lo, v48, v195
	s_wait_alu 0xfffd
	v_add_co_ci_u32_e64 v49, null, 0, v49, vcc_lo
	v_add_co_u32 v50, vcc_lo, s4, v75
	s_wait_alu 0xfffd
	v_add_co_ci_u32_e64 v51, null, s5, v76, vcc_lo
	s_delay_alu instid0(VALU_DEP_2) | instskip(SKIP_1) | instid1(VALU_DEP_2)
	v_add_co_u32 v52, vcc_lo, v50, v195
	s_wait_alu 0xfffd
	v_add_co_ci_u32_e64 v53, null, 0, v51, vcc_lo
	s_clause 0x1
	global_load_b128 v[48:51], v[48:49], off
	global_load_b128 v[59:62], v[52:53], off
	s_wait_loadcnt 0x1
	ds_store_b128 v147, v[48:51]
	s_wait_loadcnt 0x0
	ds_store_b128 v203, v[59:62]
	v_add_co_u32 v48, vcc_lo, s4, v104
	s_wait_alu 0xfffd
	v_add_co_ci_u32_e64 v49, null, s5, v105, vcc_lo
	s_delay_alu instid0(VALU_DEP_2) | instskip(SKIP_1) | instid1(VALU_DEP_2)
	v_add_co_u32 v48, vcc_lo, v48, v195
	s_wait_alu 0xfffd
	v_add_co_ci_u32_e64 v49, null, 0, v49, vcc_lo
	v_add_co_u32 v50, vcc_lo, s4, v91
	s_wait_alu 0xfffd
	v_add_co_ci_u32_e64 v51, null, s5, v92, vcc_lo
	s_delay_alu instid0(VALU_DEP_2) | instskip(SKIP_1) | instid1(VALU_DEP_2)
	v_add_co_u32 v52, vcc_lo, v50, v195
	s_wait_alu 0xfffd
	v_add_co_ci_u32_e64 v53, null, 0, v51, vcc_lo
	s_clause 0x1
	global_load_b128 v[48:51], v[48:49], off
	global_load_b128 v[59:62], v[52:53], off
	s_wait_loadcnt 0x1
	ds_store_b128 v178, v[48:51]
	s_wait_loadcnt 0x0
	ds_store_b128 v209, v[59:62]
	v_add_nc_u32_e32 v48, 0x200, v150
	s_wait_dscnt 0x0
	s_barrier_signal -1
	s_barrier_wait -1
	global_inv scope:SCOPE_SE
	ds_load_2addr_b32 v[48:49], v48 offset0:112 offset1:132
	ds_load_2addr_b32 v[50:51], v150 offset0:208 offset1:224
	ds_load_2addr_b32 v[52:53], v151 offset1:16
	ds_load_2addr_b32 v[59:60], v152 offset1:16
	s_wait_dscnt 0x2
	v_perm_b32 v61, v49, v50, 0x7060302
	v_perm_b32 v65, v49, v50, 0x5040100
	v_add_nc_u32_e32 v49, 0x400, v150
	s_wait_dscnt 0x0
	v_perm_b32 v62, v59, v52, 0x7060302
	v_perm_b32 v66, v59, v52, 0x5040100
	;; [unrolled: 1-line block ×4, first 2 shown]
	ds_load_2addr_b32 v[79:80], v49 offset0:20 offset1:36
	s_wait_dscnt 0x0
	v_perm_b32 v69, v79, v51, 0x7060302
	v_perm_b32 v73, v79, v51, 0x5040100
	ds_load_2addr_b32 v[49:50], v150 offset0:104 offset1:120
	ds_load_2addr_b32 v[51:52], v150 offset0:136 offset1:156
	;; [unrolled: 1-line block ×3, first 2 shown]
	v_perm_b32 v53, v80, v48, 0x5040100
	s_wait_dscnt 0x1
	v_perm_b32 v60, v52, v49, 0x7060302
	v_perm_b32 v64, v52, v49, 0x5040100
	s_wait_dscnt 0x0
	v_perm_b32 v68, v81, v50, 0x7060302
	v_perm_b32 v72, v81, v50, 0x5040100
	;; [unrolled: 1-line block ×5, first 2 shown]
	ds_load_2addr_b32 v[79:80], v150 offset1:16
	ds_load_2addr_b32 v[81:82], v150 offset0:32 offset1:52
	s_wait_dscnt 0x0
	v_perm_b32 v59, v82, v79, 0x7060302
	v_perm_b32 v63, v82, v79, 0x5040100
	ds_load_2addr_b32 v[82:83], v150 offset0:68 offset1:84
	v_mov_b32_e32 v79, v189
	s_wait_dscnt 0x0
	v_perm_b32 v67, v82, v80, 0x7060302
	v_perm_b32 v71, v82, v80, 0x5040100
	;; [unrolled: 1-line block ×4, first 2 shown]
	v_dual_add_f32 v80, 0x40051340, v54 :: v_dual_add_f32 v81, 0x40051340, v55
	v_add_f32_e32 v82, 0x40051340, v157
	s_delay_alu instid0(VALU_DEP_2) | instskip(SKIP_1) | instid1(VALU_DEP_1)
	v_max3_num_f32 v80, v79, v80, v81
	v_add_f32_e32 v81, 0x40051340, v56
	v_max3_num_f32 v80, v80, v81, v82
	v_dual_add_f32 v81, 0x40051340, v143 :: v_dual_add_f32 v82, 0x40051340, v125
	s_delay_alu instid0(VALU_DEP_1) | instskip(SKIP_1) | instid1(VALU_DEP_1)
	v_max3_num_f32 v80, v80, v81, v82
	v_dual_add_f32 v81, 0x40051340, v58 :: v_dual_add_f32 v82, 0x40051340, v57
	v_max3_num_f32 v80, v80, v81, v82
	v_dual_add_f32 v81, 0x40051340, v131 :: v_dual_add_f32 v82, 0x40051340, v185
	s_delay_alu instid0(VALU_DEP_1) | instskip(SKIP_1) | instid1(VALU_DEP_1)
	v_max3_num_f32 v80, v80, v81, v82
	v_dual_add_f32 v81, 0x40051340, v201 :: v_dual_add_f32 v82, 0x40051340, v156
	;; [unrolled: 5-line block ×3, first 2 shown]
	v_max3_num_f32 v80, v80, v81, v82
	v_add_f32_e32 v81, 0x40051340, v181
	v_add_f32_e32 v82, 0x40051340, v197
	s_delay_alu instid0(VALU_DEP_1) | instskip(SKIP_1) | instid1(VALU_DEP_1)
	v_max3_num_f32 v80, v80, v81, v82
	v_dual_add_f32 v81, 0x40051340, v126 :: v_dual_add_f32 v82, 0x40051340, v127
	v_max3_num_f32 v80, v80, v81, v82
	v_add_f32_e32 v81, 0x40051340, v198
	v_add_f32_e32 v82, 0x40051340, v130
	s_delay_alu instid0(VALU_DEP_1) | instskip(SKIP_1) | instid1(VALU_DEP_1)
	v_max3_num_f32 v80, v80, v81, v82
	v_dual_add_f32 v81, 0x40051340, v129 :: v_dual_add_f32 v82, 0x40051340, v128
	v_max3_num_f32 v80, v80, v81, v82
	v_dual_add_f32 v81, 0x40051340, v78 :: v_dual_add_f32 v82, 0x40051340, v153
	s_delay_alu instid0(VALU_DEP_1) | instskip(SKIP_1) | instid1(VALU_DEP_1)
	v_max3_num_f32 v80, v80, v81, v82
	v_dual_add_f32 v81, 0x40051340, v167 :: v_dual_add_f32 v82, 0x40051340, v168
	v_max3_num_f32 v80, v80, v81, v82
	v_dual_add_f32 v81, 0x40051340, v180 :: v_dual_add_f32 v82, 0x40051340, v179
	s_delay_alu instid0(VALU_DEP_1) | instskip(SKIP_1) | instid1(VALU_DEP_1)
	v_max3_num_f32 v80, v80, v81, v82
	v_dual_add_f32 v81, 0x40051340, v176 :: v_dual_add_f32 v82, 0x40051340, v174
	v_max3_num_f32 v80, v80, v81, v82
	ds_bpermute_b32 v81, v77, v80
	s_wait_dscnt 0x0
	v_max_num_f32_e32 v81, v81, v81
	s_delay_alu instid0(VALU_DEP_1) | instskip(NEXT) | instid1(VALU_DEP_1)
	v_max_num_f32_e32 v189, v80, v81
	v_sub_f32_e32 v80, v143, v189
	v_sub_f32_e32 v58, v58, v189
	;; [unrolled: 1-line block ×4, first 2 shown]
	s_delay_alu instid0(VALU_DEP_4) | instskip(NEXT) | instid1(VALU_DEP_4)
	v_dual_sub_f32 v56, v56, v189 :: v_dual_mul_f32 v81, 0x3fb8aa3b, v80
	v_cmp_ngt_f32_e64 s3, 0xc2ce8ed0, v58
	s_delay_alu instid0(VALU_DEP_4) | instskip(SKIP_4) | instid1(VALU_DEP_1)
	v_cmp_ngt_f32_e64 s4, 0xc2ce8ed0, v57
	v_sub_f32_e32 v55, v55, v189
	v_sub_f32_e32 v78, v78, v189
	v_fma_f32 v82, 0x3fb8aa3b, v80, -v81
	v_rndne_f32_e32 v83, v81
	v_dual_fmac_f32 v82, 0x32a5705f, v80 :: v_dual_sub_f32 v81, v81, v83
	v_cvt_i32_f32_e32 v83, v83
	s_delay_alu instid0(VALU_DEP_2) | instskip(SKIP_2) | instid1(VALU_DEP_3)
	v_add_f32_e32 v81, v81, v82
	v_sub_f32_e32 v82, v125, v189
	v_cmp_ngt_f32_e64 s5, 0xc2ce8ed0, v80
	v_exp_f32_e32 v81, v81
	s_delay_alu instid0(VALU_DEP_2) | instskip(SKIP_1) | instid1(VALU_DEP_2)
	v_mul_f32_e32 v84, 0x3fb8aa3b, v82
	v_cmp_ngt_f32_e32 vcc_lo, 0xc2ce8ed0, v82
	v_fma_f32 v85, 0x3fb8aa3b, v82, -v84
	v_rndne_f32_e32 v86, v84
	s_delay_alu instid0(TRANS32_DEP_1) | instskip(NEXT) | instid1(VALU_DEP_3)
	v_ldexp_f32 v81, v81, v83
	v_fmac_f32_e32 v85, 0x32a5705f, v82
	s_delay_alu instid0(VALU_DEP_3) | instskip(NEXT) | instid1(VALU_DEP_1)
	v_sub_f32_e32 v84, v84, v86
	v_dual_add_f32 v84, v84, v85 :: v_dual_mul_f32 v85, 0x3fb8aa3b, v58
	s_delay_alu instid0(VALU_DEP_1) | instskip(NEXT) | instid1(VALU_DEP_1)
	v_exp_f32_e32 v84, v84
	v_fma_f32 v87, 0x3fb8aa3b, v58, -v85
	v_rndne_f32_e32 v88, v85
	s_delay_alu instid0(VALU_DEP_2) | instskip(NEXT) | instid1(VALU_DEP_2)
	v_fmac_f32_e32 v87, 0x32a5705f, v58
	v_sub_f32_e32 v85, v85, v88
	v_cvt_i32_f32_e32 v83, v88
	s_delay_alu instid0(VALU_DEP_2) | instskip(SKIP_1) | instid1(VALU_DEP_2)
	v_add_f32_e32 v85, v85, v87
	v_mul_f32_e32 v87, 0x3fb8aa3b, v57
	v_exp_f32_e32 v85, v85
	s_delay_alu instid0(VALU_DEP_1) | instskip(SKIP_1) | instid1(VALU_DEP_2)
	v_fma_f32 v89, 0x3fb8aa3b, v57, -v87
	v_rndne_f32_e32 v125, v87
	v_fmac_f32_e32 v89, 0x32a5705f, v57
	s_delay_alu instid0(TRANS32_DEP_1) | instskip(SKIP_1) | instid1(VALU_DEP_1)
	v_ldexp_f32 v83, v85, v83
	v_cvt_i32_f32_e32 v85, v86
	v_ldexp_f32 v84, v84, v85
	v_cvt_i32_f32_e32 v85, v125
	s_wait_alu 0xfffd
	s_delay_alu instid0(VALU_DEP_2)
	v_cndmask_b32_e32 v84, 0, v84, vcc_lo
	v_cmp_nlt_f32_e32 vcc_lo, 0x42b17218, v82
	v_sub_f32_e32 v87, v87, v125
	s_wait_alu 0xf1ff
	v_cndmask_b32_e64 v82, 0, v83, s3
	v_cmp_nlt_f32_e64 s3, 0x42b17218, v58
	s_wait_alu 0xfffd
	v_dual_cndmask_b32 v154, 0x7f800000, v84 :: v_dual_add_f32 v87, v87, v89
	s_wait_alu 0xf1ff
	s_delay_alu instid0(VALU_DEP_2) | instskip(SKIP_1) | instid1(VALU_DEP_3)
	v_cndmask_b32_e64 v125, 0x7f800000, v82, s3
	v_cmp_ngt_f32_e64 s3, 0xc2ce8ed0, v56
	v_exp_f32_e32 v86, v87
	s_delay_alu instid0(TRANS32_DEP_1) | instskip(NEXT) | instid1(VALU_DEP_1)
	v_ldexp_f32 v85, v86, v85
	v_cndmask_b32_e64 v58, 0, v85, s4
	v_cmp_nlt_f32_e64 s4, 0x42b17218, v57
	v_cndmask_b32_e64 v57, 0, v81, s5
	v_cmp_nlt_f32_e64 s5, 0x42b17218, v80
	v_cvt_f16_f32_e64 v81, v154
	s_wait_alu 0xf1ff
	v_cndmask_b32_e64 v143, 0x7f800000, v58, s4
	v_cvt_f16_f32_e32 v58, v125
	v_cndmask_b32_e64 v144, 0x7f800000, v57, s5
	s_delay_alu instid0(VALU_DEP_3) | instskip(NEXT) | instid1(VALU_DEP_2)
	v_cvt_f16_f32_e64 v80, v143
	v_cvt_f16_f32_e64 v57, v144
	s_delay_alu instid0(VALU_DEP_2) | instskip(SKIP_1) | instid1(VALU_DEP_3)
	v_pack_b32_f16 v58, v58, v80
	v_sub_f32_e32 v80, v157, v189
	v_pack_b32_f16 v57, v57, v81
	s_delay_alu instid0(VALU_DEP_2) | instskip(SKIP_1) | instid1(VALU_DEP_2)
	v_mul_f32_e32 v81, 0x3fb8aa3b, v80
	v_cmp_ngt_f32_e32 vcc_lo, 0xc2ce8ed0, v80
	v_fma_f32 v82, 0x3fb8aa3b, v80, -v81
	v_rndne_f32_e32 v83, v81
	s_delay_alu instid0(VALU_DEP_1) | instskip(SKIP_1) | instid1(VALU_DEP_2)
	v_dual_fmac_f32 v82, 0x32a5705f, v80 :: v_dual_sub_f32 v81, v81, v83
	v_cvt_i32_f32_e32 v83, v83
	v_dual_add_f32 v81, v81, v82 :: v_dual_mul_f32 v82, 0x3fb8aa3b, v56
	s_delay_alu instid0(VALU_DEP_1) | instskip(SKIP_1) | instid1(VALU_DEP_2)
	v_rndne_f32_e32 v85, v82
	v_fma_f32 v84, 0x3fb8aa3b, v56, -v82
	v_sub_f32_e32 v82, v82, v85
	s_delay_alu instid0(VALU_DEP_4) | instskip(NEXT) | instid1(VALU_DEP_2)
	v_exp_f32_e32 v81, v81
	v_fmac_f32_e32 v84, 0x32a5705f, v56
	s_delay_alu instid0(TRANS32_DEP_1) | instskip(NEXT) | instid1(VALU_DEP_2)
	v_ldexp_f32 v81, v81, v83
	v_add_f32_e32 v82, v82, v84
	v_cvt_i32_f32_e32 v83, v85
	s_wait_alu 0xfffd
	s_delay_alu instid0(VALU_DEP_3) | instskip(NEXT) | instid1(VALU_DEP_3)
	v_cndmask_b32_e32 v81, 0, v81, vcc_lo
	v_exp_f32_e32 v82, v82
	v_cmp_nlt_f32_e32 vcc_lo, 0x42b17218, v80
	s_wait_alu 0xfffd
	s_delay_alu instid0(VALU_DEP_2) | instskip(SKIP_1) | instid1(TRANS32_DEP_1)
	v_cndmask_b32_e32 v159, 0x7f800000, v81, vcc_lo
	v_cmp_ngt_f32_e32 vcc_lo, 0xc2ce8ed0, v55
	v_ldexp_f32 v82, v82, v83
	s_delay_alu instid0(VALU_DEP_1) | instskip(SKIP_2) | instid1(VALU_DEP_1)
	v_cndmask_b32_e64 v80, 0, v82, s3
	v_cmp_nlt_f32_e64 s3, 0x42b17218, v56
	s_wait_alu 0xf1ff
	v_cndmask_b32_e64 v157, 0x7f800000, v80, s3
	v_cvt_f16_f32_e64 v80, v159
	s_delay_alu instid0(VALU_DEP_2) | instskip(NEXT) | instid1(VALU_DEP_1)
	v_cvt_f16_f32_e64 v56, v157
	v_pack_b32_f16 v56, v56, v80
	v_mul_f32_e32 v80, 0x3fb8aa3b, v55
	s_delay_alu instid0(VALU_DEP_1) | instskip(SKIP_1) | instid1(VALU_DEP_1)
	v_fma_f32 v81, 0x3fb8aa3b, v55, -v80
	v_rndne_f32_e32 v82, v80
	v_dual_fmac_f32 v81, 0x32a5705f, v55 :: v_dual_sub_f32 v80, v80, v82
	v_cvt_i32_f32_e32 v82, v82
	s_delay_alu instid0(VALU_DEP_2) | instskip(NEXT) | instid1(VALU_DEP_1)
	v_dual_add_f32 v80, v80, v81 :: v_dual_mul_f32 v81, 0x3fb8aa3b, v54
	v_fma_f32 v83, 0x3fb8aa3b, v54, -v81
	v_rndne_f32_e32 v84, v81
	s_delay_alu instid0(VALU_DEP_2) | instskip(NEXT) | instid1(VALU_DEP_2)
	v_fmac_f32_e32 v83, 0x32a5705f, v54
	v_sub_f32_e32 v81, v81, v84
	v_exp_f32_e32 v80, v80
	s_delay_alu instid0(VALU_DEP_1) | instskip(SKIP_1) | instid1(VALU_DEP_2)
	v_add_f32_e32 v81, v81, v83
	v_cmp_ngt_f32_e64 s3, 0xc2ce8ed0, v54
	v_exp_f32_e32 v81, v81
	s_delay_alu instid0(TRANS32_DEP_2) | instskip(SKIP_2) | instid1(VALU_DEP_2)
	v_ldexp_f32 v80, v80, v82
	v_cvt_i32_f32_e32 v82, v84
	s_wait_alu 0xfffd
	v_cndmask_b32_e32 v80, 0, v80, vcc_lo
	v_cmp_nlt_f32_e32 vcc_lo, 0x42b17218, v55
	s_delay_alu instid0(TRANS32_DEP_1) | instid1(VALU_DEP_3)
	v_ldexp_f32 v81, v81, v82
	s_wait_alu 0xfffd
	s_delay_alu instid0(VALU_DEP_3) | instskip(SKIP_1) | instid1(VALU_DEP_2)
	v_cndmask_b32_e32 v161, 0x7f800000, v80, vcc_lo
	s_wait_alu 0xf1ff
	v_cndmask_b32_e64 v55, 0, v81, s3
	v_cmp_nlt_f32_e64 s3, 0x42b17218, v54
	s_wait_alu 0xf1ff
	s_delay_alu instid0(VALU_DEP_1) | instskip(SKIP_1) | instid1(VALU_DEP_2)
	v_cndmask_b32_e64 v160, 0x7f800000, v55, s3
	v_cvt_f16_f32_e64 v55, v161
	v_cvt_f16_f32_e64 v54, v160
	s_delay_alu instid0(VALU_DEP_1) | instskip(SKIP_1) | instid1(VALU_DEP_1)
	v_pack_b32_f16 v55, v54, v55
	v_sub_f32_e32 v54, v79, v189
	v_mul_f32_e32 v79, 0x3fb8aa3b, v54
	v_cmp_ngt_f32_e32 vcc_lo, 0xc2ce8ed0, v54
	s_delay_alu instid0(VALU_DEP_2) | instskip(SKIP_1) | instid1(VALU_DEP_1)
	v_fma_f32 v80, 0x3fb8aa3b, v54, -v79
	v_rndne_f32_e32 v81, v79
	v_dual_fmac_f32 v80, 0x32a5705f, v54 :: v_dual_sub_f32 v79, v79, v81
	s_delay_alu instid0(VALU_DEP_1) | instskip(SKIP_1) | instid1(VALU_DEP_2)
	v_add_f32_e32 v79, v79, v80
	v_cvt_i32_f32_e32 v80, v81
	v_exp_f32_e32 v79, v79
	s_delay_alu instid0(TRANS32_DEP_1) | instskip(SKIP_1) | instid1(VALU_DEP_1)
	v_ldexp_f32 v79, v79, v80
	s_wait_alu 0xfffd
	v_cndmask_b32_e32 v79, 0, v79, vcc_lo
	v_cmp_nlt_f32_e32 vcc_lo, 0x42b17218, v54
	s_wait_alu 0xfffd
	s_delay_alu instid0(VALU_DEP_2) | instskip(SKIP_2) | instid1(VALU_DEP_2)
	v_cndmask_b32_e32 v79, 0x7f800000, v79, vcc_lo
	v_cmp_le_f32_e32 vcc_lo, 0xc1a00000, v54
	s_wait_alu 0xfffd
	v_cndmask_b32_e32 v162, 0, v79, vcc_lo
	s_delay_alu instid0(VALU_DEP_1) | instskip(NEXT) | instid1(VALU_DEP_1)
	v_cvt_f16_f32_e64 v54, v162
	v_and_b32_e32 v54, 0xffff, v54
	s_delay_alu instid0(VALU_DEP_1) | instskip(NEXT) | instid1(VALU_DEP_1)
	v_mul_u32_u24_e32 v163, 0x10001, v54
	v_pk_mul_f16 v20, v20, v163
	v_pk_mul_f16 v21, v21, v163
	;; [unrolled: 1-line block ×8, first 2 shown]
	v_wmma_f16_16x16x16_f16 v[20:23], v[63:66], v[55:58], v[20:23]
	v_pk_mul_f16 v4, v4, v163
	v_pk_mul_f16 v5, v5, v163
	;; [unrolled: 1-line block ×3, first 2 shown]
	v_wmma_f16_16x16x16_f16 v[16:19], v[59:62], v[55:58], v[16:19]
	ds_load_b32 v59, v151 offset:128
	ds_load_b32 v60, v152 offset:128
	;; [unrolled: 1-line block ×8, first 2 shown]
	v_pk_mul_f16 v7, v7, v163
	v_pk_mul_f16 v0, v0, v163
	v_pk_mul_f16 v1, v1, v163
	v_pk_mul_f16 v2, v2, v163
	v_pk_mul_f16 v3, v3, v163
	v_pk_mul_f16 v8, v8, v163
	v_pk_mul_f16 v9, v9, v163
	v_pk_mul_f16 v10, v10, v163
	v_pk_mul_f16 v11, v11, v163
	v_pk_mul_f16 v12, v12, v163
	v_pk_mul_f16 v13, v13, v163
	v_pk_mul_f16 v14, v14, v163
	v_pk_mul_f16 v15, v15, v163
	s_wait_dscnt 0x6
	v_perm_b32 v54, v60, v59, 0x5040100
	v_wmma_f16_16x16x16_f16 v[8:11], v[71:74], v[55:58], v[8:11]
	s_delay_alu instid0(VALU_DEP_3) | instskip(NEXT) | instid1(VALU_DEP_3)
	v_wmma_f16_16x16x16_f16 v[12:15], v[67:70], v[55:58], v[12:15]
	v_wmma_f16_16x16x16_f16 v[4:7], v[51:54], v[55:58], v[4:7]
	v_perm_b32 v51, v60, v59, 0x7060302
	v_sub_f32_e32 v60, v217, v189
	s_delay_alu instid0(VALU_DEP_2)
	v_wmma_f16_16x16x16_f16 v[0:3], v[48:51], v[55:58], v[0:3]
	v_add_nc_u32_e32 v48, 0xc00, v151
	v_add_nc_u32_e32 v50, 0xc00, v152
	;; [unrolled: 1-line block ×3, first 2 shown]
	ds_load_2addr_b32 v[48:49], v48 offset0:64 offset1:80
	ds_load_2addr_b32 v[52:53], v50 offset0:64 offset1:80
	;; [unrolled: 1-line block ×4, first 2 shown]
	v_cmp_ngt_f32_e64 s5, 0xc2ce8ed0, v60
	ds_load_2addr_b32 v[73:74], v58 offset0:84 offset1:100
	s_wait_dscnt 0x3
	v_perm_b32 v51, v52, v48, 0x7060302
	v_perm_b32 v55, v52, v48, 0x5040100
	s_wait_dscnt 0x1
	v_perm_b32 v50, v68, v56, 0x7060302
	v_perm_b32 v54, v68, v56, 0x5040100
	v_add_nc_u32_e32 v56, 0xc00, v150
	v_perm_b32 v59, v53, v49, 0x7060302
	v_perm_b32 v70, v53, v49, 0x5040100
	ds_load_2addr_b32 v[71:72], v56 offset0:168 offset1:184
	ds_load_2addr_b32 v[52:53], v56 offset0:200 offset1:220
	;; [unrolled: 1-line block ×5, first 2 shown]
	s_wait_dscnt 0x5
	v_perm_b32 v58, v73, v57, 0x7060302
	v_perm_b32 v69, v73, v57, 0x5040100
	;; [unrolled: 1-line block ×4, first 2 shown]
	v_mul_f32_e32 v74, 0x3fb8aa3b, v60
	s_wait_dscnt 0x3
	v_perm_b32 v49, v53, v71, 0x7060302
	s_wait_dscnt 0x2
	v_perm_b32 v57, v79, v72, 0x7060302
	v_perm_b32 v68, v79, v72, 0x5040100
	;; [unrolled: 1-line block ×4, first 2 shown]
	s_wait_dscnt 0x0
	v_perm_b32 v48, v85, v82, 0x7060302
	v_perm_b32 v52, v85, v82, 0x5040100
	ds_load_2addr_b32 v[85:86], v56 offset0:132 offset1:148
	v_fma_f32 v82, 0x3fb8aa3b, v60, -v74
	v_perm_b32 v53, v53, v71, 0x5040100
	s_delay_alu instid0(VALU_DEP_2)
	v_fmac_f32_e32 v82, 0x32a5705f, v60
	s_wait_dscnt 0x0
	v_perm_b32 v56, v85, v83, 0x7060302
	v_perm_b32 v67, v85, v83, 0x5040100
	v_rndne_f32_e32 v83, v74
	v_perm_b32 v71, v86, v84, 0x7060302
	v_perm_b32 v79, v86, v84, 0x5040100
	s_delay_alu instid0(VALU_DEP_3) | instskip(SKIP_1) | instid1(VALU_DEP_2)
	v_sub_f32_e32 v74, v74, v83
	v_cvt_i32_f32_e32 v83, v83
	v_add_f32_e32 v74, v74, v82
	v_sub_f32_e32 v82, v216, v189
	s_delay_alu instid0(VALU_DEP_2) | instskip(NEXT) | instid1(VALU_DEP_1)
	v_exp_f32_e32 v74, v74
	v_mul_f32_e32 v84, 0x3fb8aa3b, v82
	v_cmp_ngt_f32_e32 vcc_lo, 0xc2ce8ed0, v82
	s_delay_alu instid0(VALU_DEP_2) | instskip(SKIP_1) | instid1(TRANS32_DEP_1)
	v_fma_f32 v85, 0x3fb8aa3b, v82, -v84
	v_rndne_f32_e32 v86, v84
	v_ldexp_f32 v74, v74, v83
	s_delay_alu instid0(VALU_DEP_3) | instskip(NEXT) | instid1(VALU_DEP_3)
	v_fmac_f32_e32 v85, 0x32a5705f, v82
	v_sub_f32_e32 v84, v84, v86
	v_cvt_i32_f32_e32 v86, v86
	s_wait_alu 0xf1ff
	v_cndmask_b32_e64 v74, 0, v74, s5
	v_cmp_nlt_f32_e64 s5, 0x42b17218, v60
	v_add_f32_e32 v84, v84, v85
	v_sub_f32_e32 v85, v204, v189
	s_delay_alu instid0(VALU_DEP_2) | instskip(NEXT) | instid1(VALU_DEP_1)
	v_exp_f32_e32 v84, v84
	v_mul_f32_e32 v87, 0x3fb8aa3b, v85
	v_cmp_ngt_f32_e64 s3, 0xc2ce8ed0, v85
	s_delay_alu instid0(VALU_DEP_2) | instskip(SKIP_1) | instid1(TRANS32_DEP_1)
	v_fma_f32 v88, 0x3fb8aa3b, v85, -v87
	v_rndne_f32_e32 v89, v87
	v_ldexp_f32 v84, v84, v86
	s_delay_alu instid0(VALU_DEP_3) | instskip(NEXT) | instid1(VALU_DEP_3)
	v_fmac_f32_e32 v88, 0x32a5705f, v85
	v_sub_f32_e32 v87, v87, v89
	v_cvt_i32_f32_e32 v83, v89
	s_wait_alu 0xfffd
	v_cndmask_b32_e32 v84, 0, v84, vcc_lo
	v_cmp_nlt_f32_e32 vcc_lo, 0x42b17218, v82
	v_dual_add_f32 v87, v87, v88 :: v_dual_sub_f32 v88, v173, v189
	s_delay_alu instid0(VALU_DEP_1) | instskip(NEXT) | instid1(VALU_DEP_1)
	v_exp_f32_e32 v87, v87
	v_mul_f32_e32 v132, 0x3fb8aa3b, v88
	v_cmp_ngt_f32_e64 s4, 0xc2ce8ed0, v88
	s_delay_alu instid0(VALU_DEP_2) | instskip(SKIP_1) | instid1(TRANS32_DEP_1)
	v_fma_f32 v133, 0x3fb8aa3b, v88, -v132
	v_rndne_f32_e32 v134, v132
	v_ldexp_f32 v83, v87, v83
	s_delay_alu instid0(VALU_DEP_2) | instskip(SKIP_2) | instid1(VALU_DEP_3)
	v_dual_fmac_f32 v133, 0x32a5705f, v88 :: v_dual_sub_f32 v132, v132, v134
	v_cvt_i32_f32_e32 v86, v134
	s_wait_alu 0xf1ff
	v_cndmask_b32_e64 v82, 0, v83, s3
	v_cmp_nlt_f32_e64 s3, 0x42b17218, v85
	v_add_f32_e32 v132, v132, v133
	s_delay_alu instid0(VALU_DEP_1) | instskip(SKIP_2) | instid1(TRANS32_DEP_1)
	v_exp_f32_e32 v87, v132
	s_wait_alu 0xfffd
	v_cndmask_b32_e32 v132, 0x7f800000, v84, vcc_lo
	v_ldexp_f32 v86, v87, v86
	v_cndmask_b32_e64 v87, 0x7f800000, v74, s5
	s_delay_alu instid0(VALU_DEP_2) | instskip(SKIP_4) | instid1(VALU_DEP_3)
	v_cndmask_b32_e64 v83, 0, v86, s4
	v_cmp_nlt_f32_e64 s4, 0x42b17218, v88
	s_wait_alu 0xf1ff
	v_cndmask_b32_e64 v88, 0x7f800000, v82, s3
	v_cvt_f16_f32_e32 v60, v87
	v_cndmask_b32_e64 v89, 0x7f800000, v83, s4
	v_cvt_f16_f32_e64 v83, v132
	s_delay_alu instid0(VALU_DEP_4) | instskip(NEXT) | instid1(VALU_DEP_3)
	v_cvt_f16_f32_e32 v74, v88
	v_cvt_f16_f32_e32 v82, v89
	s_delay_alu instid0(VALU_DEP_3) | instskip(SKIP_1) | instid1(VALU_DEP_3)
	v_pack_b32_f16 v85, v60, v83
	v_sub_f32_e32 v60, v156, v189
	v_pack_b32_f16 v86, v74, v82
	s_delay_alu instid0(VALU_DEP_2) | instskip(SKIP_1) | instid1(VALU_DEP_2)
	v_mul_f32_e32 v74, 0x3fb8aa3b, v60
	v_cmp_ngt_f32_e32 vcc_lo, 0xc2ce8ed0, v60
	v_fma_f32 v82, 0x3fb8aa3b, v60, -v74
	v_rndne_f32_e32 v83, v74
	s_delay_alu instid0(VALU_DEP_2) | instskip(NEXT) | instid1(VALU_DEP_2)
	v_fmac_f32_e32 v82, 0x32a5705f, v60
	v_sub_f32_e32 v74, v74, v83
	v_cvt_i32_f32_e32 v83, v83
	s_delay_alu instid0(VALU_DEP_2) | instskip(SKIP_1) | instid1(VALU_DEP_2)
	v_add_f32_e32 v74, v74, v82
	v_sub_f32_e32 v82, v201, v189
	v_exp_f32_e32 v74, v74
	s_delay_alu instid0(VALU_DEP_1) | instskip(SKIP_1) | instid1(VALU_DEP_2)
	v_mul_f32_e32 v84, 0x3fb8aa3b, v82
	v_cmp_ngt_f32_e64 s3, 0xc2ce8ed0, v82
	v_fma_f32 v133, 0x3fb8aa3b, v82, -v84
	v_rndne_f32_e32 v134, v84
	s_delay_alu instid0(TRANS32_DEP_1) | instskip(NEXT) | instid1(VALU_DEP_3)
	v_ldexp_f32 v74, v74, v83
	v_fmac_f32_e32 v133, 0x32a5705f, v82
	s_delay_alu instid0(VALU_DEP_3)
	v_sub_f32_e32 v84, v84, v134
	v_cvt_i32_f32_e32 v83, v134
	s_wait_alu 0xfffd
	v_cndmask_b32_e32 v74, 0, v74, vcc_lo
	v_cmp_nlt_f32_e32 vcc_lo, 0x42b17218, v60
	v_add_f32_e32 v84, v84, v133
	s_wait_alu 0xfffd
	s_delay_alu instid0(VALU_DEP_3) | instskip(NEXT) | instid1(VALU_DEP_2)
	v_cndmask_b32_e32 v134, 0x7f800000, v74, vcc_lo
	v_exp_f32_e32 v84, v84
	s_delay_alu instid0(VALU_DEP_1) | instskip(NEXT) | instid1(TRANS32_DEP_1)
	v_cvt_f16_f32_e64 v74, v134
	v_ldexp_f32 v83, v84, v83
	s_wait_alu 0xf1ff
	s_delay_alu instid0(VALU_DEP_1) | instskip(SKIP_2) | instid1(VALU_DEP_1)
	v_cndmask_b32_e64 v60, 0, v83, s3
	v_cmp_nlt_f32_e64 s3, 0x42b17218, v82
	s_wait_alu 0xf1ff
	v_cndmask_b32_e64 v133, 0x7f800000, v60, s3
	s_delay_alu instid0(VALU_DEP_1) | instskip(NEXT) | instid1(VALU_DEP_1)
	v_cvt_f16_f32_e64 v60, v133
	v_pack_b32_f16 v84, v60, v74
	v_sub_f32_e32 v60, v185, v189
	s_delay_alu instid0(VALU_DEP_1) | instskip(SKIP_1) | instid1(VALU_DEP_2)
	v_mul_f32_e32 v74, 0x3fb8aa3b, v60
	v_cmp_ngt_f32_e32 vcc_lo, 0xc2ce8ed0, v60
	v_fma_f32 v82, 0x3fb8aa3b, v60, -v74
	v_rndne_f32_e32 v83, v74
	s_delay_alu instid0(VALU_DEP_2) | instskip(NEXT) | instid1(VALU_DEP_2)
	v_fmac_f32_e32 v82, 0x32a5705f, v60
	v_sub_f32_e32 v74, v74, v83
	v_cvt_i32_f32_e32 v83, v83
	s_delay_alu instid0(VALU_DEP_2) | instskip(SKIP_1) | instid1(VALU_DEP_2)
	v_add_f32_e32 v74, v74, v82
	v_sub_f32_e32 v82, v131, v189
	v_exp_f32_e32 v74, v74
	s_delay_alu instid0(VALU_DEP_1) | instskip(SKIP_1) | instid1(VALU_DEP_2)
	v_mul_f32_e32 v131, 0x3fb8aa3b, v82
	v_cmp_ngt_f32_e64 s3, 0xc2ce8ed0, v82
	v_fma_f32 v135, 0x3fb8aa3b, v82, -v131
	v_rndne_f32_e32 v156, v131
	s_delay_alu instid0(TRANS32_DEP_1) | instskip(NEXT) | instid1(VALU_DEP_3)
	v_ldexp_f32 v74, v74, v83
	v_fmac_f32_e32 v135, 0x32a5705f, v82
	s_delay_alu instid0(VALU_DEP_3)
	v_sub_f32_e32 v131, v131, v156
	v_cvt_i32_f32_e32 v83, v156
	s_wait_alu 0xfffd
	v_cndmask_b32_e32 v74, 0, v74, vcc_lo
	v_cmp_nlt_f32_e32 vcc_lo, 0x42b17218, v60
	v_add_f32_e32 v131, v131, v135
	s_wait_alu 0xfffd
	s_delay_alu instid0(VALU_DEP_3) | instskip(NEXT) | instid1(VALU_DEP_2)
	v_cndmask_b32_e32 v135, 0x7f800000, v74, vcc_lo
	v_exp_f32_e32 v131, v131
	s_delay_alu instid0(VALU_DEP_1) | instskip(NEXT) | instid1(TRANS32_DEP_1)
	v_cvt_f16_f32_e64 v74, v135
	v_ldexp_f32 v83, v131, v83
	s_wait_alu 0xf1ff
	s_delay_alu instid0(VALU_DEP_1) | instskip(SKIP_3) | instid1(VALU_DEP_2)
	v_cndmask_b32_e64 v60, 0, v83, s3
	v_cmp_nlt_f32_e64 s3, 0x42b17218, v82
	v_perm_b32 v82, v62, v61, 0x5040100
	s_wait_alu 0xf1ff
	v_cndmask_b32_e64 v131, 0x7f800000, v60, s3
	s_delay_alu instid0(VALU_DEP_1) | instskip(NEXT) | instid1(VALU_DEP_1)
	v_cvt_f16_f32_e64 v60, v131
	v_pack_b32_f16 v83, v60, v74
	v_perm_b32 v74, v62, v61, 0x7060302
	s_delay_alu instid0(VALU_DEP_2)
	v_wmma_f16_16x16x16_f16 v[16:19], v[48:51], v[83:86], v[16:19]
	v_add_nc_u32_e32 v48, 0x1800, v151
	v_add_nc_u32_e32 v50, 0x1800, v152
	v_wmma_f16_16x16x16_f16 v[8:11], v[67:70], v[83:86], v[8:11]
	v_add_nc_u32_e32 v67, 0x1c00, v150
	v_wmma_f16_16x16x16_f16 v[20:23], v[52:55], v[83:86], v[20:23]
	v_wmma_f16_16x16x16_f16 v[12:15], v[56:59], v[83:86], v[12:15]
	ds_load_2addr_b32 v[48:49], v48 offset0:128 offset1:144
	ds_load_2addr_b32 v[52:53], v50 offset0:128 offset1:144
	;; [unrolled: 1-line block ×4, first 2 shown]
	v_wmma_f16_16x16x16_f16 v[4:7], v[79:82], v[83:86], v[4:7]
	v_wmma_f16_16x16x16_f16 v[0:3], v[71:74], v[83:86], v[0:3]
	ds_load_2addr_b32 v[71:72], v67 offset0:148 offset1:164
	s_wait_dscnt 0x3
	v_perm_b32 v51, v52, v48, 0x7060302
	v_perm_b32 v55, v52, v48, 0x5040100
	s_wait_dscnt 0x1
	v_perm_b32 v50, v61, v56, 0x7060302
	v_perm_b32 v54, v61, v56, 0x5040100
	v_add_nc_u32_e32 v56, 0x1800, v150
	v_perm_b32 v59, v53, v49, 0x7060302
	v_perm_b32 v70, v53, v49, 0x5040100
	ds_load_2addr_b32 v[61:62], v56 offset0:232 offset1:248
	ds_load_2addr_b32 v[52:53], v67 offset0:8 offset1:28
	;; [unrolled: 1-line block ×5, first 2 shown]
	s_wait_dscnt 0x5
	v_perm_b32 v58, v71, v57, 0x7060302
	v_perm_b32 v69, v71, v57, 0x5040100
	s_wait_dscnt 0x3
	v_perm_b32 v49, v53, v61, 0x7060302
	v_perm_b32 v53, v53, v61, 0x5040100
	;; [unrolled: 3-line block ×3, first 2 shown]
	v_perm_b32 v61, v74, v52, 0x7060302
	v_perm_b32 v62, v72, v60, 0x7060302
	;; [unrolled: 1-line block ×4, first 2 shown]
	s_wait_dscnt 0x0
	v_perm_b32 v48, v82, v79, 0x7060302
	v_perm_b32 v52, v82, v79, 0x5040100
	ds_load_2addr_b32 v[82:83], v56 offset0:196 offset1:212
	v_sub_f32_e32 v74, v198, v189
	s_delay_alu instid0(VALU_DEP_1)
	v_mul_f32_e32 v79, 0x3fb8aa3b, v74
	v_cmp_ngt_f32_e64 s5, 0xc2ce8ed0, v74
	s_wait_dscnt 0x0
	v_perm_b32 v56, v82, v80, 0x7060302
	v_perm_b32 v67, v82, v80, 0x5040100
	;; [unrolled: 1-line block ×4, first 2 shown]
	v_fma_f32 v80, 0x3fb8aa3b, v74, -v79
	v_rndne_f32_e32 v81, v79
	s_delay_alu instid0(VALU_DEP_1) | instskip(SKIP_1) | instid1(VALU_DEP_2)
	v_dual_fmac_f32 v80, 0x32a5705f, v74 :: v_dual_sub_f32 v79, v79, v81
	v_cvt_i32_f32_e32 v81, v81
	v_dual_add_f32 v79, v79, v80 :: v_dual_sub_f32 v80, v130, v189
	s_delay_alu instid0(VALU_DEP_1) | instskip(NEXT) | instid1(VALU_DEP_1)
	v_exp_f32_e32 v79, v79
	v_mul_f32_e32 v82, 0x3fb8aa3b, v80
	v_cmp_ngt_f32_e32 vcc_lo, 0xc2ce8ed0, v80
	s_delay_alu instid0(VALU_DEP_2) | instskip(SKIP_1) | instid1(TRANS32_DEP_1)
	v_fma_f32 v83, 0x3fb8aa3b, v80, -v82
	v_rndne_f32_e32 v84, v82
	v_ldexp_f32 v79, v79, v81
	s_delay_alu instid0(VALU_DEP_3) | instskip(NEXT) | instid1(VALU_DEP_3)
	v_fmac_f32_e32 v83, 0x32a5705f, v80
	v_sub_f32_e32 v82, v82, v84
	v_cvt_i32_f32_e32 v84, v84
	s_wait_alu 0xf1ff
	v_cndmask_b32_e64 v79, 0, v79, s5
	v_cmp_nlt_f32_e64 s5, 0x42b17218, v74
	v_dual_add_f32 v82, v82, v83 :: v_dual_sub_f32 v83, v129, v189
	s_delay_alu instid0(VALU_DEP_1) | instskip(NEXT) | instid1(VALU_DEP_1)
	v_exp_f32_e32 v82, v82
	v_mul_f32_e32 v85, 0x3fb8aa3b, v83
	v_cmp_ngt_f32_e64 s3, 0xc2ce8ed0, v83
	s_delay_alu instid0(VALU_DEP_2) | instskip(SKIP_1) | instid1(TRANS32_DEP_1)
	v_fma_f32 v86, 0x3fb8aa3b, v83, -v85
	v_rndne_f32_e32 v129, v85
	v_ldexp_f32 v82, v82, v84
	s_delay_alu instid0(VALU_DEP_2) | instskip(SKIP_2) | instid1(VALU_DEP_3)
	v_dual_fmac_f32 v86, 0x32a5705f, v83 :: v_dual_sub_f32 v85, v85, v129
	v_cvt_i32_f32_e32 v81, v129
	s_wait_alu 0xfffd
	v_cndmask_b32_e32 v82, 0, v82, vcc_lo
	v_cmp_nlt_f32_e32 vcc_lo, 0x42b17218, v80
	v_dual_add_f32 v85, v85, v86 :: v_dual_sub_f32 v86, v128, v189
	s_delay_alu instid0(VALU_DEP_1) | instskip(NEXT) | instid1(VALU_DEP_1)
	v_exp_f32_e32 v85, v85
	v_mul_f32_e32 v128, 0x3fb8aa3b, v86
	v_cmp_ngt_f32_e64 s4, 0xc2ce8ed0, v86
	s_delay_alu instid0(VALU_DEP_2) | instskip(SKIP_1) | instid1(TRANS32_DEP_1)
	v_fma_f32 v130, 0x3fb8aa3b, v86, -v128
	v_rndne_f32_e32 v156, v128
	v_ldexp_f32 v81, v85, v81
	s_delay_alu instid0(VALU_DEP_3) | instskip(NEXT) | instid1(VALU_DEP_3)
	v_fmac_f32_e32 v130, 0x32a5705f, v86
	v_sub_f32_e32 v128, v128, v156
	v_cvt_i32_f32_e32 v84, v156
	s_wait_alu 0xf1ff
	v_cndmask_b32_e64 v80, 0, v81, s3
	v_cmp_nlt_f32_e64 s3, 0x42b17218, v83
	v_add_f32_e32 v128, v128, v130
	v_cndmask_b32_e64 v83, 0x7f800000, v79, s5
	s_delay_alu instid0(VALU_DEP_2) | instskip(NEXT) | instid1(VALU_DEP_1)
	v_exp_f32_e32 v85, v128
	v_cvt_f16_f32_e32 v74, v83
	s_delay_alu instid0(TRANS32_DEP_1) | instskip(NEXT) | instid1(VALU_DEP_1)
	v_ldexp_f32 v84, v85, v84
	v_cndmask_b32_e64 v81, 0, v84, s4
	v_cmp_nlt_f32_e64 s4, 0x42b17218, v86
	s_wait_alu 0xfffd
	v_cndmask_b32_e32 v86, 0x7f800000, v82, vcc_lo
	s_wait_alu 0xf1ff
	v_cndmask_b32_e64 v84, 0x7f800000, v80, s3
	v_cndmask_b32_e64 v85, 0x7f800000, v81, s4
	s_delay_alu instid0(VALU_DEP_3) | instskip(NEXT) | instid1(VALU_DEP_3)
	v_cvt_f16_f32_e32 v81, v86
	v_cvt_f16_f32_e32 v79, v84
	s_delay_alu instid0(VALU_DEP_3) | instskip(NEXT) | instid1(VALU_DEP_3)
	v_cvt_f16_f32_e32 v80, v85
	v_pack_b32_f16 v81, v74, v81
	v_sub_f32_e32 v74, v127, v189
	s_delay_alu instid0(VALU_DEP_3) | instskip(NEXT) | instid1(VALU_DEP_2)
	v_pack_b32_f16 v82, v79, v80
	v_mul_f32_e32 v79, 0x3fb8aa3b, v74
	v_cmp_ngt_f32_e32 vcc_lo, 0xc2ce8ed0, v74
	s_delay_alu instid0(VALU_DEP_2) | instskip(SKIP_1) | instid1(VALU_DEP_1)
	v_fma_f32 v80, 0x3fb8aa3b, v74, -v79
	v_rndne_f32_e32 v127, v79
	v_dual_fmac_f32 v80, 0x32a5705f, v74 :: v_dual_sub_f32 v79, v79, v127
	v_cvt_i32_f32_e32 v127, v127
	s_delay_alu instid0(VALU_DEP_2) | instskip(NEXT) | instid1(VALU_DEP_1)
	v_dual_add_f32 v79, v79, v80 :: v_dual_sub_f32 v80, v126, v189
	v_exp_f32_e32 v79, v79
	s_delay_alu instid0(VALU_DEP_1) | instskip(SKIP_1) | instid1(VALU_DEP_2)
	v_mul_f32_e32 v126, 0x3fb8aa3b, v80
	v_cmp_ngt_f32_e64 s3, 0xc2ce8ed0, v80
	v_fma_f32 v128, 0x3fb8aa3b, v80, -v126
	v_rndne_f32_e32 v129, v126
	s_delay_alu instid0(TRANS32_DEP_1) | instskip(NEXT) | instid1(VALU_DEP_3)
	v_ldexp_f32 v79, v79, v127
	v_fmac_f32_e32 v128, 0x32a5705f, v80
	s_delay_alu instid0(VALU_DEP_3)
	v_sub_f32_e32 v126, v126, v129
	v_cvt_i32_f32_e32 v127, v129
	s_wait_alu 0xfffd
	v_cndmask_b32_e32 v79, 0, v79, vcc_lo
	v_cmp_nlt_f32_e32 vcc_lo, 0x42b17218, v74
	v_add_f32_e32 v126, v126, v128
	s_delay_alu instid0(VALU_DEP_1) | instskip(NEXT) | instid1(TRANS32_DEP_1)
	v_exp_f32_e32 v126, v126
	v_ldexp_f32 v126, v126, v127
	s_wait_alu 0xfffd
	v_cndmask_b32_e32 v127, 0x7f800000, v79, vcc_lo
	s_wait_alu 0xf1ff
	s_delay_alu instid0(VALU_DEP_2) | instskip(SKIP_1) | instid1(VALU_DEP_3)
	v_cndmask_b32_e64 v74, 0, v126, s3
	v_cmp_nlt_f32_e64 s3, 0x42b17218, v80
	v_cvt_f16_f32_e32 v79, v127
	s_wait_alu 0xf1ff
	s_delay_alu instid0(VALU_DEP_2) | instskip(NEXT) | instid1(VALU_DEP_1)
	v_cndmask_b32_e64 v126, 0x7f800000, v74, s3
	v_cvt_f16_f32_e32 v74, v126
	s_delay_alu instid0(VALU_DEP_1) | instskip(SKIP_1) | instid1(VALU_DEP_1)
	v_pack_b32_f16 v80, v74, v79
	v_sub_f32_e32 v74, v197, v189
	v_mul_f32_e32 v79, 0x3fb8aa3b, v74
	v_cmp_ngt_f32_e32 vcc_lo, 0xc2ce8ed0, v74
	s_delay_alu instid0(VALU_DEP_2) | instskip(SKIP_1) | instid1(VALU_DEP_1)
	v_fma_f32 v128, 0x3fb8aa3b, v74, -v79
	v_rndne_f32_e32 v129, v79
	v_dual_fmac_f32 v128, 0x32a5705f, v74 :: v_dual_sub_f32 v79, v79, v129
	v_cvt_i32_f32_e32 v129, v129
	s_delay_alu instid0(VALU_DEP_2) | instskip(NEXT) | instid1(VALU_DEP_1)
	v_dual_add_f32 v79, v79, v128 :: v_dual_sub_f32 v128, v181, v189
	v_exp_f32_e32 v79, v79
	s_delay_alu instid0(VALU_DEP_1) | instskip(SKIP_1) | instid1(VALU_DEP_2)
	v_mul_f32_e32 v130, 0x3fb8aa3b, v128
	v_cmp_ngt_f32_e64 s3, 0xc2ce8ed0, v128
	v_fma_f32 v156, 0x3fb8aa3b, v128, -v130
	v_rndne_f32_e32 v163, v130
	s_delay_alu instid0(TRANS32_DEP_1) | instskip(NEXT) | instid1(VALU_DEP_3)
	v_ldexp_f32 v79, v79, v129
	v_fmac_f32_e32 v156, 0x32a5705f, v128
	s_delay_alu instid0(VALU_DEP_3)
	v_sub_f32_e32 v130, v130, v163
	v_cvt_i32_f32_e32 v129, v163
	s_wait_alu 0xfffd
	v_cndmask_b32_e32 v79, 0, v79, vcc_lo
	v_cmp_nlt_f32_e32 vcc_lo, 0x42b17218, v74
	v_add_f32_e32 v130, v130, v156
	s_delay_alu instid0(VALU_DEP_1) | instskip(NEXT) | instid1(TRANS32_DEP_1)
	v_exp_f32_e32 v130, v130
	v_ldexp_f32 v129, v130, v129
	s_wait_alu 0xf1ff
	s_delay_alu instid0(VALU_DEP_1) | instskip(SKIP_4) | instid1(VALU_DEP_2)
	v_cndmask_b32_e64 v74, 0, v129, s3
	v_cmp_nlt_f32_e64 s3, 0x42b17218, v128
	s_wait_alu 0xfffd
	v_cndmask_b32_e32 v129, 0x7f800000, v79, vcc_lo
	s_wait_alu 0xf1ff
	v_cndmask_b32_e64 v128, 0x7f800000, v74, s3
	s_delay_alu instid0(VALU_DEP_2) | instskip(NEXT) | instid1(VALU_DEP_2)
	v_cvt_f16_f32_e64 v79, v129
	v_cvt_f16_f32_e64 v74, v128
	s_delay_alu instid0(VALU_DEP_1) | instskip(SKIP_3) | instid1(VALU_DEP_4)
	v_pack_b32_f16 v79, v74, v79
	v_perm_b32 v74, v64, v63, 0x5040100
	v_perm_b32 v63, v64, v63, 0x7060302
	v_add_nc_u32_e32 v64, 0x2800, v150
	v_wmma_f16_16x16x16_f16 v[16:19], v[48:51], v[79:82], v[16:19]
	v_add_nc_u32_e32 v48, 0x2400, v151
	v_add_nc_u32_e32 v50, 0x2400, v152
	v_wmma_f16_16x16x16_f16 v[20:23], v[52:55], v[79:82], v[20:23]
	v_wmma_f16_16x16x16_f16 v[12:15], v[56:59], v[79:82], v[12:15]
	;; [unrolled: 1-line block ×3, first 2 shown]
	ds_load_2addr_b32 v[48:49], v48 offset0:192 offset1:208
	ds_load_2addr_b32 v[52:53], v50 offset0:192 offset1:208
	;; [unrolled: 1-line block ×4, first 2 shown]
	v_wmma_f16_16x16x16_f16 v[8:11], v[67:70], v[79:82], v[8:11]
	v_wmma_f16_16x16x16_f16 v[4:7], v[71:74], v[79:82], v[4:7]
	ds_load_2addr_b32 v[69:70], v64 offset0:212 offset1:228
	s_wait_dscnt 0x3
	v_perm_b32 v51, v52, v48, 0x7060302
	v_perm_b32 v55, v52, v48, 0x5040100
	;; [unrolled: 1-line block ×4, first 2 shown]
	ds_load_2addr_b32 v[67:68], v64 offset0:40 offset1:56
	ds_load_2addr_b32 v[52:53], v64 offset0:72 offset1:92
	;; [unrolled: 1-line block ×3, first 2 shown]
	v_add_nc_u32_e32 v48, 0x2400, v150
	s_wait_dscnt 0x4
	v_perm_b32 v50, v61, v56, 0x7060302
	v_perm_b32 v54, v61, v56, 0x5040100
	s_wait_dscnt 0x3
	v_perm_b32 v58, v69, v57, 0x7060302
	v_perm_b32 v62, v69, v57, 0x5040100
	;; [unrolled: 1-line block ×3, first 2 shown]
	s_wait_dscnt 0x1
	v_perm_b32 v49, v53, v67, 0x7060302
	s_wait_dscnt 0x0
	v_perm_b32 v57, v72, v68, 0x7060302
	v_perm_b32 v61, v72, v68, 0x5040100
	;; [unrolled: 1-line block ×4, first 2 shown]
	ds_load_2addr_b32 v[73:74], v48 offset0:192 offset1:208
	ds_load_2addr_b32 v[79:80], v48 offset0:224 offset1:244
	v_perm_b32 v53, v53, v67, 0x5040100
	v_perm_b32 v72, v70, v60, 0x5040100
	s_wait_dscnt 0x0
	v_perm_b32 v48, v80, v73, 0x7060302
	v_perm_b32 v52, v80, v73, 0x5040100
	ds_load_2addr_b32 v[80:81], v64 offset0:4 offset1:20
	v_sub_f32_e32 v64, v180, v189
	s_wait_loadcnt_dscnt 0x0
	s_barrier_signal -1
	s_barrier_wait -1
	global_inv scope:SCOPE_SE
	v_mul_f32_e32 v73, 0x3fb8aa3b, v64
	v_cmp_ngt_f32_e64 s5, 0xc2ce8ed0, v64
	v_perm_b32 v56, v80, v74, 0x7060302
	v_perm_b32 v60, v80, v74, 0x5040100
	;; [unrolled: 1-line block ×4, first 2 shown]
	v_fma_f32 v74, 0x3fb8aa3b, v64, -v73
	v_rndne_f32_e32 v79, v73
	s_delay_alu instid0(VALU_DEP_1) | instskip(SKIP_1) | instid1(VALU_DEP_2)
	v_dual_fmac_f32 v74, 0x32a5705f, v64 :: v_dual_sub_f32 v73, v73, v79
	v_cvt_i32_f32_e32 v79, v79
	v_dual_add_f32 v73, v73, v74 :: v_dual_sub_f32 v74, v179, v189
	s_delay_alu instid0(VALU_DEP_1) | instskip(NEXT) | instid1(VALU_DEP_1)
	v_exp_f32_e32 v73, v73
	v_mul_f32_e32 v80, 0x3fb8aa3b, v74
	v_cmp_ngt_f32_e32 vcc_lo, 0xc2ce8ed0, v74
	s_delay_alu instid0(VALU_DEP_2) | instskip(SKIP_1) | instid1(TRANS32_DEP_1)
	v_fma_f32 v81, 0x3fb8aa3b, v74, -v80
	v_rndne_f32_e32 v82, v80
	v_ldexp_f32 v73, v73, v79
	s_delay_alu instid0(VALU_DEP_3) | instskip(NEXT) | instid1(VALU_DEP_3)
	v_fmac_f32_e32 v81, 0x32a5705f, v74
	v_sub_f32_e32 v80, v80, v82
	v_cvt_i32_f32_e32 v82, v82
	s_wait_alu 0xf1ff
	v_cndmask_b32_e64 v73, 0, v73, s5
	v_cmp_nlt_f32_e64 s5, 0x42b17218, v64
	v_add_f32_e32 v80, v80, v81
	v_sub_f32_e32 v81, v176, v189
	s_wait_alu 0xf1ff
	s_delay_alu instid0(VALU_DEP_3) | instskip(NEXT) | instid1(VALU_DEP_3)
	v_cndmask_b32_e64 v64, 0x7f800000, v73, s5
	v_exp_f32_e32 v80, v80
	s_delay_alu instid0(VALU_DEP_2) | instskip(SKIP_1) | instid1(VALU_DEP_3)
	v_mul_f32_e32 v130, 0x3fb8aa3b, v81
	v_cmp_ngt_f32_e64 s3, 0xc2ce8ed0, v81
	v_cvt_f16_f32_e32 v73, v64
	s_delay_alu instid0(VALU_DEP_3) | instskip(SKIP_1) | instid1(TRANS32_DEP_1)
	v_fma_f32 v156, 0x3fb8aa3b, v81, -v130
	v_rndne_f32_e32 v163, v130
	v_ldexp_f32 v80, v80, v82
	s_delay_alu instid0(VALU_DEP_3) | instskip(NEXT) | instid1(VALU_DEP_3)
	v_fmac_f32_e32 v156, 0x32a5705f, v81
	v_sub_f32_e32 v130, v130, v163
	v_cvt_i32_f32_e32 v79, v163
	s_wait_alu 0xfffd
	v_cndmask_b32_e32 v80, 0, v80, vcc_lo
	v_cmp_nlt_f32_e32 vcc_lo, 0x42b17218, v74
	v_add_f32_e32 v130, v130, v156
	v_sub_f32_e32 v156, v174, v189
	s_delay_alu instid0(VALU_DEP_2) | instskip(NEXT) | instid1(VALU_DEP_1)
	v_exp_f32_e32 v130, v130
	v_mul_f32_e32 v169, 0x3fb8aa3b, v156
	v_cmp_ngt_f32_e64 s4, 0xc2ce8ed0, v156
	s_delay_alu instid0(VALU_DEP_2) | instskip(SKIP_1) | instid1(TRANS32_DEP_1)
	v_fma_f32 v170, 0x3fb8aa3b, v156, -v169
	v_rndne_f32_e32 v173, v169
	v_ldexp_f32 v79, v130, v79
	s_delay_alu instid0(VALU_DEP_2) | instskip(SKIP_2) | instid1(VALU_DEP_3)
	v_dual_fmac_f32 v170, 0x32a5705f, v156 :: v_dual_sub_f32 v169, v169, v173
	v_cvt_i32_f32_e32 v82, v173
	s_wait_alu 0xf1ff
	v_cndmask_b32_e64 v74, 0, v79, s3
	v_cmp_nlt_f32_e64 s3, 0x42b17218, v81
	v_add_f32_e32 v169, v169, v170
	s_wait_alu 0xf1ff
	s_delay_alu instid0(VALU_DEP_2) | instskip(NEXT) | instid1(VALU_DEP_2)
	v_cndmask_b32_e64 v74, 0x7f800000, v74, s3
	v_exp_f32_e32 v130, v169
	s_delay_alu instid0(TRANS32_DEP_1) | instskip(SKIP_2) | instid1(VALU_DEP_2)
	v_ldexp_f32 v82, v130, v82
	s_wait_alu 0xfffd
	v_cndmask_b32_e32 v130, 0x7f800000, v80, vcc_lo
	v_cndmask_b32_e64 v79, 0, v82, s4
	v_cmp_nlt_f32_e64 s4, 0x42b17218, v156
	s_delay_alu instid0(VALU_DEP_3) | instskip(SKIP_1) | instid1(VALU_DEP_2)
	v_cvt_f16_f32_e64 v156, v130
	s_wait_alu 0xf1ff
	v_cndmask_b32_e64 v82, 0x7f800000, v79, s4
	v_cvt_f16_f32_e32 v79, v74
	s_delay_alu instid0(VALU_DEP_2) | instskip(NEXT) | instid1(VALU_DEP_1)
	v_cvt_f16_f32_e32 v80, v82
	v_pack_b32_f16 v81, v79, v80
	v_pack_b32_f16 v80, v73, v156
	v_sub_f32_e32 v73, v168, v189
	s_delay_alu instid0(VALU_DEP_1) | instskip(SKIP_1) | instid1(VALU_DEP_2)
	v_mul_f32_e32 v79, 0x3fb8aa3b, v73
	v_cmp_ngt_f32_e32 vcc_lo, 0xc2ce8ed0, v73
	v_fma_f32 v156, 0x3fb8aa3b, v73, -v79
	v_rndne_f32_e32 v163, v79
	s_delay_alu instid0(VALU_DEP_1) | instskip(SKIP_1) | instid1(VALU_DEP_2)
	v_dual_fmac_f32 v156, 0x32a5705f, v73 :: v_dual_sub_f32 v79, v79, v163
	v_cvt_i32_f32_e32 v163, v163
	v_add_f32_e32 v79, v79, v156
	v_sub_f32_e32 v156, v167, v189
	s_delay_alu instid0(VALU_DEP_2) | instskip(NEXT) | instid1(VALU_DEP_1)
	v_exp_f32_e32 v79, v79
	v_mul_f32_e32 v167, 0x3fb8aa3b, v156
	v_cmp_ngt_f32_e64 s3, 0xc2ce8ed0, v156
	s_delay_alu instid0(VALU_DEP_2) | instskip(SKIP_1) | instid1(TRANS32_DEP_1)
	v_fma_f32 v168, 0x3fb8aa3b, v156, -v167
	v_rndne_f32_e32 v169, v167
	v_ldexp_f32 v79, v79, v163
	s_delay_alu instid0(VALU_DEP_2) | instskip(SKIP_2) | instid1(VALU_DEP_3)
	v_dual_fmac_f32 v168, 0x32a5705f, v156 :: v_dual_sub_f32 v167, v167, v169
	v_cvt_i32_f32_e32 v163, v169
	s_wait_alu 0xfffd
	v_cndmask_b32_e32 v79, 0, v79, vcc_lo
	v_cmp_nlt_f32_e32 vcc_lo, 0x42b17218, v73
	v_add_f32_e32 v167, v167, v168
	s_delay_alu instid0(VALU_DEP_1) | instskip(NEXT) | instid1(TRANS32_DEP_1)
	v_exp_f32_e32 v167, v167
	v_ldexp_f32 v163, v167, v163
	s_wait_alu 0xf1ff
	s_delay_alu instid0(VALU_DEP_1) | instskip(SKIP_4) | instid1(VALU_DEP_2)
	v_cndmask_b32_e64 v73, 0, v163, s3
	v_cmp_nlt_f32_e64 s3, 0x42b17218, v156
	s_wait_alu 0xfffd
	v_cndmask_b32_e32 v163, 0x7f800000, v79, vcc_lo
	s_wait_alu 0xf1ff
	v_cndmask_b32_e64 v156, 0x7f800000, v73, s3
	s_delay_alu instid0(VALU_DEP_2) | instskip(SKIP_1) | instid1(VALU_DEP_3)
	v_cvt_f16_f32_e64 v79, v163
	v_cmp_ngt_f32_e64 s3, 0xc2ce8ed0, v78
	v_cvt_f16_f32_e64 v73, v156
	s_delay_alu instid0(VALU_DEP_1) | instskip(SKIP_1) | instid1(VALU_DEP_1)
	v_pack_b32_f16 v79, v73, v79
	v_sub_f32_e32 v73, v153, v189
	v_mul_f32_e32 v153, 0x3fb8aa3b, v73
	v_cmp_ngt_f32_e32 vcc_lo, 0xc2ce8ed0, v73
	s_delay_alu instid0(VALU_DEP_2) | instskip(SKIP_1) | instid1(VALU_DEP_2)
	v_fma_f32 v167, 0x3fb8aa3b, v73, -v153
	v_rndne_f32_e32 v168, v153
	v_fmac_f32_e32 v167, 0x32a5705f, v73
	s_delay_alu instid0(VALU_DEP_2) | instskip(SKIP_1) | instid1(VALU_DEP_2)
	v_sub_f32_e32 v153, v153, v168
	v_cvt_i32_f32_e32 v168, v168
	v_add_f32_e32 v153, v153, v167
	v_mul_f32_e32 v167, 0x3fb8aa3b, v78
	s_delay_alu instid0(VALU_DEP_2) | instskip(NEXT) | instid1(VALU_DEP_1)
	v_exp_f32_e32 v153, v153
	v_fma_f32 v169, 0x3fb8aa3b, v78, -v167
	v_rndne_f32_e32 v170, v167
	s_delay_alu instid0(VALU_DEP_2) | instskip(NEXT) | instid1(VALU_DEP_2)
	v_fmac_f32_e32 v169, 0x32a5705f, v78
	v_sub_f32_e32 v167, v167, v170
	s_delay_alu instid0(TRANS32_DEP_1) | instskip(SKIP_1) | instid1(VALU_DEP_3)
	v_ldexp_f32 v153, v153, v168
	v_cvt_i32_f32_e32 v168, v170
	v_add_f32_e32 v167, v167, v169
	s_wait_alu 0xfffd
	s_delay_alu instid0(VALU_DEP_3) | instskip(SKIP_1) | instid1(VALU_DEP_3)
	v_cndmask_b32_e32 v153, 0, v153, vcc_lo
	v_cmp_nlt_f32_e32 vcc_lo, 0x42b17218, v73
	v_exp_f32_e32 v167, v167
	s_wait_alu 0xfffd
	s_delay_alu instid0(VALU_DEP_2) | instskip(NEXT) | instid1(TRANS32_DEP_1)
	v_cndmask_b32_e32 v153, 0x7f800000, v153, vcc_lo
	v_ldexp_f32 v167, v167, v168
	s_wait_alu 0xf1ff
	s_delay_alu instid0(VALU_DEP_1) | instskip(SKIP_3) | instid1(VALU_DEP_2)
	v_cndmask_b32_e64 v73, 0, v167, s3
	v_cmp_nlt_f32_e64 s3, 0x42b17218, v78
	v_cvt_f16_f32_e64 v78, v153
	s_wait_alu 0xf1ff
	v_cndmask_b32_e64 v167, 0x7f800000, v73, s3
	s_delay_alu instid0(VALU_DEP_1) | instskip(NEXT) | instid1(VALU_DEP_1)
	v_cvt_f16_f32_e64 v73, v167
	v_pack_b32_f16 v78, v73, v78
	v_perm_b32 v73, v65, v66, 0x5040100
	s_delay_alu instid0(VALU_DEP_2) | instskip(SKIP_1) | instid1(VALU_DEP_3)
	v_wmma_f16_16x16x16_f16 v[16:19], v[48:51], v[78:81], v[16:19]
	v_add_f32_e32 v48, v160, v161
	v_wmma_f16_16x16x16_f16 v[4:7], v[70:73], v[78:81], v[4:7]
	v_perm_b32 v70, v65, v66, 0x7060302
	v_mov_b32_e32 v49, v187
	v_wmma_f16_16x16x16_f16 v[20:23], v[52:55], v[78:81], v[20:23]
	v_add_f32_e32 v48, v157, v48
	v_wmma_f16_16x16x16_f16 v[8:11], v[60:63], v[78:81], v[8:11]
	v_wmma_f16_16x16x16_f16 v[12:15], v[56:59], v[78:81], v[12:15]
	v_wmma_f16_16x16x16_f16 v[0:3], v[67:70], v[78:81], v[0:3]
	s_delay_alu instid0(VALU_DEP_4) | instskip(NEXT) | instid1(VALU_DEP_1)
	v_add_f32_e32 v48, v159, v48
	v_add_f32_e32 v48, v144, v48
	s_delay_alu instid0(VALU_DEP_1) | instskip(NEXT) | instid1(VALU_DEP_1)
	v_add_f32_e32 v48, v154, v48
	v_add_f32_e32 v48, v125, v48
	s_delay_alu instid0(VALU_DEP_1) | instskip(NEXT) | instid1(VALU_DEP_1)
	;; [unrolled: 3-line block ×14, first 2 shown]
	v_add_f32_e32 v187, v82, v48
	v_fmac_f32_e32 v187, v49, v162
	s_cbranch_scc1 .LBB14_112
; %bb.113:                              ;   in Loop: Header=BB14_9 Depth=1
	s_clause 0x1
	scratch_load_b32 v231, off, off offset:20
	scratch_load_b64 v[232:233], off, off offset:24
	s_wait_loadcnt 0x0
	s_clause 0x7
	scratch_load_b32 v233, off, off offset:32
	scratch_load_b32 v125, off, off offset:44
	;; [unrolled: 1-line block ×7, first 2 shown]
	scratch_load_b64 v[131:132], off, off offset:68
	s_wait_loadcnt 0x0
	s_clause 0x1f
	scratch_load_b32 v132, off, off offset:76
	scratch_load_b32 v133, off, off offset:80
	;; [unrolled: 1-line block ×32, first 2 shown]
	s_clause 0xb
	scratch_load_b64 v[48:49], off, off offset:204
	scratch_load_b32 v204, off, off offset:212
	scratch_load_b32 v205, off, off offset:216
	;; [unrolled: 1-line block ×10, first 2 shown]
	scratch_load_b64 v[224:225], off, off offset:252
	s_wait_loadcnt 0x0
	s_clause 0x4
	scratch_load_b64 v[225:226], off, off offset:284
	; meta instruction
	scratch_load_b32 v234, off, off
	scratch_load_b32 v235, off, off offset:4
	scratch_load_b32 v236, off, off offset:36
	;; [unrolled: 1-line block ×3, first 2 shown]
	v_add_nc_u32_e32 v227, 32, v231
	v_add_nc_u32_e32 v230, 48, v231
	v_mov_b32_e32 v202, v48
	s_branch .LBB14_116
.LBB14_114:                             ;   in Loop: Header=BB14_9 Depth=1
	s_mov_b32 s39, 0
                                        ; implicit-def: $vgpr1
                                        ; implicit-def: $vgpr235
	s_cbranch_execnz .LBB14_243
	s_branch .LBB14_473
.LBB14_115:                             ;   in Loop: Header=BB14_9 Depth=1
	v_mov_b32_e32 v7, 0
	s_delay_alu instid0(VALU_DEP_1) | instskip(NEXT) | instid1(VALU_DEP_1)
	v_dual_mov_b32 v3, 0 :: v_dual_mov_b32 v6, v7
	v_dual_mov_b32 v189, 0xfeffffff :: v_dual_mov_b32 v2, v3
	;; [unrolled: 1-line block ×12, first 2 shown]
	v_mov_b32_e32 v13, v3
.LBB14_116:                             ;   in Loop: Header=BB14_9 Depth=1
	s_lshl_b32 s4, s94, 6
	v_lshlrev_b32_e32 v50, 1, v173
	s_wait_alu 0xfffe
	s_ashr_i32 s5, s4, 31
	v_lshlrev_b64_e32 v[48:49], 1, v[108:109]
	s_wait_alu 0xfffe
	s_lshl_b64 s[0:1], s[4:5], 1
	v_lshlrev_b64_e32 v[52:53], 1, v[114:115]
	s_wait_alu 0xfffe
	s_add_nc_u64 s[0:1], s[80:81], s[0:1]
	v_lshlrev_b64_e32 v[54:55], 1, v[120:121]
	s_wait_alu 0xfffe
	v_add_co_u32 v64, s0, s0, v50
	s_wait_alu 0xf1ff
	v_add_co_ci_u32_e64 v65, null, s1, 0, s0
	v_lshlrev_b64_e32 v[50:51], 1, v[112:113]
	s_delay_alu instid0(VALU_DEP_3) | instskip(SKIP_1) | instid1(VALU_DEP_3)
	v_add_co_u32 v60, vcc_lo, v64, v48
	s_wait_alu 0xfffd
	v_add_co_ci_u32_e64 v61, null, v65, v49, vcc_lo
	v_lshlrev_b64_e32 v[48:49], 1, v[106:107]
	v_lshlrev_b64_e32 v[56:57], 1, v[118:119]
	;; [unrolled: 1-line block ×3, first 2 shown]
	s_mul_u64 s[0:1], s[26:27], s[4:5]
	s_wait_alu 0xfffe
	s_lshl_b64 s[0:1], s[0:1], 2
	v_add_co_u32 v62, vcc_lo, v64, v48
	s_wait_alu 0xfffd
	v_add_co_ci_u32_e64 v63, null, v65, v49, vcc_lo
	v_lshlrev_b64_e32 v[48:49], 1, v[110:111]
	s_wait_alu 0xfffe
	s_add_nc_u64 s[0:1], s[78:79], s[0:1]
	s_delay_alu instid0(VALU_DEP_1) | instskip(SKIP_1) | instid1(VALU_DEP_2)
	v_add_co_u32 v48, vcc_lo, v64, v48
	s_wait_alu 0xfffd
	v_add_co_ci_u32_e64 v49, null, v65, v49, vcc_lo
	v_add_co_u32 v50, vcc_lo, v64, v50
	s_wait_alu 0xfffd
	v_add_co_ci_u32_e64 v51, null, v65, v51, vcc_lo
	;; [unrolled: 3-line block ×6, first 2 shown]
	s_clause 0x7
	global_load_b32 v60, v[60:61], off
	global_load_b32 v61, v[62:63], off
	;; [unrolled: 1-line block ×8, first 2 shown]
	v_add_nc_u32_e32 v54, v193, v140
	s_delay_alu instid0(VALU_DEP_1)
	v_add_nc_u32_e32 v55, 0x3400, v54
	s_wait_loadcnt 0x6
	ds_store_2addr_b32 v55, v60, v61 offset1:144
	v_add_nc_u32_e32 v55, 0x3800, v54
	s_wait_loadcnt 0x4
	ds_store_2addr_b32 v55, v48, v49 offset0:32 offset1:176
	v_add_nc_u32_e32 v48, 0x3c00, v54
	s_wait_loadcnt 0x2
	ds_store_2addr_b32 v48, v50, v51 offset0:64 offset1:208
	;; [unrolled: 3-line block ×3, first 2 shown]
	s_wait_alu 0xfffe
	v_add_co_u32 v48, vcc_lo, s0, v136
	s_wait_alu 0xfffd
	v_add_co_ci_u32_e64 v49, null, s1, v137, vcc_lo
	s_delay_alu instid0(VALU_DEP_2) | instskip(SKIP_1) | instid1(VALU_DEP_2)
	v_add_co_u32 v48, vcc_lo, v48, v194
	s_wait_alu 0xfffd
	v_add_co_ci_u32_e64 v49, null, 0, v49, vcc_lo
	v_add_co_u32 v50, vcc_lo, s0, v93
	s_wait_alu 0xfffd
	v_add_co_ci_u32_e64 v51, null, s1, v94, vcc_lo
	s_delay_alu instid0(VALU_DEP_2) | instskip(SKIP_1) | instid1(VALU_DEP_2)
	v_add_co_u32 v52, vcc_lo, v50, v194
	s_wait_alu 0xfffd
	v_add_co_ci_u32_e64 v53, null, 0, v51, vcc_lo
	s_clause 0x1
	global_load_b128 v[48:51], v[48:49], off offset:128
	global_load_b128 v[52:55], v[52:53], off offset:128
	s_wait_loadcnt 0x1
	ds_store_b128 v145, v[48:51]
	s_wait_loadcnt 0x0
	ds_store_b128 v146, v[52:55]
	v_add_co_u32 v48, vcc_lo, s0, v95
	s_wait_alu 0xfffd
	v_add_co_ci_u32_e64 v49, null, s1, v96, vcc_lo
	s_delay_alu instid0(VALU_DEP_2) | instskip(SKIP_1) | instid1(VALU_DEP_2)
	v_add_co_u32 v48, vcc_lo, v48, v195
	s_wait_alu 0xfffd
	v_add_co_ci_u32_e64 v49, null, 0, v49, vcc_lo
	v_add_co_u32 v50, vcc_lo, s0, v97
	s_wait_alu 0xfffd
	v_add_co_ci_u32_e64 v51, null, s1, v98, vcc_lo
	s_delay_alu instid0(VALU_DEP_2) | instskip(SKIP_1) | instid1(VALU_DEP_2)
	v_add_co_u32 v52, vcc_lo, v50, v195
	s_wait_alu 0xfffd
	v_add_co_ci_u32_e64 v53, null, 0, v51, vcc_lo
	s_clause 0x1
	global_load_b128 v[48:51], v[48:49], off
	global_load_b128 v[52:55], v[52:53], off
	s_wait_loadcnt 0x1
	ds_store_b128 v147, v[48:51]
	s_wait_loadcnt 0x0
	ds_store_b128 v203, v[52:55]
	v_add_co_u32 v48, vcc_lo, s0, v99
	s_wait_alu 0xfffd
	v_add_co_ci_u32_e64 v49, null, s1, v100, vcc_lo
	s_delay_alu instid0(VALU_DEP_2) | instskip(SKIP_1) | instid1(VALU_DEP_2)
	v_add_co_u32 v48, vcc_lo, v48, v195
	s_wait_alu 0xfffd
	v_add_co_ci_u32_e64 v49, null, 0, v49, vcc_lo
	v_add_co_u32 v50, vcc_lo, s0, v101
	s_wait_alu 0xfffd
	v_add_co_ci_u32_e64 v51, null, s1, v102, vcc_lo
	s_mul_u64 s[0:1], s[34:35], s[4:5]
	v_add_co_u32 v52, vcc_lo, v50, v195
	s_wait_alu 0xfffd
	v_add_co_ci_u32_e64 v53, null, 0, v51, vcc_lo
	s_clause 0x1
	global_load_b128 v[48:51], v[48:49], off
	global_load_b128 v[52:55], v[52:53], off
	v_cmp_lt_i32_e32 vcc_lo, v190, v191
	s_wait_alu 0xfffe
	s_lshl_b64 s[0:1], s[0:1], 2
	s_cmp_lg_u64 s[74:75], 0
	s_wait_alu 0xfffe
	s_add_nc_u64 s[0:1], s[76:77], s[0:1]
	s_wait_loadcnt 0x1
	ds_store_b128 v178, v[48:51]
	s_wait_loadcnt 0x0
	ds_store_b128 v209, v[52:55]
	s_wait_dscnt 0x0
	s_barrier_signal -1
	s_barrier_wait -1
	global_inv scope:SCOPE_SE
	ds_load_b128 v[56:59], v142
	ds_load_b128 v[60:63], v142 offset:32
	s_wait_dscnt 0x1
	v_wmma_f32_16x16x16_f16 v[48:55], v[56:59], v[40:43], 0
	s_wait_dscnt 0x0
	s_delay_alu instid0(VALU_DEP_1)
	v_wmma_f32_16x16x16_f16 v[48:55], v[60:63], v[44:47], v[48:55]
	ds_load_b128 v[56:59], v142 offset:3328
	ds_load_b128 v[60:63], v142 offset:3360
	s_wait_dscnt 0x1
	v_wmma_f32_16x16x16_f16 v[64:71], v[56:59], v[40:43], 0
	s_wait_dscnt 0x0
	s_delay_alu instid0(VALU_DEP_1)
	v_wmma_f32_16x16x16_f16 v[64:71], v[60:63], v[44:47], v[64:71]
	ds_load_b128 v[56:59], v142 offset:6656
	;; [unrolled: 7-line block ×4, first 2 shown]
	ds_load_b128 v[44:47], v142 offset:96
	s_wait_dscnt 0x1
	v_wmma_f32_16x16x16_f16 v[48:55], v[40:43], v[36:39], v[48:55]
	ds_load_b128 v[40:43], v142 offset:3392
	ds_load_b128 v[56:59], v142 offset:3424
	s_wait_dscnt 0x2
	v_wmma_f32_16x16x16_f16 v[48:55], v[44:47], v[32:35], v[48:55]
	s_wait_dscnt 0x1
	v_wmma_f32_16x16x16_f16 v[64:71], v[40:43], v[36:39], v[64:71]
	ds_load_b128 v[40:43], v142 offset:6720
	ds_load_b128 v[60:63], v142 offset:6752
	s_wait_dscnt 0x2
	v_wmma_f32_16x16x16_f16 v[64:71], v[56:59], v[32:35], v[64:71]
	;; [unrolled: 6-line block ×3, first 2 shown]
	s_wait_dscnt 0x1
	v_wmma_f32_16x16x16_f16 v[114:121], v[40:43], v[36:39], v[114:121]
	s_wait_dscnt 0x0
	s_delay_alu instid0(VALU_DEP_1)
	v_wmma_f32_16x16x16_f16 v[114:121], v[77:80], v[32:35], v[114:121]
	ds_load_b128 v[32:35], v142 offset:128
	ds_load_b128 v[36:39], v142 offset:160
	s_wait_dscnt 0x1
	v_wmma_f32_16x16x16_f16 v[48:55], v[32:35], v[28:31], v[48:55]
	ds_load_b128 v[32:35], v142 offset:3456
	ds_load_b128 v[40:43], v142 offset:3488
	s_wait_dscnt 0x2
	v_wmma_f32_16x16x16_f16 v[48:55], v[36:39], v[24:27], v[48:55]
	s_wait_dscnt 0x1
	v_wmma_f32_16x16x16_f16 v[64:71], v[32:35], v[28:31], v[64:71]
	ds_load_b128 v[32:35], v142 offset:6784
	ds_load_b128 v[44:47], v142 offset:6816
	s_wait_dscnt 0x2
	v_wmma_f32_16x16x16_f16 v[64:71], v[40:43], v[24:27], v[64:71]
	s_wait_dscnt 0x1
	v_wmma_f32_16x16x16_f16 v[106:113], v[32:35], v[28:31], v[106:113]
	ds_load_b128 v[32:35], v142 offset:10112
	ds_load_b128 v[56:59], v142 offset:10144
	s_wait_loadcnt_dscnt 0x0
	s_barrier_signal -1
	s_barrier_wait -1
	v_wmma_f32_16x16x16_f16 v[106:113], v[44:47], v[24:27], v[106:113]
	global_inv scope:SCOPE_SE
	v_wmma_f32_16x16x16_f16 v[114:121], v[32:35], v[28:31], v[114:121]
	s_delay_alu instid0(VALU_DEP_1)
	v_wmma_f32_16x16x16_f16 v[114:121], v[56:59], v[24:27], v[114:121]
	v_add_nc_u32_e32 v24, 0x3400, v148
	v_add_nc_u32_e32 v26, 0x3400, v124
	ds_load_2addr_b32 v[24:25], v24 offset1:1
	ds_load_2addr_b32 v[26:27], v26 offset1:1
	ds_load_b32 v28, v149 offset:13312
	ds_load_b32 v30, v148 offset:13320
	s_wait_dscnt 0x3
	v_cvt_f32_f16_e32 v29, v24
	v_lshrrev_b32_e32 v24, 16, v24
	v_cvt_f32_f16_e32 v32, v25
	v_lshrrev_b32_e32 v25, 16, v25
	s_wait_dscnt 0x1
	v_lshrrev_b32_e32 v31, 16, v28
	v_cvt_f32_f16_e32 v28, v28
	v_cvt_f32_f16_e32 v24, v24
	;; [unrolled: 1-line block ×5, first 2 shown]
	v_lshrrev_b32_e32 v38, 16, v26
	v_dual_add_f32 v31, v49, v24 :: v_dual_add_nc_u32 v24, 0x3400, v103
	s_delay_alu instid0(VALU_DEP_4)
	v_add_f32_e32 v72, v51, v25
	v_add_nc_u32_e32 v26, 0x3400, v219
	v_cvt_f32_f16_e32 v39, v27
	v_lshrrev_b32_e32 v40, 16, v27
	ds_load_2addr_b32 v[24:25], v24 offset1:1
	s_wait_dscnt 0x1
	v_cvt_f32_f16_e32 v33, v30
	v_lshrrev_b32_e32 v30, 16, v30
	v_add_f32_e32 v61, v64, v37
	v_cvt_f32_f16_e32 v40, v40
	v_add_f32_e32 v63, v66, v39
	v_cvt_f32_f16_e32 v38, v38
	v_cvt_f32_f16_e32 v34, v30
	v_add_f32_e32 v30, v48, v29
	v_add_f32_e32 v64, v67, v40
	s_delay_alu instid0(VALU_DEP_3)
	v_dual_add_f32 v32, v50, v32 :: v_dual_add_f32 v73, v53, v34
	v_add_f32_e32 v34, v54, v28
	v_add_nc_u32_e32 v28, 0x3400, v223
	s_wait_dscnt 0x0
	v_cvt_f32_f16_e32 v41, v24
	v_lshrrev_b32_e32 v24, 16, v24
	v_lshrrev_b32_e32 v42, 16, v25
	v_cvt_f32_f16_e32 v25, v25
	s_delay_alu instid0(VALU_DEP_3)
	v_cvt_f32_f16_e32 v24, v24
	v_dual_add_f32 v74, v52, v33 :: v_dual_add_f32 v33, v55, v35
	v_add_nc_u32_e32 v35, 0x3400, v214
	ds_load_2addr_b32 v[26:27], v26 offset1:1
	ds_load_2addr_b32 v[28:29], v28 offset1:1
	;; [unrolled: 1-line block ×3, first 2 shown]
	v_dual_add_f32 v67, v69, v24 :: v_dual_add_f32 v66, v70, v25
	v_cvt_f32_f16_e32 v42, v42
	s_wait_dscnt 0x2
	v_cvt_f32_f16_e32 v24, v26
	v_lshrrev_b32_e32 v25, 16, v26
	s_wait_dscnt 0x1
	v_cvt_f32_f16_e32 v37, v28
	v_lshrrev_b32_e32 v28, 16, v28
	v_cvt_f32_f16_e32 v26, v27
	v_add_f32_e32 v53, v106, v24
	v_cvt_f32_f16_e32 v25, v25
	v_add_nc_u32_e32 v24, 0x3400, v215
	v_lshrrev_b32_e32 v27, 16, v27
	v_cvt_f32_f16_e32 v28, v28
	s_delay_alu instid0(VALU_DEP_4)
	v_dual_add_f32 v55, v108, v26 :: v_dual_add_f32 v54, v107, v25
	ds_load_2addr_b32 v[24:25], v24 offset1:1
	v_cvt_f32_f16_e32 v27, v27
	v_add_f32_e32 v59, v111, v28
	s_wait_dscnt 0x1
	v_cvt_f32_f16_e32 v28, v36
	v_add_f32_e32 v62, v65, v38
	v_lshrrev_b32_e32 v38, 16, v29
	v_cvt_f32_f16_e32 v29, v29
	v_add_f32_e32 v56, v109, v27
	v_cvt_f32_f16_e32 v26, v35
	v_lshrrev_b32_e32 v27, 16, v35
	v_add_f32_e32 v60, v110, v37
	v_add_f32_e32 v58, v112, v29
	v_lshrrev_b32_e32 v29, 16, v36
	v_dual_add_f32 v45, v114, v26 :: v_dual_add_f32 v26, 0x40051340, v72
	v_cvt_f32_f16_e32 v27, v27
	v_add_f32_e32 v47, v116, v28
	s_delay_alu instid0(VALU_DEP_4)
	v_cvt_f32_f16_e32 v29, v29
	v_add_f32_e32 v65, v71, v42
	v_cvt_f32_f16_e32 v38, v38
	s_wait_dscnt 0x0
	v_cvt_f32_f16_e32 v35, v24
	v_lshrrev_b32_e32 v24, 16, v24
	v_lshrrev_b32_e32 v36, 16, v25
	v_cvt_f32_f16_e32 v25, v25
	v_add_f32_e32 v46, v115, v27
	v_add_f32_e32 v48, v117, v29
	v_cvt_f32_f16_e32 v24, v24
	v_cvt_f32_f16_e32 v36, v36
	v_dual_add_f32 v68, v68, v41 :: v_dual_add_f32 v57, v113, v38
	v_add_nc_u32_e32 v71, v141, v157
	s_delay_alu instid0(VALU_DEP_4) | instskip(NEXT) | instid1(VALU_DEP_4)
	v_add_f32_e32 v51, v119, v24
	v_dual_add_f32 v49, v121, v36 :: v_dual_add_f32 v50, v120, v25
	v_dual_add_f32 v24, 0x40051340, v30 :: v_dual_add_f32 v25, 0x40051340, v31
	v_add_f32_e32 v52, v118, v35
	s_delay_alu instid0(VALU_DEP_2) | instskip(SKIP_1) | instid1(VALU_DEP_1)
	v_max3_num_f32 v24, v189, v24, v25
	v_add_f32_e32 v25, 0x40051340, v32
	v_max3_num_f32 v24, v24, v25, v26
	v_dual_add_f32 v25, 0x40051340, v74 :: v_dual_add_f32 v26, 0x40051340, v73
	s_delay_alu instid0(VALU_DEP_1) | instskip(SKIP_1) | instid1(VALU_DEP_1)
	v_max3_num_f32 v24, v24, v25, v26
	v_dual_add_f32 v25, 0x40051340, v34 :: v_dual_add_f32 v26, 0x40051340, v33
	v_max3_num_f32 v24, v24, v25, v26
	v_dual_add_f32 v25, 0x40051340, v61 :: v_dual_add_f32 v26, 0x40051340, v62
	s_delay_alu instid0(VALU_DEP_1) | instskip(SKIP_1) | instid1(VALU_DEP_1)
	v_max3_num_f32 v24, v24, v25, v26
	v_dual_add_f32 v25, 0x40051340, v63 :: v_dual_add_f32 v26, 0x40051340, v64
	;; [unrolled: 5-line block ×7, first 2 shown]
	v_max3_num_f32 v24, v24, v25, v26
	s_wait_alu 0xfffd
	v_cndmask_b32_e32 v25, v234, v190, vcc_lo
	s_delay_alu instid0(VALU_DEP_1) | instskip(SKIP_3) | instid1(VALU_DEP_1)
	v_lshlrev_b32_e32 v44, 2, v25
	ds_bpermute_b32 v25, v44, v24
	s_wait_dscnt 0x0
	v_max_num_f32_e32 v25, v25, v25
	v_max_num_f32_e32 v43, v24, v25
	s_delay_alu instid0(VALU_DEP_1)
	v_sub_f32_e32 v24, v189, v43
	v_sub_f32_e32 v73, v73, v43
	;; [unrolled: 1-line block ×4, first 2 shown]
	v_add_nc_u32_e32 v70, v141, v156
	v_mul_f32_e32 v25, 0x3fb8aa3b, v24
	v_cmp_ngt_f32_e32 vcc_lo, 0xc2ce8ed0, v24
	v_sub_f32_e32 v34, v34, v43
	v_sub_f32_e32 v30, v30, v43
	v_cmp_ngt_f32_e64 s5, 0xc2ce8ed0, v74
	v_fma_f32 v26, 0x3fb8aa3b, v24, -v25
	v_rndne_f32_e32 v27, v25
	v_cmp_ngt_f32_e64 s3, 0xc2ce8ed0, v34
	v_sub_f32_e32 v32, v32, v43
	s_delay_alu instid0(VALU_DEP_4) | instskip(NEXT) | instid1(VALU_DEP_4)
	v_dual_sub_f32 v33, v33, v43 :: v_dual_fmac_f32 v26, 0x32a5705f, v24
	v_sub_f32_e32 v25, v25, v27
	v_sub_f32_e32 v31, v31, v43
	s_delay_alu instid0(VALU_DEP_3) | instskip(NEXT) | instid1(VALU_DEP_3)
	v_cmp_ngt_f32_e64 s4, 0xc2ce8ed0, v33
	v_add_f32_e32 v25, v25, v26
	v_cvt_i32_f32_e32 v26, v27
	s_delay_alu instid0(VALU_DEP_2) | instskip(NEXT) | instid1(TRANS32_DEP_1)
	v_exp_f32_e32 v25, v25
	v_ldexp_f32 v25, v25, v26
	s_wait_alu 0xfffd
	s_delay_alu instid0(VALU_DEP_1) | instskip(SKIP_2) | instid1(VALU_DEP_2)
	v_cndmask_b32_e32 v25, 0, v25, vcc_lo
	v_cmp_nlt_f32_e32 vcc_lo, 0x42b17218, v24
	s_wait_alu 0xfffd
	v_cndmask_b32_e32 v25, 0x7f800000, v25, vcc_lo
	v_cmp_le_f32_e32 vcc_lo, 0xc1a00000, v24
	s_wait_alu 0xfffd
	s_delay_alu instid0(VALU_DEP_2) | instskip(NEXT) | instid1(VALU_DEP_1)
	v_cndmask_b32_e32 v69, 0, v25, vcc_lo
	v_cvt_f16_f32_e32 v24, v69
	s_delay_alu instid0(VALU_DEP_1) | instskip(NEXT) | instid1(VALU_DEP_1)
	v_and_b32_e32 v24, 0xffff, v24
	v_mul_u32_u24_e32 v24, 0x10001, v24
	s_delay_alu instid0(VALU_DEP_1)
	v_pk_mul_f16 v20, v20, v24
	v_pk_mul_f16 v21, v21, v24
	;; [unrolled: 1-line block ×24, first 2 shown]
	s_wait_alu 0xfffe
	v_add_co_u32 v24, vcc_lo, s0, v122
	s_wait_alu 0xfffd
	v_add_co_ci_u32_e64 v25, null, s1, v123, vcc_lo
	s_delay_alu instid0(VALU_DEP_2) | instskip(SKIP_1) | instid1(VALU_DEP_2)
	v_add_co_u32 v24, vcc_lo, v24, v194
	s_wait_alu 0xfffd
	v_add_co_ci_u32_e64 v25, null, 0, v25, vcc_lo
	v_add_co_u32 v26, vcc_lo, s0, v199
	s_wait_alu 0xfffd
	v_add_co_ci_u32_e64 v27, null, s1, v200, vcc_lo
	s_delay_alu instid0(VALU_DEP_2) | instskip(SKIP_1) | instid1(VALU_DEP_2)
	v_add_co_u32 v28, vcc_lo, v26, v194
	s_wait_alu 0xfffd
	v_add_co_ci_u32_e64 v29, null, 0, v27, vcc_lo
	s_clause 0x1
	global_load_b128 v[24:27], v[24:25], off offset:128
	global_load_b128 v[35:38], v[28:29], off offset:128
	s_wait_loadcnt 0x1
	ds_store_b128 v145, v[24:27]
	s_wait_loadcnt 0x0
	ds_store_b128 v146, v[35:38]
	v_add_co_u32 v24, vcc_lo, s0, v245
	s_wait_alu 0xfffd
	v_add_co_ci_u32_e64 v25, null, s1, v246, vcc_lo
	s_delay_alu instid0(VALU_DEP_2) | instskip(SKIP_1) | instid1(VALU_DEP_2)
	v_add_co_u32 v24, vcc_lo, v24, v195
	s_wait_alu 0xfffd
	v_add_co_ci_u32_e64 v25, null, 0, v25, vcc_lo
	v_add_co_u32 v26, vcc_lo, s0, v75
	s_wait_alu 0xfffd
	v_add_co_ci_u32_e64 v27, null, s1, v76, vcc_lo
	s_delay_alu instid0(VALU_DEP_2) | instskip(SKIP_1) | instid1(VALU_DEP_2)
	v_add_co_u32 v28, vcc_lo, v26, v195
	s_wait_alu 0xfffd
	v_add_co_ci_u32_e64 v29, null, 0, v27, vcc_lo
	s_clause 0x1
	global_load_b128 v[24:27], v[24:25], off
	global_load_b128 v[35:38], v[28:29], off
	s_wait_loadcnt 0x1
	ds_store_b128 v147, v[24:27]
	s_wait_loadcnt 0x0
	ds_store_b128 v203, v[35:38]
	v_add_co_u32 v24, vcc_lo, s0, v104
	s_wait_alu 0xfffd
	v_add_co_ci_u32_e64 v25, null, s1, v105, vcc_lo
	s_delay_alu instid0(VALU_DEP_2) | instskip(SKIP_1) | instid1(VALU_DEP_2)
	v_add_co_u32 v24, vcc_lo, v24, v195
	s_wait_alu 0xfffd
	v_add_co_ci_u32_e64 v25, null, 0, v25, vcc_lo
	v_add_co_u32 v26, vcc_lo, s0, v91
	s_wait_alu 0xfffd
	v_add_co_ci_u32_e64 v27, null, s1, v92, vcc_lo
	s_delay_alu instid0(VALU_DEP_2) | instskip(SKIP_1) | instid1(VALU_DEP_2)
	v_add_co_u32 v28, vcc_lo, v26, v195
	s_wait_alu 0xfffd
	v_add_co_ci_u32_e64 v29, null, 0, v27, vcc_lo
	s_clause 0x1
	global_load_b128 v[24:27], v[24:25], off
	global_load_b128 v[35:38], v[28:29], off
	s_wait_loadcnt 0x1
	ds_store_b128 v178, v[24:27]
	s_wait_loadcnt 0x0
	ds_store_b128 v209, v[35:38]
	v_add_nc_u32_e32 v24, 0x200, v150
	s_wait_dscnt 0x0
	s_barrier_signal -1
	s_barrier_wait -1
	global_inv scope:SCOPE_SE
	ds_load_2addr_b32 v[24:25], v24 offset0:112 offset1:132
	ds_load_2addr_b32 v[26:27], v150 offset0:208 offset1:224
	ds_load_2addr_b32 v[28:29], v70 offset1:16
	ds_load_2addr_b32 v[35:36], v71 offset1:16
	v_cmp_ngt_f32_e32 vcc_lo, 0xc2ce8ed0, v73
	s_wait_dscnt 0x2
	v_perm_b32 v37, v25, v26, 0x7060302
	v_perm_b32 v41, v25, v26, 0x5040100
	v_add_nc_u32_e32 v25, 0x400, v150
	s_wait_dscnt 0x0
	v_perm_b32 v38, v35, v28, 0x7060302
	v_perm_b32 v42, v35, v28, 0x5040100
	;; [unrolled: 1-line block ×4, first 2 shown]
	ds_load_2addr_b32 v[77:78], v25 offset0:20 offset1:36
	s_wait_dscnt 0x0
	v_perm_b32 v81, v77, v27, 0x7060302
	v_perm_b32 v85, v77, v27, 0x5040100
	ds_load_2addr_b32 v[25:26], v150 offset0:104 offset1:120
	ds_load_2addr_b32 v[27:28], v150 offset0:136 offset1:156
	;; [unrolled: 1-line block ×3, first 2 shown]
	v_perm_b32 v29, v78, v24, 0x5040100
	s_wait_dscnt 0x1
	v_perm_b32 v36, v28, v25, 0x7060302
	v_perm_b32 v40, v28, v25, 0x5040100
	s_wait_dscnt 0x0
	v_perm_b32 v80, v87, v26, 0x7060302
	v_perm_b32 v84, v87, v26, 0x5040100
	;; [unrolled: 1-line block ×5, first 2 shown]
	ds_load_2addr_b32 v[77:78], v150 offset1:16
	ds_load_2addr_b32 v[87:88], v150 offset0:32 offset1:52
	s_wait_dscnt 0x0
	v_perm_b32 v35, v88, v77, 0x7060302
	v_perm_b32 v39, v88, v77, 0x5040100
	ds_load_2addr_b32 v[88:89], v150 offset0:68 offset1:84
	v_mul_f32_e32 v77, 0x3fb8aa3b, v74
	s_wait_dscnt 0x0
	v_perm_b32 v79, v88, v78, 0x7060302
	v_perm_b32 v83, v88, v78, 0x5040100
	;; [unrolled: 1-line block ×4, first 2 shown]
	v_fma_f32 v78, 0x3fb8aa3b, v74, -v77
	v_rndne_f32_e32 v87, v77
	s_delay_alu instid0(VALU_DEP_1) | instskip(SKIP_1) | instid1(VALU_DEP_2)
	v_dual_fmac_f32 v78, 0x32a5705f, v74 :: v_dual_sub_f32 v77, v77, v87
	v_cvt_i32_f32_e32 v87, v87
	v_dual_add_f32 v77, v77, v78 :: v_dual_mul_f32 v78, 0x3fb8aa3b, v73
	s_delay_alu instid0(VALU_DEP_1) | instskip(NEXT) | instid1(VALU_DEP_1)
	v_exp_f32_e32 v77, v77
	v_fma_f32 v88, 0x3fb8aa3b, v73, -v78
	v_rndne_f32_e32 v89, v78
	s_delay_alu instid0(VALU_DEP_2) | instskip(NEXT) | instid1(VALU_DEP_2)
	v_fmac_f32_e32 v88, 0x32a5705f, v73
	v_sub_f32_e32 v78, v78, v89
	s_delay_alu instid0(TRANS32_DEP_1) | instskip(SKIP_1) | instid1(VALU_DEP_3)
	v_ldexp_f32 v77, v77, v87
	v_cvt_i32_f32_e32 v87, v89
	v_add_f32_e32 v78, v78, v88
	v_mul_f32_e32 v88, 0x3fb8aa3b, v34
	s_delay_alu instid0(VALU_DEP_2) | instskip(NEXT) | instid1(VALU_DEP_1)
	v_exp_f32_e32 v78, v78
	v_fma_f32 v106, 0x3fb8aa3b, v34, -v88
	v_rndne_f32_e32 v107, v88
	s_delay_alu instid0(VALU_DEP_2) | instskip(NEXT) | instid1(VALU_DEP_2)
	v_fmac_f32_e32 v106, 0x32a5705f, v34
	v_sub_f32_e32 v88, v88, v107
	s_delay_alu instid0(TRANS32_DEP_1) | instskip(NEXT) | instid1(VALU_DEP_2)
	v_ldexp_f32 v78, v78, v87
	v_add_f32_e32 v88, v88, v106
	v_mul_f32_e32 v106, 0x3fb8aa3b, v33
	s_wait_alu 0xfffd
	s_delay_alu instid0(VALU_DEP_3)
	v_cndmask_b32_e32 v78, 0, v78, vcc_lo
	v_cmp_nlt_f32_e32 vcc_lo, 0x42b17218, v73
	v_exp_f32_e32 v87, v88
	v_fma_f32 v108, 0x3fb8aa3b, v33, -v106
	v_rndne_f32_e32 v109, v106
	v_cvt_i32_f32_e32 v88, v107
	s_wait_alu 0xfffd
	v_cndmask_b32_e32 v78, 0x7f800000, v78, vcc_lo
	v_cmp_ngt_f32_e32 vcc_lo, 0xc2ce8ed0, v72
	v_fmac_f32_e32 v108, 0x32a5705f, v33
	v_sub_f32_e32 v106, v106, v109
	v_cvt_i32_f32_e32 v89, v109
	v_ldexp_f32 v87, v87, v88
	s_delay_alu instid0(VALU_DEP_3) | instskip(SKIP_1) | instid1(VALU_DEP_2)
	v_add_f32_e32 v106, v106, v108
	s_wait_alu 0xf1ff
	v_cndmask_b32_e64 v73, 0, v87, s3
	v_cmp_nlt_f32_e64 s3, 0x42b17218, v34
	s_delay_alu instid0(VALU_DEP_3) | instskip(SKIP_1) | instid1(VALU_DEP_1)
	v_exp_f32_e32 v88, v106
	s_wait_alu 0xf1ff
	v_cndmask_b32_e64 v73, 0x7f800000, v73, s3
	v_cmp_ngt_f32_e64 s3, 0xc2ce8ed0, v32
	s_delay_alu instid0(TRANS32_DEP_1) | instskip(NEXT) | instid1(VALU_DEP_1)
	v_ldexp_f32 v88, v88, v89
	v_cndmask_b32_e64 v34, 0, v88, s4
	v_cmp_nlt_f32_e64 s4, 0x42b17218, v33
	v_cndmask_b32_e64 v33, 0, v77, s5
	v_cmp_nlt_f32_e64 s5, 0x42b17218, v74
	v_cvt_f16_f32_e32 v88, v78
	s_wait_alu 0xf1ff
	v_cndmask_b32_e64 v74, 0x7f800000, v34, s4
	v_cvt_f16_f32_e32 v34, v73
	v_cndmask_b32_e64 v77, 0x7f800000, v33, s5
	s_delay_alu instid0(VALU_DEP_3) | instskip(NEXT) | instid1(VALU_DEP_2)
	v_cvt_f16_f32_e32 v87, v74
	v_cvt_f16_f32_e32 v33, v77
	s_delay_alu instid0(VALU_DEP_2) | instskip(SKIP_1) | instid1(VALU_DEP_3)
	v_pack_b32_f16 v34, v34, v87
	v_mul_f32_e32 v87, 0x3fb8aa3b, v72
	v_pack_b32_f16 v33, v33, v88
	s_delay_alu instid0(VALU_DEP_2) | instskip(SKIP_1) | instid1(VALU_DEP_1)
	v_fma_f32 v88, 0x3fb8aa3b, v72, -v87
	v_rndne_f32_e32 v89, v87
	v_dual_fmac_f32 v88, 0x32a5705f, v72 :: v_dual_sub_f32 v87, v87, v89
	v_cvt_i32_f32_e32 v89, v89
	s_delay_alu instid0(VALU_DEP_2) | instskip(SKIP_1) | instid1(VALU_DEP_2)
	v_add_f32_e32 v87, v87, v88
	v_mul_f32_e32 v88, 0x3fb8aa3b, v32
	v_exp_f32_e32 v87, v87
	s_delay_alu instid0(VALU_DEP_1) | instskip(SKIP_1) | instid1(VALU_DEP_2)
	v_fma_f32 v106, 0x3fb8aa3b, v32, -v88
	v_rndne_f32_e32 v107, v88
	v_fmac_f32_e32 v106, 0x32a5705f, v32
	s_delay_alu instid0(VALU_DEP_2) | instskip(NEXT) | instid1(TRANS32_DEP_1)
	v_sub_f32_e32 v88, v88, v107
	v_ldexp_f32 v87, v87, v89
	v_cvt_i32_f32_e32 v89, v107
	s_wait_alu 0xfffd
	s_delay_alu instid0(VALU_DEP_2) | instskip(SKIP_1) | instid1(VALU_DEP_2)
	v_dual_add_f32 v88, v88, v106 :: v_dual_cndmask_b32 v87, 0, v87
	v_cmp_nlt_f32_e32 vcc_lo, 0x42b17218, v72
	v_exp_f32_e32 v88, v88
	s_wait_alu 0xfffd
	s_delay_alu instid0(VALU_DEP_2) | instskip(SKIP_1) | instid1(VALU_DEP_2)
	v_cndmask_b32_e32 v106, 0x7f800000, v87, vcc_lo
	v_cmp_ngt_f32_e32 vcc_lo, 0xc2ce8ed0, v31
	v_cvt_f16_f32_e32 v87, v106
	s_delay_alu instid0(TRANS32_DEP_1) | instskip(NEXT) | instid1(VALU_DEP_1)
	v_ldexp_f32 v88, v88, v89
	v_cndmask_b32_e64 v72, 0, v88, s3
	v_cmp_nlt_f32_e64 s3, 0x42b17218, v32
	s_wait_alu 0xf1ff
	s_delay_alu instid0(VALU_DEP_1) | instskip(SKIP_1) | instid1(VALU_DEP_2)
	v_cndmask_b32_e64 v72, 0x7f800000, v72, s3
	v_cmp_ngt_f32_e64 s3, 0xc2ce8ed0, v30
	v_cvt_f16_f32_e32 v32, v72
	s_delay_alu instid0(VALU_DEP_1) | instskip(SKIP_1) | instid1(VALU_DEP_1)
	v_pack_b32_f16 v32, v32, v87
	v_mul_f32_e32 v87, 0x3fb8aa3b, v31
	v_fma_f32 v88, 0x3fb8aa3b, v31, -v87
	v_rndne_f32_e32 v89, v87
	s_delay_alu instid0(VALU_DEP_1) | instskip(SKIP_1) | instid1(VALU_DEP_2)
	v_dual_fmac_f32 v88, 0x32a5705f, v31 :: v_dual_sub_f32 v87, v87, v89
	v_cvt_i32_f32_e32 v89, v89
	v_dual_add_f32 v87, v87, v88 :: v_dual_mul_f32 v88, 0x3fb8aa3b, v30
	s_delay_alu instid0(VALU_DEP_1) | instskip(NEXT) | instid1(VALU_DEP_1)
	v_exp_f32_e32 v87, v87
	v_fma_f32 v107, 0x3fb8aa3b, v30, -v88
	v_rndne_f32_e32 v108, v88
	s_delay_alu instid0(VALU_DEP_1) | instskip(NEXT) | instid1(TRANS32_DEP_1)
	v_dual_fmac_f32 v107, 0x32a5705f, v30 :: v_dual_sub_f32 v88, v88, v108
	v_ldexp_f32 v87, v87, v89
	v_cvt_i32_f32_e32 v89, v108
	s_delay_alu instid0(VALU_DEP_3) | instskip(SKIP_1) | instid1(VALU_DEP_3)
	v_add_f32_e32 v88, v88, v107
	s_wait_alu 0xfffd
	v_cndmask_b32_e32 v87, 0, v87, vcc_lo
	v_cmp_nlt_f32_e32 vcc_lo, 0x42b17218, v31
	s_delay_alu instid0(VALU_DEP_3) | instskip(SKIP_1) | instid1(VALU_DEP_2)
	v_exp_f32_e32 v88, v88
	s_wait_alu 0xfffd
	v_cndmask_b32_e32 v108, 0x7f800000, v87, vcc_lo
	s_delay_alu instid0(TRANS32_DEP_1) | instskip(SKIP_1) | instid1(VALU_DEP_1)
	v_ldexp_f32 v88, v88, v89
	s_wait_alu 0xf1ff
	v_cndmask_b32_e64 v31, 0, v88, s3
	v_cmp_nlt_f32_e64 s3, 0x42b17218, v30
	s_wait_alu 0xf1ff
	s_delay_alu instid0(VALU_DEP_1) | instskip(SKIP_1) | instid1(VALU_DEP_2)
	v_cndmask_b32_e64 v107, 0x7f800000, v31, s3
	v_cvt_f16_f32_e32 v31, v108
	v_cvt_f16_f32_e32 v30, v107
	s_delay_alu instid0(VALU_DEP_1) | instskip(NEXT) | instid1(VALU_DEP_1)
	v_pack_b32_f16 v31, v30, v31
	v_wmma_f16_16x16x16_f16 v[20:23], v[39:42], v[31:34], v[20:23]
	v_wmma_f16_16x16x16_f16 v[16:19], v[35:38], v[31:34], v[16:19]
	ds_load_b32 v35, v70 offset:128
	ds_load_b32 v36, v71 offset:128
	;; [unrolled: 1-line block ×8, first 2 shown]
	v_wmma_f16_16x16x16_f16 v[8:11], v[83:86], v[31:34], v[8:11]
	v_wmma_f16_16x16x16_f16 v[12:15], v[79:82], v[31:34], v[12:15]
	v_add_nc_u32_e32 v84, 0xc00, v150
	s_wait_dscnt 0x6
	v_perm_b32 v30, v36, v35, 0x5040100
	s_delay_alu instid0(VALU_DEP_1) | instskip(SKIP_1) | instid1(VALU_DEP_1)
	v_wmma_f16_16x16x16_f16 v[4:7], v[27:30], v[31:34], v[4:7]
	v_perm_b32 v27, v36, v35, 0x7060302
	v_wmma_f16_16x16x16_f16 v[0:3], v[24:27], v[31:34], v[0:3]
	v_sub_f32_e32 v24, v68, v43
	s_delay_alu instid0(VALU_DEP_1) | instskip(SKIP_1) | instid1(VALU_DEP_2)
	v_mul_f32_e32 v25, 0x3fb8aa3b, v24
	v_cmp_ngt_f32_e64 s5, 0xc2ce8ed0, v24
	v_fma_f32 v26, 0x3fb8aa3b, v24, -v25
	v_rndne_f32_e32 v27, v25
	s_delay_alu instid0(VALU_DEP_1) | instskip(SKIP_1) | instid1(VALU_DEP_2)
	v_dual_fmac_f32 v26, 0x32a5705f, v24 :: v_dual_sub_f32 v25, v25, v27
	v_cvt_i32_f32_e32 v27, v27
	v_dual_add_f32 v25, v25, v26 :: v_dual_sub_f32 v26, v67, v43
	s_delay_alu instid0(VALU_DEP_1) | instskip(NEXT) | instid1(VALU_DEP_1)
	v_exp_f32_e32 v25, v25
	v_mul_f32_e32 v28, 0x3fb8aa3b, v26
	v_cmp_ngt_f32_e32 vcc_lo, 0xc2ce8ed0, v26
	s_delay_alu instid0(VALU_DEP_2) | instskip(SKIP_1) | instid1(TRANS32_DEP_1)
	v_fma_f32 v29, 0x3fb8aa3b, v26, -v28
	v_rndne_f32_e32 v30, v28
	v_ldexp_f32 v25, v25, v27
	s_delay_alu instid0(VALU_DEP_3) | instskip(NEXT) | instid1(VALU_DEP_3)
	v_fmac_f32_e32 v29, 0x32a5705f, v26
	v_sub_f32_e32 v28, v28, v30
	s_wait_alu 0xf1ff
	s_delay_alu instid0(VALU_DEP_3) | instskip(SKIP_1) | instid1(VALU_DEP_3)
	v_cndmask_b32_e64 v25, 0, v25, s5
	v_cmp_nlt_f32_e64 s5, 0x42b17218, v24
	v_dual_add_f32 v28, v28, v29 :: v_dual_sub_f32 v29, v66, v43
	s_wait_alu 0xf1ff
	s_delay_alu instid0(VALU_DEP_2) | instskip(NEXT) | instid1(VALU_DEP_2)
	v_cndmask_b32_e64 v86, 0x7f800000, v25, s5
	v_exp_f32_e32 v27, v28
	s_delay_alu instid0(VALU_DEP_2) | instskip(SKIP_3) | instid1(VALU_DEP_4)
	v_mul_f32_e32 v31, 0x3fb8aa3b, v29
	v_cvt_i32_f32_e32 v28, v30
	v_cmp_ngt_f32_e64 s3, 0xc2ce8ed0, v29
	v_cvt_f16_f32_e32 v24, v86
	v_fma_f32 v32, 0x3fb8aa3b, v29, -v31
	v_rndne_f32_e32 v33, v31
	s_delay_alu instid0(TRANS32_DEP_1) | instskip(NEXT) | instid1(VALU_DEP_3)
	v_ldexp_f32 v27, v27, v28
	v_fmac_f32_e32 v32, 0x32a5705f, v29
	s_delay_alu instid0(VALU_DEP_3)
	v_sub_f32_e32 v31, v31, v33
	v_cvt_i32_f32_e32 v30, v33
	s_wait_alu 0xfffd
	v_cndmask_b32_e32 v27, 0, v27, vcc_lo
	v_cmp_nlt_f32_e32 vcc_lo, 0x42b17218, v26
	v_dual_add_f32 v31, v31, v32 :: v_dual_sub_f32 v32, v65, v43
	s_wait_alu 0xfffd
	s_delay_alu instid0(VALU_DEP_3) | instskip(NEXT) | instid1(VALU_DEP_2)
	v_cndmask_b32_e32 v89, 0x7f800000, v27, vcc_lo
	v_exp_f32_e32 v28, v31
	s_delay_alu instid0(VALU_DEP_2) | instskip(SKIP_1) | instid1(VALU_DEP_2)
	v_mul_f32_e32 v34, 0x3fb8aa3b, v32
	v_cmp_ngt_f32_e64 s4, 0xc2ce8ed0, v32
	v_fma_f32 v35, 0x3fb8aa3b, v32, -v34
	v_rndne_f32_e32 v36, v34
	s_delay_alu instid0(TRANS32_DEP_1) | instskip(NEXT) | instid1(VALU_DEP_3)
	v_ldexp_f32 v28, v28, v30
	v_fmac_f32_e32 v35, 0x32a5705f, v32
	s_delay_alu instid0(VALU_DEP_3)
	v_sub_f32_e32 v34, v34, v36
	v_cvt_i32_f32_e32 v31, v36
	v_add_nc_u32_e32 v36, 0x1000, v150
	s_wait_alu 0xf1ff
	v_cndmask_b32_e64 v26, 0, v28, s3
	v_cmp_nlt_f32_e64 s3, 0x42b17218, v29
	v_add_f32_e32 v34, v34, v35
	s_wait_alu 0xf1ff
	s_delay_alu instid0(VALU_DEP_2) | instskip(NEXT) | instid1(VALU_DEP_2)
	v_cndmask_b32_e64 v87, 0x7f800000, v26, s3
	v_exp_f32_e32 v30, v34
	s_delay_alu instid0(VALU_DEP_1) | instskip(NEXT) | instid1(TRANS32_DEP_1)
	v_cvt_f16_f32_e32 v25, v87
	v_ldexp_f32 v30, v30, v31
	s_delay_alu instid0(VALU_DEP_1) | instskip(SKIP_2) | instid1(VALU_DEP_1)
	v_cndmask_b32_e64 v28, 0, v30, s4
	v_cmp_nlt_f32_e64 s4, 0x42b17218, v32
	s_wait_alu 0xf1ff
	v_cndmask_b32_e64 v88, 0x7f800000, v28, s4
	v_cvt_f16_f32_e32 v28, v89
	s_delay_alu instid0(VALU_DEP_2) | instskip(NEXT) | instid1(VALU_DEP_1)
	v_cvt_f16_f32_e32 v26, v88
	v_pack_b32_f16 v27, v25, v26
	s_delay_alu instid0(VALU_DEP_3) | instskip(SKIP_1) | instid1(VALU_DEP_1)
	v_pack_b32_f16 v26, v24, v28
	v_sub_f32_e32 v24, v64, v43
	v_mul_f32_e32 v25, 0x3fb8aa3b, v24
	v_cmp_ngt_f32_e32 vcc_lo, 0xc2ce8ed0, v24
	s_delay_alu instid0(VALU_DEP_2) | instskip(SKIP_1) | instid1(VALU_DEP_1)
	v_fma_f32 v28, 0x3fb8aa3b, v24, -v25
	v_rndne_f32_e32 v29, v25
	v_dual_fmac_f32 v28, 0x32a5705f, v24 :: v_dual_sub_f32 v25, v25, v29
	v_cvt_i32_f32_e32 v29, v29
	s_delay_alu instid0(VALU_DEP_2) | instskip(NEXT) | instid1(VALU_DEP_1)
	v_dual_add_f32 v25, v25, v28 :: v_dual_sub_f32 v28, v63, v43
	v_exp_f32_e32 v25, v25
	s_delay_alu instid0(VALU_DEP_1) | instskip(SKIP_1) | instid1(VALU_DEP_2)
	v_mul_f32_e32 v30, 0x3fb8aa3b, v28
	v_cmp_ngt_f32_e64 s3, 0xc2ce8ed0, v28
	v_fma_f32 v31, 0x3fb8aa3b, v28, -v30
	v_rndne_f32_e32 v32, v30
	s_delay_alu instid0(TRANS32_DEP_1) | instskip(NEXT) | instid1(VALU_DEP_3)
	v_ldexp_f32 v25, v25, v29
	v_fmac_f32_e32 v31, 0x32a5705f, v28
	s_wait_alu 0xfffd
	s_delay_alu instid0(VALU_DEP_2) | instskip(SKIP_1) | instid1(VALU_DEP_2)
	v_dual_sub_f32 v30, v30, v32 :: v_dual_cndmask_b32 v25, 0, v25
	v_cmp_nlt_f32_e32 vcc_lo, 0x42b17218, v24
	v_add_f32_e32 v30, v30, v31
	s_wait_alu 0xfffd
	s_delay_alu instid0(VALU_DEP_3) | instskip(NEXT) | instid1(VALU_DEP_2)
	v_cndmask_b32_e32 v110, 0x7f800000, v25, vcc_lo
	v_exp_f32_e32 v29, v30
	v_cvt_i32_f32_e32 v30, v32
	s_delay_alu instid0(VALU_DEP_2)
	v_cvt_f16_f32_e32 v25, v110
	s_delay_alu instid0(TRANS32_DEP_1) | instid1(VALU_DEP_2)
	v_ldexp_f32 v29, v29, v30
	s_wait_alu 0xf1ff
	s_delay_alu instid0(VALU_DEP_1) | instskip(SKIP_2) | instid1(VALU_DEP_1)
	v_cndmask_b32_e64 v24, 0, v29, s3
	v_cmp_nlt_f32_e64 s3, 0x42b17218, v28
	s_wait_alu 0xf1ff
	v_cndmask_b32_e64 v109, 0x7f800000, v24, s3
	s_delay_alu instid0(VALU_DEP_1) | instskip(NEXT) | instid1(VALU_DEP_1)
	v_cvt_f16_f32_e32 v24, v109
	v_pack_b32_f16 v25, v24, v25
	v_sub_f32_e32 v24, v62, v43
	s_delay_alu instid0(VALU_DEP_1) | instskip(SKIP_1) | instid1(VALU_DEP_2)
	v_mul_f32_e32 v28, 0x3fb8aa3b, v24
	v_cmp_ngt_f32_e32 vcc_lo, 0xc2ce8ed0, v24
	v_fma_f32 v29, 0x3fb8aa3b, v24, -v28
	v_rndne_f32_e32 v30, v28
	s_delay_alu instid0(VALU_DEP_1) | instskip(SKIP_1) | instid1(VALU_DEP_2)
	v_dual_fmac_f32 v29, 0x32a5705f, v24 :: v_dual_sub_f32 v28, v28, v30
	v_cvt_i32_f32_e32 v30, v30
	v_dual_add_f32 v28, v28, v29 :: v_dual_sub_f32 v29, v61, v43
	s_delay_alu instid0(VALU_DEP_1) | instskip(NEXT) | instid1(VALU_DEP_1)
	v_exp_f32_e32 v28, v28
	v_mul_f32_e32 v31, 0x3fb8aa3b, v29
	v_cmp_ngt_f32_e64 s3, 0xc2ce8ed0, v29
	s_delay_alu instid0(VALU_DEP_2) | instskip(SKIP_1) | instid1(TRANS32_DEP_1)
	v_fma_f32 v32, 0x3fb8aa3b, v29, -v31
	v_rndne_f32_e32 v33, v31
	v_ldexp_f32 v28, v28, v30
	s_delay_alu instid0(VALU_DEP_3) | instskip(SKIP_1) | instid1(VALU_DEP_2)
	v_fmac_f32_e32 v32, 0x32a5705f, v29
	s_wait_alu 0xfffd
	v_dual_sub_f32 v31, v31, v33 :: v_dual_cndmask_b32 v28, 0, v28
	v_cmp_nlt_f32_e32 vcc_lo, 0x42b17218, v24
	s_delay_alu instid0(VALU_DEP_2) | instskip(SKIP_1) | instid1(VALU_DEP_3)
	v_add_f32_e32 v31, v31, v32
	s_wait_alu 0xfffd
	v_cndmask_b32_e32 v112, 0x7f800000, v28, vcc_lo
	s_delay_alu instid0(VALU_DEP_2) | instskip(SKIP_1) | instid1(VALU_DEP_2)
	v_exp_f32_e32 v30, v31
	v_cvt_i32_f32_e32 v31, v33
	v_cvt_f16_f32_e32 v28, v112
	s_delay_alu instid0(TRANS32_DEP_1) | instid1(VALU_DEP_2)
	v_ldexp_f32 v30, v30, v31
	s_wait_alu 0xf1ff
	s_delay_alu instid0(VALU_DEP_1) | instskip(SKIP_3) | instid1(VALU_DEP_2)
	v_cndmask_b32_e64 v24, 0, v30, s3
	v_cmp_nlt_f32_e64 s3, 0x42b17218, v29
	v_add_nc_u32_e32 v29, 0xc00, v71
	s_wait_alu 0xf1ff
	v_cndmask_b32_e64 v111, 0x7f800000, v24, s3
	s_delay_alu instid0(VALU_DEP_1) | instskip(NEXT) | instid1(VALU_DEP_1)
	v_cvt_f16_f32_e32 v24, v111
	v_pack_b32_f16 v24, v24, v28
	v_add_nc_u32_e32 v28, 0xc00, v70
	ds_load_2addr_b32 v[32:33], v28 offset0:64 offset1:80
	ds_load_2addr_b32 v[34:35], v29 offset0:64 offset1:80
	;; [unrolled: 1-line block ×8, first 2 shown]
	s_wait_dscnt 0x6
	v_perm_b32 v31, v34, v32, 0x5040100
	s_wait_dscnt 0x4
	v_perm_b32 v30, v64, v61, 0x5040100
	;; [unrolled: 2-line block ×4, first 2 shown]
	s_delay_alu instid0(VALU_DEP_1)
	v_wmma_f16_16x16x16_f16 v[20:23], v[28:31], v[24:27], v[20:23]
	v_perm_b32 v28, v82, v79, 0x7060302
	v_perm_b32 v29, v68, v65, 0x7060302
	;; [unrolled: 1-line block ×3, first 2 shown]
	ds_load_2addr_b32 v[64:65], v36 offset0:84 offset1:100
	ds_load_2addr_b32 v[82:83], v84 offset0:236 offset1:252
	;; [unrolled: 1-line block ×3, first 2 shown]
	v_perm_b32 v31, v34, v32, 0x7060302
	v_perm_b32 v34, v38, v37, 0x5040100
	s_delay_alu instid0(VALU_DEP_2)
	v_wmma_f16_16x16x16_f16 v[16:19], v[28:31], v[24:27], v[16:19]
	v_perm_b32 v31, v35, v33, 0x5040100
	s_wait_dscnt 0x2
	v_perm_b32 v30, v64, v62, 0x5040100
	s_wait_dscnt 0x1
	;; [unrolled: 2-line block ×3, first 2 shown]
	v_perm_b32 v28, v84, v80, 0x5040100
	v_perm_b32 v32, v83, v67, 0x5040100
	s_delay_alu instid0(VALU_DEP_2)
	v_wmma_f16_16x16x16_f16 v[8:11], v[28:31], v[24:27], v[8:11]
	v_perm_b32 v31, v35, v33, 0x7060302
	v_perm_b32 v28, v84, v80, 0x7060302
	v_perm_b32 v29, v82, v66, 0x7060302
	v_perm_b32 v30, v64, v62, 0x7060302
	v_perm_b32 v33, v65, v63, 0x5040100
	s_delay_alu instid0(VALU_DEP_2)
	v_wmma_f16_16x16x16_f16 v[12:15], v[28:31], v[24:27], v[12:15]
	v_perm_b32 v31, v85, v81, 0x5040100
	v_perm_b32 v29, v83, v67, 0x7060302
	v_perm_b32 v30, v65, v63, 0x7060302
	v_perm_b32 v28, v85, v81, 0x7060302
	v_add_nc_u32_e32 v63, 0x1800, v150
	v_wmma_f16_16x16x16_f16 v[4:7], v[31:34], v[24:27], v[4:7]
	v_perm_b32 v31, v38, v37, 0x7060302
	v_add_nc_u32_e32 v38, 0x1c00, v150
	s_delay_alu instid0(VALU_DEP_2) | instskip(SKIP_1) | instid1(VALU_DEP_1)
	v_wmma_f16_16x16x16_f16 v[0:3], v[28:31], v[24:27], v[0:3]
	v_sub_f32_e32 v24, v60, v43
	v_mul_f32_e32 v25, 0x3fb8aa3b, v24
	v_cmp_ngt_f32_e64 s5, 0xc2ce8ed0, v24
	s_delay_alu instid0(VALU_DEP_2) | instskip(SKIP_1) | instid1(VALU_DEP_1)
	v_fma_f32 v26, 0x3fb8aa3b, v24, -v25
	v_rndne_f32_e32 v27, v25
	v_dual_fmac_f32 v26, 0x32a5705f, v24 :: v_dual_sub_f32 v25, v25, v27
	v_cvt_i32_f32_e32 v27, v27
	s_delay_alu instid0(VALU_DEP_2) | instskip(NEXT) | instid1(VALU_DEP_1)
	v_dual_add_f32 v25, v25, v26 :: v_dual_sub_f32 v26, v59, v43
	v_exp_f32_e32 v25, v25
	s_delay_alu instid0(VALU_DEP_1) | instskip(SKIP_1) | instid1(VALU_DEP_2)
	v_mul_f32_e32 v28, 0x3fb8aa3b, v26
	v_cmp_ngt_f32_e32 vcc_lo, 0xc2ce8ed0, v26
	v_fma_f32 v29, 0x3fb8aa3b, v26, -v28
	v_rndne_f32_e32 v30, v28
	s_delay_alu instid0(TRANS32_DEP_1) | instskip(NEXT) | instid1(VALU_DEP_3)
	v_ldexp_f32 v25, v25, v27
	v_fmac_f32_e32 v29, 0x32a5705f, v26
	s_delay_alu instid0(VALU_DEP_3) | instskip(SKIP_1) | instid1(VALU_DEP_3)
	v_sub_f32_e32 v28, v28, v30
	s_wait_alu 0xf1ff
	v_cndmask_b32_e64 v25, 0, v25, s5
	v_cmp_nlt_f32_e64 s5, 0x42b17218, v24
	s_delay_alu instid0(VALU_DEP_3) | instskip(SKIP_1) | instid1(VALU_DEP_2)
	v_add_f32_e32 v28, v28, v29
	s_wait_alu 0xf1ff
	v_cndmask_b32_e64 v64, 0x7f800000, v25, s5
	s_delay_alu instid0(VALU_DEP_2) | instskip(SKIP_1) | instid1(VALU_DEP_2)
	v_exp_f32_e32 v27, v28
	v_cvt_i32_f32_e32 v28, v30
	v_cvt_f16_f32_e32 v24, v64
	s_delay_alu instid0(TRANS32_DEP_1) | instid1(VALU_DEP_2)
	v_ldexp_f32 v27, v27, v28
	v_sub_f32_e32 v28, v58, v43
	s_wait_alu 0xfffd
	s_delay_alu instid0(VALU_DEP_2) | instskip(NEXT) | instid1(VALU_DEP_2)
	v_cndmask_b32_e32 v27, 0, v27, vcc_lo
	v_mul_f32_e32 v29, 0x3fb8aa3b, v28
	v_cmp_nlt_f32_e32 vcc_lo, 0x42b17218, v26
	v_sub_f32_e32 v26, v57, v43
	v_cmp_ngt_f32_e64 s3, 0xc2ce8ed0, v28
	s_delay_alu instid0(VALU_DEP_4) | instskip(SKIP_1) | instid1(VALU_DEP_4)
	v_fma_f32 v30, 0x3fb8aa3b, v28, -v29
	v_rndne_f32_e32 v31, v29
	v_cmp_ngt_f32_e64 s4, 0xc2ce8ed0, v26
	s_wait_alu 0xfffd
	v_cndmask_b32_e32 v67, 0x7f800000, v27, vcc_lo
	s_delay_alu instid0(VALU_DEP_3) | instskip(SKIP_1) | instid1(VALU_DEP_2)
	v_dual_fmac_f32 v30, 0x32a5705f, v28 :: v_dual_sub_f32 v29, v29, v31
	v_cvt_i32_f32_e32 v31, v31
	v_add_f32_e32 v29, v29, v30
	v_mul_f32_e32 v30, 0x3fb8aa3b, v26
	s_delay_alu instid0(VALU_DEP_2) | instskip(NEXT) | instid1(VALU_DEP_1)
	v_exp_f32_e32 v29, v29
	v_fma_f32 v32, 0x3fb8aa3b, v26, -v30
	v_rndne_f32_e32 v33, v30
	s_delay_alu instid0(VALU_DEP_2) | instskip(NEXT) | instid1(VALU_DEP_2)
	v_fmac_f32_e32 v32, 0x32a5705f, v26
	v_sub_f32_e32 v30, v30, v33
	s_delay_alu instid0(TRANS32_DEP_1) | instskip(SKIP_1) | instid1(VALU_DEP_3)
	v_ldexp_f32 v29, v29, v31
	v_cvt_i32_f32_e32 v31, v33
	v_add_f32_e32 v30, v30, v32
	s_wait_alu 0xf1ff
	s_delay_alu instid0(VALU_DEP_3) | instskip(SKIP_1) | instid1(VALU_DEP_3)
	v_cndmask_b32_e64 v29, 0, v29, s3
	v_cmp_nlt_f32_e64 s3, 0x42b17218, v28
	v_exp_f32_e32 v30, v30
	s_wait_alu 0xf1ff
	s_delay_alu instid0(VALU_DEP_1) | instskip(NEXT) | instid1(VALU_DEP_1)
	v_cndmask_b32_e64 v65, 0x7f800000, v29, s3
	v_cvt_f16_f32_e32 v25, v65
	s_delay_alu instid0(TRANS32_DEP_1) | instskip(NEXT) | instid1(VALU_DEP_1)
	v_ldexp_f32 v30, v30, v31
	v_cndmask_b32_e64 v28, 0, v30, s4
	v_cmp_nlt_f32_e64 s4, 0x42b17218, v26
	s_wait_alu 0xf1ff
	s_delay_alu instid0(VALU_DEP_1) | instskip(SKIP_1) | instid1(VALU_DEP_2)
	v_cndmask_b32_e64 v66, 0x7f800000, v28, s4
	v_cvt_f16_f32_e32 v28, v67
	v_cvt_f16_f32_e32 v26, v66
	s_delay_alu instid0(VALU_DEP_1) | instskip(NEXT) | instid1(VALU_DEP_3)
	v_pack_b32_f16 v27, v25, v26
	v_pack_b32_f16 v26, v24, v28
	v_sub_f32_e32 v24, v56, v43
	s_delay_alu instid0(VALU_DEP_1) | instskip(SKIP_1) | instid1(VALU_DEP_2)
	v_mul_f32_e32 v25, 0x3fb8aa3b, v24
	v_cmp_ngt_f32_e32 vcc_lo, 0xc2ce8ed0, v24
	v_fma_f32 v28, 0x3fb8aa3b, v24, -v25
	v_rndne_f32_e32 v29, v25
	s_delay_alu instid0(VALU_DEP_1) | instskip(SKIP_1) | instid1(VALU_DEP_2)
	v_dual_fmac_f32 v28, 0x32a5705f, v24 :: v_dual_sub_f32 v25, v25, v29
	v_cvt_i32_f32_e32 v29, v29
	v_dual_add_f32 v25, v25, v28 :: v_dual_sub_f32 v28, v55, v43
	s_delay_alu instid0(VALU_DEP_1) | instskip(NEXT) | instid1(VALU_DEP_1)
	v_exp_f32_e32 v25, v25
	v_mul_f32_e32 v30, 0x3fb8aa3b, v28
	v_cmp_ngt_f32_e64 s3, 0xc2ce8ed0, v28
	s_delay_alu instid0(VALU_DEP_2) | instskip(SKIP_1) | instid1(TRANS32_DEP_1)
	v_fma_f32 v31, 0x3fb8aa3b, v28, -v30
	v_rndne_f32_e32 v32, v30
	v_ldexp_f32 v25, v25, v29
	s_delay_alu instid0(VALU_DEP_3) | instskip(SKIP_1) | instid1(VALU_DEP_2)
	v_fmac_f32_e32 v31, 0x32a5705f, v28
	s_wait_alu 0xfffd
	v_dual_sub_f32 v30, v30, v32 :: v_dual_cndmask_b32 v25, 0, v25
	v_cmp_nlt_f32_e32 vcc_lo, 0x42b17218, v24
	s_wait_alu 0xfffd
	s_delay_alu instid0(VALU_DEP_2) | instskip(NEXT) | instid1(VALU_DEP_1)
	v_dual_add_f32 v30, v30, v31 :: v_dual_cndmask_b32 v79, 0x7f800000, v25
	v_exp_f32_e32 v29, v30
	v_cvt_i32_f32_e32 v30, v32
	s_delay_alu instid0(VALU_DEP_2)
	v_cvt_f16_f32_e32 v25, v79
	s_delay_alu instid0(TRANS32_DEP_1) | instid1(VALU_DEP_2)
	v_ldexp_f32 v29, v29, v30
	s_wait_alu 0xf1ff
	s_delay_alu instid0(VALU_DEP_1) | instskip(SKIP_2) | instid1(VALU_DEP_1)
	v_cndmask_b32_e64 v24, 0, v29, s3
	v_cmp_nlt_f32_e64 s3, 0x42b17218, v28
	s_wait_alu 0xf1ff
	v_cndmask_b32_e64 v68, 0x7f800000, v24, s3
	s_delay_alu instid0(VALU_DEP_1) | instskip(NEXT) | instid1(VALU_DEP_1)
	v_cvt_f16_f32_e32 v24, v68
	v_pack_b32_f16 v25, v24, v25
	v_sub_f32_e32 v24, v54, v43
	s_delay_alu instid0(VALU_DEP_1) | instskip(SKIP_1) | instid1(VALU_DEP_2)
	v_mul_f32_e32 v28, 0x3fb8aa3b, v24
	v_cmp_ngt_f32_e32 vcc_lo, 0xc2ce8ed0, v24
	v_fma_f32 v29, 0x3fb8aa3b, v24, -v28
	v_rndne_f32_e32 v30, v28
	s_delay_alu instid0(VALU_DEP_1) | instskip(SKIP_1) | instid1(VALU_DEP_2)
	v_dual_fmac_f32 v29, 0x32a5705f, v24 :: v_dual_sub_f32 v28, v28, v30
	v_cvt_i32_f32_e32 v30, v30
	v_dual_add_f32 v28, v28, v29 :: v_dual_sub_f32 v29, v53, v43
	s_delay_alu instid0(VALU_DEP_1) | instskip(NEXT) | instid1(VALU_DEP_1)
	v_exp_f32_e32 v28, v28
	v_mul_f32_e32 v31, 0x3fb8aa3b, v29
	v_cmp_ngt_f32_e64 s3, 0xc2ce8ed0, v29
	s_delay_alu instid0(VALU_DEP_2) | instskip(SKIP_1) | instid1(TRANS32_DEP_1)
	v_fma_f32 v32, 0x3fb8aa3b, v29, -v31
	v_rndne_f32_e32 v33, v31
	v_ldexp_f32 v28, v28, v30
	s_delay_alu instid0(VALU_DEP_3) | instskip(SKIP_1) | instid1(VALU_DEP_2)
	v_fmac_f32_e32 v32, 0x32a5705f, v29
	s_wait_alu 0xfffd
	v_dual_sub_f32 v31, v31, v33 :: v_dual_cndmask_b32 v28, 0, v28
	v_cmp_nlt_f32_e32 vcc_lo, 0x42b17218, v24
	s_delay_alu instid0(VALU_DEP_2) | instskip(SKIP_1) | instid1(VALU_DEP_3)
	v_add_f32_e32 v31, v31, v32
	s_wait_alu 0xfffd
	v_cndmask_b32_e32 v81, 0x7f800000, v28, vcc_lo
	s_delay_alu instid0(VALU_DEP_2) | instskip(SKIP_1) | instid1(VALU_DEP_2)
	v_exp_f32_e32 v30, v31
	v_cvt_i32_f32_e32 v31, v33
	v_cvt_f16_f32_e32 v28, v81
	s_delay_alu instid0(TRANS32_DEP_1) | instid1(VALU_DEP_2)
	v_ldexp_f32 v30, v30, v31
	s_wait_alu 0xf1ff
	s_delay_alu instid0(VALU_DEP_1) | instskip(SKIP_3) | instid1(VALU_DEP_2)
	v_cndmask_b32_e64 v24, 0, v30, s3
	v_cmp_nlt_f32_e64 s3, 0x42b17218, v29
	v_add_nc_u32_e32 v29, 0x1800, v71
	s_wait_alu 0xf1ff
	v_cndmask_b32_e64 v80, 0x7f800000, v24, s3
	s_delay_alu instid0(VALU_DEP_1) | instskip(NEXT) | instid1(VALU_DEP_1)
	v_cvt_f16_f32_e32 v24, v80
	v_pack_b32_f16 v24, v24, v28
	v_add_nc_u32_e32 v28, 0x1800, v70
	ds_load_2addr_b32 v[32:33], v28 offset0:128 offset1:144
	ds_load_2addr_b32 v[34:35], v29 offset0:128 offset1:144
	;; [unrolled: 1-line block ×8, first 2 shown]
	s_wait_dscnt 0x6
	v_perm_b32 v31, v34, v32, 0x5040100
	s_wait_dscnt 0x4
	v_perm_b32 v30, v54, v36, 0x5040100
	s_wait_dscnt 0x2
	v_perm_b32 v29, v58, v55, 0x5040100
	s_wait_dscnt 0x0
	v_perm_b32 v28, v62, v59, 0x5040100
	s_delay_alu instid0(VALU_DEP_1)
	v_wmma_f16_16x16x16_f16 v[20:23], v[28:31], v[24:27], v[20:23]
	v_perm_b32 v28, v62, v59, 0x7060302
	v_perm_b32 v29, v58, v55, 0x7060302
	;; [unrolled: 1-line block ×3, first 2 shown]
	ds_load_2addr_b32 v[54:55], v38 offset0:148 offset1:164
	ds_load_2addr_b32 v[58:59], v38 offset0:44 offset1:60
	;; [unrolled: 1-line block ×3, first 2 shown]
	v_perm_b32 v31, v34, v32, 0x7060302
	v_perm_b32 v34, v40, v39, 0x5040100
	s_delay_alu instid0(VALU_DEP_2)
	v_wmma_f16_16x16x16_f16 v[16:19], v[28:31], v[24:27], v[16:19]
	v_perm_b32 v31, v35, v33, 0x5040100
	s_wait_dscnt 0x2
	v_perm_b32 v30, v54, v37, 0x5040100
	s_wait_dscnt 0x1
	;; [unrolled: 2-line block ×3, first 2 shown]
	v_perm_b32 v28, v62, v60, 0x5040100
	v_perm_b32 v32, v59, v57, 0x5040100
	s_delay_alu instid0(VALU_DEP_2)
	v_wmma_f16_16x16x16_f16 v[8:11], v[28:31], v[24:27], v[8:11]
	v_perm_b32 v31, v35, v33, 0x7060302
	v_perm_b32 v28, v62, v60, 0x7060302
	;; [unrolled: 1-line block ×5, first 2 shown]
	s_delay_alu instid0(VALU_DEP_2) | instskip(SKIP_4) | instid1(VALU_DEP_4)
	v_wmma_f16_16x16x16_f16 v[12:15], v[28:31], v[24:27], v[12:15]
	v_perm_b32 v31, v63, v61, 0x5040100
	v_perm_b32 v29, v59, v57, 0x7060302
	;; [unrolled: 1-line block ×4, first 2 shown]
	v_wmma_f16_16x16x16_f16 v[4:7], v[31:34], v[24:27], v[4:7]
	v_perm_b32 v31, v40, v39, 0x7060302
	s_delay_alu instid0(VALU_DEP_1) | instskip(SKIP_1) | instid1(VALU_DEP_1)
	v_wmma_f16_16x16x16_f16 v[0:3], v[28:31], v[24:27], v[0:3]
	v_sub_f32_e32 v24, v52, v43
	v_mul_f32_e32 v25, 0x3fb8aa3b, v24
	v_cmp_ngt_f32_e64 s5, 0xc2ce8ed0, v24
	s_delay_alu instid0(VALU_DEP_2) | instskip(SKIP_1) | instid1(VALU_DEP_1)
	v_fma_f32 v26, 0x3fb8aa3b, v24, -v25
	v_rndne_f32_e32 v27, v25
	v_dual_fmac_f32 v26, 0x32a5705f, v24 :: v_dual_sub_f32 v25, v25, v27
	v_cvt_i32_f32_e32 v27, v27
	s_delay_alu instid0(VALU_DEP_2) | instskip(NEXT) | instid1(VALU_DEP_1)
	v_dual_add_f32 v25, v25, v26 :: v_dual_sub_f32 v26, v51, v43
	v_exp_f32_e32 v25, v25
	s_delay_alu instid0(VALU_DEP_1) | instskip(SKIP_1) | instid1(VALU_DEP_2)
	v_mul_f32_e32 v28, 0x3fb8aa3b, v26
	v_cmp_ngt_f32_e32 vcc_lo, 0xc2ce8ed0, v26
	v_fma_f32 v29, 0x3fb8aa3b, v26, -v28
	v_rndne_f32_e32 v30, v28
	s_delay_alu instid0(TRANS32_DEP_1) | instskip(NEXT) | instid1(VALU_DEP_3)
	v_ldexp_f32 v25, v25, v27
	v_fmac_f32_e32 v29, 0x32a5705f, v26
	s_delay_alu instid0(VALU_DEP_3) | instskip(SKIP_1) | instid1(VALU_DEP_3)
	v_sub_f32_e32 v28, v28, v30
	s_wait_alu 0xf1ff
	v_cndmask_b32_e64 v25, 0, v25, s5
	v_cmp_nlt_f32_e64 s5, 0x42b17218, v24
	s_delay_alu instid0(VALU_DEP_3) | instskip(SKIP_1) | instid1(VALU_DEP_2)
	v_add_f32_e32 v28, v28, v29
	s_wait_alu 0xf1ff
	v_cndmask_b32_e64 v40, 0x7f800000, v25, s5
	s_delay_alu instid0(VALU_DEP_2) | instskip(SKIP_1) | instid1(VALU_DEP_2)
	v_exp_f32_e32 v27, v28
	v_cvt_i32_f32_e32 v28, v30
	v_cvt_f16_f32_e32 v24, v40
	s_delay_alu instid0(TRANS32_DEP_1) | instid1(VALU_DEP_2)
	v_ldexp_f32 v27, v27, v28
	v_sub_f32_e32 v28, v50, v43
	s_wait_alu 0xfffd
	s_delay_alu instid0(VALU_DEP_2) | instskip(NEXT) | instid1(VALU_DEP_2)
	v_cndmask_b32_e32 v27, 0, v27, vcc_lo
	v_mul_f32_e32 v29, 0x3fb8aa3b, v28
	v_cmp_nlt_f32_e32 vcc_lo, 0x42b17218, v26
	v_cmp_ngt_f32_e64 s3, 0xc2ce8ed0, v28
	s_delay_alu instid0(VALU_DEP_3) | instskip(SKIP_3) | instid1(VALU_DEP_2)
	v_fma_f32 v30, 0x3fb8aa3b, v28, -v29
	v_rndne_f32_e32 v31, v29
	s_wait_alu 0xfffd
	v_cndmask_b32_e32 v61, 0x7f800000, v27, vcc_lo
	v_dual_fmac_f32 v30, 0x32a5705f, v28 :: v_dual_sub_f32 v29, v29, v31
	s_delay_alu instid0(VALU_DEP_1) | instskip(SKIP_1) | instid1(VALU_DEP_2)
	v_add_f32_e32 v29, v29, v30
	v_sub_f32_e32 v30, v49, v43
	v_exp_f32_e32 v26, v29
	s_delay_alu instid0(VALU_DEP_1) | instskip(SKIP_2) | instid1(VALU_DEP_3)
	v_mul_f32_e32 v32, 0x3fb8aa3b, v30
	v_cvt_i32_f32_e32 v29, v31
	v_cmp_ngt_f32_e64 s4, 0xc2ce8ed0, v30
	v_fma_f32 v33, 0x3fb8aa3b, v30, -v32
	v_rndne_f32_e32 v34, v32
	s_delay_alu instid0(TRANS32_DEP_1) | instid1(VALU_DEP_4)
	v_ldexp_f32 v26, v26, v29
	s_delay_alu instid0(VALU_DEP_3) | instskip(NEXT) | instid1(VALU_DEP_3)
	v_fmac_f32_e32 v33, 0x32a5705f, v30
	v_sub_f32_e32 v32, v32, v34
	v_cvt_i32_f32_e32 v31, v34
	s_wait_alu 0xf1ff
	v_cndmask_b32_e64 v26, 0, v26, s3
	v_cmp_nlt_f32_e64 s3, 0x42b17218, v28
	v_add_f32_e32 v32, v32, v33
	s_wait_alu 0xf1ff
	s_delay_alu instid0(VALU_DEP_2) | instskip(NEXT) | instid1(VALU_DEP_2)
	v_cndmask_b32_e64 v59, 0x7f800000, v26, s3
	v_exp_f32_e32 v29, v32
	s_delay_alu instid0(VALU_DEP_1) | instskip(NEXT) | instid1(TRANS32_DEP_1)
	v_cvt_f16_f32_e32 v25, v59
	v_ldexp_f32 v29, v29, v31
	s_delay_alu instid0(VALU_DEP_1) | instskip(SKIP_2) | instid1(VALU_DEP_1)
	v_cndmask_b32_e64 v28, 0, v29, s4
	v_cmp_nlt_f32_e64 s4, 0x42b17218, v30
	s_wait_alu 0xf1ff
	v_cndmask_b32_e64 v60, 0x7f800000, v28, s4
	v_cvt_f16_f32_e32 v28, v61
	s_delay_alu instid0(VALU_DEP_2) | instskip(NEXT) | instid1(VALU_DEP_1)
	v_cvt_f16_f32_e32 v26, v60
	v_pack_b32_f16 v27, v25, v26
	s_delay_alu instid0(VALU_DEP_3) | instskip(SKIP_1) | instid1(VALU_DEP_1)
	v_pack_b32_f16 v26, v24, v28
	v_sub_f32_e32 v24, v48, v43
	v_mul_f32_e32 v25, 0x3fb8aa3b, v24
	v_cmp_ngt_f32_e32 vcc_lo, 0xc2ce8ed0, v24
	s_delay_alu instid0(VALU_DEP_2) | instskip(SKIP_1) | instid1(VALU_DEP_1)
	v_fma_f32 v28, 0x3fb8aa3b, v24, -v25
	v_rndne_f32_e32 v29, v25
	v_dual_fmac_f32 v28, 0x32a5705f, v24 :: v_dual_sub_f32 v25, v25, v29
	v_cvt_i32_f32_e32 v29, v29
	s_delay_alu instid0(VALU_DEP_2) | instskip(NEXT) | instid1(VALU_DEP_1)
	v_dual_add_f32 v25, v25, v28 :: v_dual_sub_f32 v28, v47, v43
	v_exp_f32_e32 v25, v25
	s_delay_alu instid0(VALU_DEP_1) | instskip(SKIP_1) | instid1(VALU_DEP_2)
	v_mul_f32_e32 v30, 0x3fb8aa3b, v28
	v_cmp_ngt_f32_e64 s3, 0xc2ce8ed0, v28
	v_fma_f32 v31, 0x3fb8aa3b, v28, -v30
	v_rndne_f32_e32 v32, v30
	s_delay_alu instid0(TRANS32_DEP_1) | instskip(NEXT) | instid1(VALU_DEP_3)
	v_ldexp_f32 v25, v25, v29
	v_fmac_f32_e32 v31, 0x32a5705f, v28
	s_wait_alu 0xfffd
	s_delay_alu instid0(VALU_DEP_2) | instskip(SKIP_2) | instid1(VALU_DEP_2)
	v_dual_sub_f32 v30, v30, v32 :: v_dual_cndmask_b32 v25, 0, v25
	v_cmp_nlt_f32_e32 vcc_lo, 0x42b17218, v24
	s_wait_alu 0xfffd
	v_dual_add_f32 v30, v30, v31 :: v_dual_cndmask_b32 v63, 0x7f800000, v25
	s_delay_alu instid0(VALU_DEP_1) | instskip(SKIP_1) | instid1(VALU_DEP_2)
	v_exp_f32_e32 v29, v30
	v_cvt_i32_f32_e32 v30, v32
	v_cvt_f16_f32_e32 v25, v63
	s_delay_alu instid0(TRANS32_DEP_1) | instid1(VALU_DEP_2)
	v_ldexp_f32 v29, v29, v30
	s_wait_alu 0xf1ff
	s_delay_alu instid0(VALU_DEP_1) | instskip(SKIP_2) | instid1(VALU_DEP_1)
	v_cndmask_b32_e64 v24, 0, v29, s3
	v_cmp_nlt_f32_e64 s3, 0x42b17218, v28
	s_wait_alu 0xf1ff
	v_cndmask_b32_e64 v62, 0x7f800000, v24, s3
	s_delay_alu instid0(VALU_DEP_1) | instskip(NEXT) | instid1(VALU_DEP_1)
	v_cvt_f16_f32_e32 v24, v62
	v_pack_b32_f16 v25, v24, v25
	v_sub_f32_e32 v24, v46, v43
	s_delay_alu instid0(VALU_DEP_1) | instskip(SKIP_1) | instid1(VALU_DEP_2)
	v_mul_f32_e32 v28, 0x3fb8aa3b, v24
	v_cmp_ngt_f32_e32 vcc_lo, 0xc2ce8ed0, v24
	v_fma_f32 v29, 0x3fb8aa3b, v24, -v28
	v_rndne_f32_e32 v30, v28
	s_delay_alu instid0(VALU_DEP_1) | instskip(SKIP_1) | instid1(VALU_DEP_2)
	v_dual_fmac_f32 v29, 0x32a5705f, v24 :: v_dual_sub_f32 v28, v28, v30
	v_cvt_i32_f32_e32 v30, v30
	v_dual_add_f32 v28, v28, v29 :: v_dual_sub_f32 v29, v45, v43
	s_delay_alu instid0(VALU_DEP_1) | instskip(NEXT) | instid1(VALU_DEP_1)
	v_exp_f32_e32 v28, v28
	v_mul_f32_e32 v31, 0x3fb8aa3b, v29
	v_cmp_ngt_f32_e64 s3, 0xc2ce8ed0, v29
	s_delay_alu instid0(VALU_DEP_2) | instskip(SKIP_1) | instid1(TRANS32_DEP_1)
	v_fma_f32 v32, 0x3fb8aa3b, v29, -v31
	v_rndne_f32_e32 v33, v31
	v_ldexp_f32 v28, v28, v30
	s_delay_alu instid0(VALU_DEP_3) | instskip(SKIP_1) | instid1(VALU_DEP_2)
	v_fmac_f32_e32 v32, 0x32a5705f, v29
	s_wait_alu 0xfffd
	v_dual_sub_f32 v31, v31, v33 :: v_dual_cndmask_b32 v28, 0, v28
	v_cmp_nlt_f32_e32 vcc_lo, 0x42b17218, v24
	s_delay_alu instid0(VALU_DEP_2) | instskip(SKIP_1) | instid1(VALU_DEP_3)
	v_add_f32_e32 v31, v31, v32
	s_wait_alu 0xfffd
	v_cndmask_b32_e32 v83, 0x7f800000, v28, vcc_lo
	s_delay_alu instid0(VALU_DEP_2) | instskip(SKIP_1) | instid1(VALU_DEP_2)
	v_exp_f32_e32 v30, v31
	v_cvt_i32_f32_e32 v31, v33
	v_cvt_f16_f32_e32 v28, v83
	s_delay_alu instid0(TRANS32_DEP_1) | instid1(VALU_DEP_2)
	v_ldexp_f32 v30, v30, v31
	s_wait_alu 0xf1ff
	s_delay_alu instid0(VALU_DEP_1) | instskip(SKIP_3) | instid1(VALU_DEP_2)
	v_cndmask_b32_e64 v24, 0, v30, s3
	v_cmp_nlt_f32_e64 s3, 0x42b17218, v29
	v_add_nc_u32_e32 v29, 0x2400, v71
	s_wait_alu 0xf1ff
	v_cndmask_b32_e64 v82, 0x7f800000, v24, s3
	s_delay_alu instid0(VALU_DEP_1) | instskip(NEXT) | instid1(VALU_DEP_1)
	v_cvt_f16_f32_e32 v24, v82
	v_pack_b32_f16 v24, v24, v28
	v_add_nc_u32_e32 v28, 0x2400, v70
	v_add_nc_u32_e32 v70, 0x2800, v150
	ds_load_2addr_b32 v[32:33], v28 offset0:192 offset1:208
	ds_load_2addr_b32 v[35:36], v29 offset0:192 offset1:208
	;; [unrolled: 1-line block ×4, first 2 shown]
	v_add_nc_u32_e32 v28, 0x2400, v150
	ds_load_2addr_b32 v[47:48], v70 offset0:40 offset1:56
	ds_load_2addr_b32 v[49:50], v70 offset0:72 offset1:92
	;; [unrolled: 1-line block ×6, first 2 shown]
	s_wait_dscnt 0x8
	v_perm_b32 v31, v35, v32, 0x5040100
	v_perm_b32 v39, v36, v33, 0x5040100
	s_wait_dscnt 0x6
	v_perm_b32 v30, v46, v37, 0x5040100
	s_wait_dscnt 0x4
	;; [unrolled: 2-line block ×4, first 2 shown]
	v_perm_b32 v34, v55, v38, 0x7060302
	v_perm_b32 v38, v55, v38, 0x5040100
	s_delay_alu instid0(VALU_DEP_3)
	v_wmma_f16_16x16x16_f16 v[20:23], v[28:31], v[24:27], v[20:23]
	v_perm_b32 v28, v54, v51, 0x7060302
	ds_load_2addr_b32 v[54:55], v70 offset0:4 offset1:20
	v_perm_b32 v30, v46, v37, 0x7060302
	v_perm_b32 v31, v35, v32, 0x7060302
	;; [unrolled: 1-line block ×4, first 2 shown]
	s_wait_dscnt 0x1
	v_perm_b32 v33, v57, v48, 0x7060302
	v_perm_b32 v37, v57, v48, 0x5040100
	;; [unrolled: 1-line block ×7, first 2 shown]
	v_wmma_f16_16x16x16_f16 v[16:19], v[28:31], v[24:27], v[16:19]
	s_wait_loadcnt_dscnt 0x0
	s_barrier_signal -1
	s_barrier_wait -1
	global_inv scope:SCOPE_SE
	v_perm_b32 v48, v55, v53, 0x5040100
	v_perm_b32 v36, v54, v52, 0x5040100
	v_perm_b32 v32, v54, v52, 0x7060302
	v_perm_b32 v45, v55, v53, 0x7060302
	s_delay_alu instid0(VALU_DEP_4) | instskip(SKIP_3) | instid1(VALU_DEP_3)
	v_wmma_f16_16x16x16_f16 v[4:7], v[48:51], v[24:27], v[4:7]
	v_perm_b32 v48, v41, v42, 0x7060302
	v_wmma_f16_16x16x16_f16 v[8:11], v[36:39], v[24:27], v[8:11]
	v_wmma_f16_16x16x16_f16 v[12:15], v[32:35], v[24:27], v[12:15]
	;; [unrolled: 1-line block ×3, first 2 shown]
	v_add_f32_e32 v24, v107, v108
	s_delay_alu instid0(VALU_DEP_1) | instskip(NEXT) | instid1(VALU_DEP_1)
	v_add_f32_e32 v24, v72, v24
	v_add_f32_e32 v24, v106, v24
	s_delay_alu instid0(VALU_DEP_1) | instskip(NEXT) | instid1(VALU_DEP_1)
	v_add_f32_e32 v24, v77, v24
	v_add_f32_e32 v24, v78, v24
	s_delay_alu instid0(VALU_DEP_1) | instskip(NEXT) | instid1(VALU_DEP_1)
	v_add_f32_e32 v24, v73, v24
	v_add_f32_e32 v24, v74, v24
	s_delay_alu instid0(VALU_DEP_1) | instskip(NEXT) | instid1(VALU_DEP_1)
	v_add_f32_e32 v24, v111, v24
	v_add_f32_e32 v24, v112, v24
	s_delay_alu instid0(VALU_DEP_1) | instskip(NEXT) | instid1(VALU_DEP_1)
	v_add_f32_e32 v24, v109, v24
	v_add_f32_e32 v24, v110, v24
	s_delay_alu instid0(VALU_DEP_1) | instskip(NEXT) | instid1(VALU_DEP_1)
	v_add_f32_e32 v24, v86, v24
	v_add_f32_e32 v24, v89, v24
	s_delay_alu instid0(VALU_DEP_1) | instskip(NEXT) | instid1(VALU_DEP_1)
	v_add_f32_e32 v24, v87, v24
	v_add_f32_e32 v24, v88, v24
	s_delay_alu instid0(VALU_DEP_1) | instskip(NEXT) | instid1(VALU_DEP_1)
	v_add_f32_e32 v24, v80, v24
	v_add_f32_e32 v24, v81, v24
	s_delay_alu instid0(VALU_DEP_1) | instskip(NEXT) | instid1(VALU_DEP_1)
	v_add_f32_e32 v24, v68, v24
	v_add_f32_e32 v24, v79, v24
	s_delay_alu instid0(VALU_DEP_1) | instskip(NEXT) | instid1(VALU_DEP_1)
	v_add_f32_e32 v24, v64, v24
	v_add_f32_e32 v24, v67, v24
	s_delay_alu instid0(VALU_DEP_1) | instskip(NEXT) | instid1(VALU_DEP_1)
	v_add_f32_e32 v24, v65, v24
	v_add_f32_e32 v24, v66, v24
	s_delay_alu instid0(VALU_DEP_1) | instskip(NEXT) | instid1(VALU_DEP_1)
	v_add_f32_e32 v24, v82, v24
	v_add_f32_e32 v24, v83, v24
	s_delay_alu instid0(VALU_DEP_1) | instskip(NEXT) | instid1(VALU_DEP_1)
	v_add_f32_e32 v24, v62, v24
	v_add_f32_e32 v24, v63, v24
	s_delay_alu instid0(VALU_DEP_1) | instskip(NEXT) | instid1(VALU_DEP_1)
	v_add_f32_e32 v24, v40, v24
	v_add_f32_e32 v24, v61, v24
	s_delay_alu instid0(VALU_DEP_1) | instskip(NEXT) | instid1(VALU_DEP_1)
	v_add_f32_e32 v24, v59, v24
	v_add_f32_e32 v24, v60, v24
	s_delay_alu instid0(VALU_DEP_1)
	v_fmac_f32_e32 v24, v187, v69
	ds_bpermute_b32 v25, v44, v24
	s_wait_dscnt 0x0
	v_add_f32_e32 v38, v24, v25
	s_cbranch_scc0 .LBB14_475
; %bb.117:                              ;   in Loop: Header=BB14_9 Depth=1
	scratch_load_b32 v24, off, off offset:12 ; 4-byte Folded Reload
	s_wait_loadcnt 0x0
	v_dual_max_num_f32 v25, v43, v43 :: v_dual_lshlrev_b32 v24, 2, v24
	global_load_b32 v24, v24, s[74:75]
	s_wait_loadcnt 0x0
	v_max_num_f32_e32 v26, v24, v24
	s_delay_alu instid0(VALU_DEP_1) | instskip(NEXT) | instid1(VALU_DEP_1)
	v_max_num_f32_e32 v36, v25, v26
	v_sub_f32_e32 v25, v43, v36
	v_sub_f32_e32 v24, v24, v36
	s_delay_alu instid0(VALU_DEP_2) | instskip(NEXT) | instid1(VALU_DEP_1)
	v_mul_f32_e32 v26, 0x3fb8aa3b, v25
	v_fma_f32 v27, 0x3fb8aa3b, v25, -v26
	v_rndne_f32_e32 v28, v26
	s_delay_alu instid0(VALU_DEP_1) | instskip(SKIP_1) | instid1(VALU_DEP_2)
	v_dual_fmac_f32 v27, 0x32a5705f, v25 :: v_dual_sub_f32 v26, v26, v28
	v_cvt_i32_f32_e32 v28, v28
	v_dual_add_f32 v26, v26, v27 :: v_dual_mul_f32 v27, 0x3fb8aa3b, v24
	v_cmp_ngt_f32_e32 vcc_lo, 0xc2ce8ed0, v25
	s_delay_alu instid0(VALU_DEP_2) | instskip(NEXT) | instid1(VALU_DEP_2)
	v_exp_f32_e32 v26, v26
	v_fma_f32 v29, 0x3fb8aa3b, v24, -v27
	v_rndne_f32_e32 v30, v27
	s_delay_alu instid0(VALU_DEP_1) | instskip(NEXT) | instid1(TRANS32_DEP_1)
	v_sub_f32_e32 v27, v27, v30
	v_ldexp_f32 v26, v26, v28
	s_wait_alu 0xfffd
	s_delay_alu instid0(VALU_DEP_1) | instskip(NEXT) | instid1(VALU_DEP_1)
	v_dual_fmac_f32 v29, 0x32a5705f, v24 :: v_dual_cndmask_b32 v26, 0, v26
	v_add_f32_e32 v27, v27, v29
	v_cmp_nlt_f32_e32 vcc_lo, 0x42b17218, v25
	s_delay_alu instid0(VALU_DEP_2)
	v_exp_f32_e32 v27, v27
	s_wait_alu 0xfffd
	v_cndmask_b32_e32 v26, 0x7f800000, v26, vcc_lo
	v_cmp_le_f32_e32 vcc_lo, 0xc1a00000, v25
	v_cvt_i32_f32_e32 v25, v30
	s_wait_alu 0xfffd
	s_delay_alu instid0(VALU_DEP_3)
	v_cndmask_b32_e32 v52, 0, v26, vcc_lo
	v_cmp_ngt_f32_e32 vcc_lo, 0xc2ce8ed0, v24
	s_delay_alu instid0(TRANS32_DEP_1) | instid1(VALU_DEP_3)
	v_ldexp_f32 v25, v27, v25
	s_delay_alu instid0(VALU_DEP_3) | instskip(SKIP_1) | instid1(VALU_DEP_2)
	v_cvt_f16_f32_e32 v26, v52
	s_wait_alu 0xfffd
	v_cndmask_b32_e32 v25, 0, v25, vcc_lo
	v_cmp_nlt_f32_e32 vcc_lo, 0x42b17218, v24
	s_delay_alu instid0(VALU_DEP_3) | instskip(SKIP_1) | instid1(VALU_DEP_3)
	v_and_b32_e32 v26, 0xffff, v26
	s_wait_alu 0xfffd
	v_cndmask_b32_e32 v37, 0x7f800000, v25, vcc_lo
	s_delay_alu instid0(VALU_DEP_2) | instskip(NEXT) | instid1(VALU_DEP_2)
	v_mul_u32_u24_e32 v27, 0x10001, v26
	v_fmac_f32_e32 v37, v38, v52
	s_delay_alu instid0(VALU_DEP_2)
	v_pk_mul_f16 v51, v20, v27
	v_pk_mul_f16 v50, v21, v27
	;; [unrolled: 1-line block ×24, first 2 shown]
	s_cbranch_execnz .LBB14_119
.LBB14_118:                             ;   in Loop: Header=BB14_9 Depth=1
	v_dual_mov_b32 v31, v15 :: v_dual_mov_b32 v30, v14
	v_dual_mov_b32 v35, v19 :: v_dual_mov_b32 v34, v18
	;; [unrolled: 1-line block ×13, first 2 shown]
.LBB14_119:                             ;   in Loop: Header=BB14_9 Depth=1
	s_wait_loadcnt 0x0
	s_barrier_signal -1
	s_barrier_wait -1
	global_inv scope:SCOPE_SE
	s_and_saveexec_b32 s0, s2
	s_cbranch_execz .LBB14_121
; %bb.120:                              ;   in Loop: Header=BB14_9 Depth=1
	scratch_load_b64 v[0:1], off, off offset:380 ; 8-byte Folded Reload
	s_wait_loadcnt 0x0
	global_store_b64 v[0:1], v[36:37], off
.LBB14_121:                             ;   in Loop: Header=BB14_9 Depth=1
	s_wait_alu 0xfffe
	s_or_b32 exec_lo, exec_lo, s0
	v_perm_b32 v0, v32, v51, 0x5040100
	v_perm_b32 v1, v32, v51, 0x7060302
	;; [unrolled: 1-line block ×8, first 2 shown]
	ds_store_2addr_b32 v221, v0, v1 offset1:1
	ds_store_2addr_b32 v221, v2, v3 offset0:2 offset1:3
	ds_store_2addr_b32 v221, v4, v5 offset0:4 offset1:5
	;; [unrolled: 1-line block ×3, first 2 shown]
	v_perm_b32 v0, v28, v47, 0x5040100
	v_perm_b32 v1, v28, v47, 0x7060302
	;; [unrolled: 1-line block ×8, first 2 shown]
	v_cmp_gt_i32_e64 s3, s24, v186
	v_cmp_gt_i32_e64 s4, s33, v248
	v_perm_b32 v8, v24, v42, 0x5040100
	v_perm_b32 v9, v24, v42, 0x7060302
	;; [unrolled: 1-line block ×8, first 2 shown]
	ds_store_2addr_b32 v221, v0, v1 offset0:16 offset1:17
	ds_store_2addr_b32 v221, v2, v3 offset0:18 offset1:19
	;; [unrolled: 1-line block ×8, first 2 shown]
	v_mov_b32_e32 v0, 50
	s_and_b32 s1, s3, s4
	s_wait_storecnt 0x0
	s_wait_loadcnt_dscnt 0x0
	v_cmp_le_i32_e32 vcc_lo, s33, v248
	s_barrier_signal -1
	s_barrier_wait -1
	global_inv scope:SCOPE_SE
	s_wait_alu 0xfffe
	s_and_saveexec_b32 s0, s1
	s_cbranch_execz .LBB14_123
; %bb.122:                              ;   in Loop: Header=BB14_9 Depth=1
	v_add_nc_u32_e32 v0, v193, v175
	ds_load_b32 v2, v0
	v_mad_co_u64_u32 v[0:1], null, v186, s25, v[131:132]
	s_delay_alu instid0(VALU_DEP_1) | instskip(NEXT) | instid1(VALU_DEP_1)
	v_mad_co_u64_u32 v[0:1], null, v0, 48, v[232:233]
	v_ashrrev_i32_e32 v1, 31, v0
	s_wait_dscnt 0x0
	v_lshrrev_b32_e32 v3, 16, v2
	v_cvt_f32_f16_e32 v2, v2
	s_delay_alu instid0(VALU_DEP_3) | instskip(NEXT) | instid1(VALU_DEP_3)
	v_lshlrev_b64_e32 v[0:1], 3, v[0:1]
	v_cvt_f32_f16_e32 v3, v3
	s_delay_alu instid0(VALU_DEP_3) | instskip(NEXT) | instid1(VALU_DEP_3)
	v_add_f32_e32 v2, 0, v2
	v_add_co_u32 v4, s3, s72, v0
	s_delay_alu instid0(VALU_DEP_3)
	v_add_f32_e32 v3, 0, v3
	s_wait_alu 0xf1ff
	v_add_co_ci_u32_e64 v5, null, s73, v1, s3
	v_mov_b32_e32 v0, 0
	global_store_b64 v[4:5], v[2:3], off
.LBB14_123:                             ;   in Loop: Header=BB14_9 Depth=1
	s_wait_alu 0xfffe
	s_or_b32 exec_lo, exec_lo, s0
	s_mov_b32 s1, -1
	s_mov_b32 s0, exec_lo
	v_cmpx_gt_i32_e32 50, v0
; %bb.124:                              ;   in Loop: Header=BB14_9 Depth=1
	v_cmp_eq_u32_e64 s3, 0, v0
	s_or_not1_b32 s1, s3, exec_lo
; %bb.125:                              ;   in Loop: Header=BB14_9 Depth=1
	s_wait_alu 0xfffe
	s_or_b32 exec_lo, exec_lo, s0
	s_and_saveexec_b32 s0, s1
	s_cbranch_execz .LBB14_198
; %bb.126:                              ;   in Loop: Header=BB14_9 Depth=1
	v_cmp_gt_i32_e64 s3, s24, v184
	v_mov_b32_e32 v0, 50
	s_xor_b32 s1, vcc_lo, -1
	s_wait_alu 0xfffe
	s_and_b32 s4, s3, s1
	s_wait_alu 0xfffe
	s_and_saveexec_b32 s3, s4
	s_cbranch_execz .LBB14_128
; %bb.127:                              ;   in Loop: Header=BB14_9 Depth=1
	v_add_nc_u32_e32 v0, v193, v177
	ds_load_b32 v2, v0
	v_mad_co_u64_u32 v[0:1], null, v184, s25, v[131:132]
	s_delay_alu instid0(VALU_DEP_1) | instskip(NEXT) | instid1(VALU_DEP_1)
	v_mad_co_u64_u32 v[0:1], null, v0, 48, v[232:233]
	v_ashrrev_i32_e32 v1, 31, v0
	s_wait_dscnt 0x0
	v_lshrrev_b32_e32 v3, 16, v2
	v_cvt_f32_f16_e32 v2, v2
	s_delay_alu instid0(VALU_DEP_3) | instskip(NEXT) | instid1(VALU_DEP_3)
	v_lshlrev_b64_e32 v[0:1], 3, v[0:1]
	v_cvt_f32_f16_e32 v3, v3
	s_delay_alu instid0(VALU_DEP_3) | instskip(NEXT) | instid1(VALU_DEP_3)
	v_add_f32_e32 v2, 0, v2
	v_add_co_u32 v4, vcc_lo, s72, v0
	s_delay_alu instid0(VALU_DEP_3)
	v_add_f32_e32 v3, 0, v3
	s_wait_alu 0xfffd
	v_add_co_ci_u32_e64 v5, null, s73, v1, vcc_lo
	v_mov_b32_e32 v0, 0
	global_store_b64 v[4:5], v[2:3], off
.LBB14_128:                             ;   in Loop: Header=BB14_9 Depth=1
	s_wait_alu 0xfffe
	s_or_b32 exec_lo, exec_lo, s3
	s_mov_b32 s3, -1
	s_mov_b32 s4, exec_lo
	v_cmpx_gt_i32_e32 50, v0
; %bb.129:                              ;   in Loop: Header=BB14_9 Depth=1
	v_cmp_eq_u32_e32 vcc_lo, 0, v0
	s_or_not1_b32 s3, vcc_lo, exec_lo
; %bb.130:                              ;   in Loop: Header=BB14_9 Depth=1
	s_wait_alu 0xfffe
	s_or_b32 exec_lo, exec_lo, s4
	s_delay_alu instid0(SALU_CYCLE_1)
	s_and_b32 exec_lo, exec_lo, s3
	s_cbranch_execz .LBB14_198
; %bb.131:                              ;   in Loop: Header=BB14_9 Depth=1
	v_cmp_gt_i32_e32 vcc_lo, s24, v222
	v_mov_b32_e32 v0, 50
	s_and_b32 s4, vcc_lo, s1
	s_wait_alu 0xfffe
	s_and_saveexec_b32 s3, s4
	s_cbranch_execz .LBB14_133
; %bb.132:                              ;   in Loop: Header=BB14_9 Depth=1
	v_add_nc_u32_e32 v0, v193, v180
	ds_load_b32 v2, v0
	v_mad_co_u64_u32 v[0:1], null, v222, s25, v[131:132]
	s_delay_alu instid0(VALU_DEP_1) | instskip(NEXT) | instid1(VALU_DEP_1)
	v_mad_co_u64_u32 v[0:1], null, v0, 48, v[232:233]
	v_ashrrev_i32_e32 v1, 31, v0
	s_wait_dscnt 0x0
	v_lshrrev_b32_e32 v3, 16, v2
	v_cvt_f32_f16_e32 v2, v2
	s_delay_alu instid0(VALU_DEP_3) | instskip(NEXT) | instid1(VALU_DEP_3)
	v_lshlrev_b64_e32 v[0:1], 3, v[0:1]
	v_cvt_f32_f16_e32 v3, v3
	s_delay_alu instid0(VALU_DEP_3) | instskip(NEXT) | instid1(VALU_DEP_3)
	v_add_f32_e32 v2, 0, v2
	v_add_co_u32 v4, vcc_lo, s72, v0
	s_delay_alu instid0(VALU_DEP_3)
	v_add_f32_e32 v3, 0, v3
	s_wait_alu 0xfffd
	v_add_co_ci_u32_e64 v5, null, s73, v1, vcc_lo
	v_mov_b32_e32 v0, 0
	global_store_b64 v[4:5], v[2:3], off
.LBB14_133:                             ;   in Loop: Header=BB14_9 Depth=1
	s_wait_alu 0xfffe
	s_or_b32 exec_lo, exec_lo, s3
	s_mov_b32 s3, -1
	s_mov_b32 s4, exec_lo
	v_cmpx_gt_i32_e32 50, v0
; %bb.134:                              ;   in Loop: Header=BB14_9 Depth=1
	v_cmp_eq_u32_e32 vcc_lo, 0, v0
	s_or_not1_b32 s3, vcc_lo, exec_lo
; %bb.135:                              ;   in Loop: Header=BB14_9 Depth=1
	s_wait_alu 0xfffe
	s_or_b32 exec_lo, exec_lo, s4
	s_delay_alu instid0(SALU_CYCLE_1)
	s_and_b32 exec_lo, exec_lo, s3
	s_cbranch_execz .LBB14_198
; %bb.136:                              ;   in Loop: Header=BB14_9 Depth=1
	v_cmp_gt_i32_e32 vcc_lo, s24, v220
	v_mov_b32_e32 v0, 50
	s_and_b32 s4, vcc_lo, s1
	;; [unrolled: 44-line block ×3, first 2 shown]
	s_wait_alu 0xfffe
	s_and_saveexec_b32 s3, s4
	s_cbranch_execz .LBB14_143
; %bb.142:                              ;   in Loop: Header=BB14_9 Depth=1
	scratch_load_b32 v0, off, off offset:532 ; 4-byte Folded Reload
	s_wait_loadcnt 0x0
	ds_load_b32 v2, v0
	v_mad_co_u64_u32 v[0:1], null, v247, s25, v[131:132]
	s_delay_alu instid0(VALU_DEP_1) | instskip(NEXT) | instid1(VALU_DEP_1)
	v_mad_co_u64_u32 v[0:1], null, v0, 48, v[232:233]
	v_ashrrev_i32_e32 v1, 31, v0
	s_wait_dscnt 0x0
	v_lshrrev_b32_e32 v3, 16, v2
	v_cvt_f32_f16_e32 v2, v2
	s_delay_alu instid0(VALU_DEP_3) | instskip(NEXT) | instid1(VALU_DEP_3)
	v_lshlrev_b64_e32 v[0:1], 3, v[0:1]
	v_cvt_f32_f16_e32 v3, v3
	s_delay_alu instid0(VALU_DEP_3) | instskip(NEXT) | instid1(VALU_DEP_3)
	v_add_f32_e32 v2, 0, v2
	v_add_co_u32 v4, vcc_lo, s72, v0
	s_delay_alu instid0(VALU_DEP_3)
	v_add_f32_e32 v3, 0, v3
	s_wait_alu 0xfffd
	v_add_co_ci_u32_e64 v5, null, s73, v1, vcc_lo
	v_mov_b32_e32 v0, 0
	global_store_b64 v[4:5], v[2:3], off
.LBB14_143:                             ;   in Loop: Header=BB14_9 Depth=1
	s_wait_alu 0xfffe
	s_or_b32 exec_lo, exec_lo, s3
	s_mov_b32 s3, -1
	s_mov_b32 s4, exec_lo
	v_cmpx_gt_i32_e32 50, v0
; %bb.144:                              ;   in Loop: Header=BB14_9 Depth=1
	v_cmp_eq_u32_e32 vcc_lo, 0, v0
	s_or_not1_b32 s3, vcc_lo, exec_lo
; %bb.145:                              ;   in Loop: Header=BB14_9 Depth=1
	s_wait_alu 0xfffe
	s_or_b32 exec_lo, exec_lo, s4
	s_delay_alu instid0(SALU_CYCLE_1)
	s_and_b32 exec_lo, exec_lo, s3
	s_cbranch_execz .LBB14_198
; %bb.146:                              ;   in Loop: Header=BB14_9 Depth=1
	v_cmp_gt_i32_e32 vcc_lo, s24, v244
	v_mov_b32_e32 v0, 50
	s_and_b32 s4, vcc_lo, s1
	s_wait_alu 0xfffe
	s_and_saveexec_b32 s3, s4
	s_cbranch_execz .LBB14_148
; %bb.147:                              ;   in Loop: Header=BB14_9 Depth=1
	v_add_nc_u32_e32 v0, v193, v185
	ds_load_b32 v2, v0 offset:1664
	v_mad_co_u64_u32 v[0:1], null, v244, s25, v[131:132]
	s_delay_alu instid0(VALU_DEP_1) | instskip(NEXT) | instid1(VALU_DEP_1)
	v_mad_co_u64_u32 v[0:1], null, v0, 48, v[232:233]
	v_ashrrev_i32_e32 v1, 31, v0
	s_wait_dscnt 0x0
	v_lshrrev_b32_e32 v3, 16, v2
	v_cvt_f32_f16_e32 v2, v2
	s_delay_alu instid0(VALU_DEP_3) | instskip(NEXT) | instid1(VALU_DEP_3)
	v_lshlrev_b64_e32 v[0:1], 3, v[0:1]
	v_cvt_f32_f16_e32 v3, v3
	s_delay_alu instid0(VALU_DEP_3) | instskip(NEXT) | instid1(VALU_DEP_3)
	v_add_f32_e32 v2, 0, v2
	v_add_co_u32 v4, vcc_lo, s72, v0
	s_delay_alu instid0(VALU_DEP_3)
	v_add_f32_e32 v3, 0, v3
	s_wait_alu 0xfffd
	v_add_co_ci_u32_e64 v5, null, s73, v1, vcc_lo
	v_mov_b32_e32 v0, 0
	global_store_b64 v[4:5], v[2:3], off
.LBB14_148:                             ;   in Loop: Header=BB14_9 Depth=1
	s_wait_alu 0xfffe
	s_or_b32 exec_lo, exec_lo, s3
	s_mov_b32 s3, -1
	s_mov_b32 s4, exec_lo
	v_cmpx_gt_i32_e32 50, v0
; %bb.149:                              ;   in Loop: Header=BB14_9 Depth=1
	v_cmp_eq_u32_e32 vcc_lo, 0, v0
	s_or_not1_b32 s3, vcc_lo, exec_lo
; %bb.150:                              ;   in Loop: Header=BB14_9 Depth=1
	s_wait_alu 0xfffe
	s_or_b32 exec_lo, exec_lo, s4
	s_delay_alu instid0(SALU_CYCLE_1)
	s_and_b32 exec_lo, exec_lo, s3
	s_cbranch_execz .LBB14_198
; %bb.151:                              ;   in Loop: Header=BB14_9 Depth=1
	v_cmp_gt_i32_e32 vcc_lo, s24, v218
	v_mov_b32_e32 v0, 50
	s_and_b32 s4, vcc_lo, s1
	s_wait_alu 0xfffe
	s_and_saveexec_b32 s3, s4
	s_cbranch_execz .LBB14_153
; %bb.152:                              ;   in Loop: Header=BB14_9 Depth=1
	v_add_nc_u32_e32 v0, v193, v185
	ds_load_b32 v2, v0 offset:2496
	v_mad_co_u64_u32 v[0:1], null, v218, s25, v[131:132]
	s_delay_alu instid0(VALU_DEP_1) | instskip(NEXT) | instid1(VALU_DEP_1)
	v_mad_co_u64_u32 v[0:1], null, v0, 48, v[232:233]
	v_ashrrev_i32_e32 v1, 31, v0
	s_wait_dscnt 0x0
	v_lshrrev_b32_e32 v3, 16, v2
	v_cvt_f32_f16_e32 v2, v2
	s_delay_alu instid0(VALU_DEP_3) | instskip(NEXT) | instid1(VALU_DEP_3)
	v_lshlrev_b64_e32 v[0:1], 3, v[0:1]
	v_cvt_f32_f16_e32 v3, v3
	s_delay_alu instid0(VALU_DEP_3) | instskip(NEXT) | instid1(VALU_DEP_3)
	v_add_f32_e32 v2, 0, v2
	v_add_co_u32 v4, vcc_lo, s72, v0
	s_delay_alu instid0(VALU_DEP_3)
	v_add_f32_e32 v3, 0, v3
	s_wait_alu 0xfffd
	v_add_co_ci_u32_e64 v5, null, s73, v1, vcc_lo
	v_mov_b32_e32 v0, 0
	global_store_b64 v[4:5], v[2:3], off
.LBB14_153:                             ;   in Loop: Header=BB14_9 Depth=1
	;; [unrolled: 44-line block ×3, first 2 shown]
	s_wait_alu 0xfffe
	s_or_b32 exec_lo, exec_lo, s3
	s_mov_b32 s3, -1
	s_mov_b32 s4, exec_lo
	v_cmpx_gt_i32_e32 50, v0
; %bb.159:                              ;   in Loop: Header=BB14_9 Depth=1
	v_cmp_eq_u32_e32 vcc_lo, 0, v0
	s_or_not1_b32 s3, vcc_lo, exec_lo
; %bb.160:                              ;   in Loop: Header=BB14_9 Depth=1
	s_wait_alu 0xfffe
	s_or_b32 exec_lo, exec_lo, s4
	s_delay_alu instid0(SALU_CYCLE_1)
	s_and_b32 exec_lo, exec_lo, s3
	s_cbranch_execz .LBB14_198
; %bb.161:                              ;   in Loop: Header=BB14_9 Depth=1
	v_cmp_gt_i32_e32 vcc_lo, s24, v90
	v_mov_b32_e32 v0, 50
	s_and_b32 s4, vcc_lo, s1
	s_wait_alu 0xfffe
	s_and_saveexec_b32 s3, s4
	s_cbranch_execz .LBB14_163
; %bb.162:                              ;   in Loop: Header=BB14_9 Depth=1
	scratch_load_b32 v0, off, off offset:592 ; 4-byte Folded Reload
	s_wait_loadcnt 0x0
	ds_load_b32 v2, v0
	v_mad_co_u64_u32 v[0:1], null, v90, s25, v[131:132]
	s_delay_alu instid0(VALU_DEP_1) | instskip(NEXT) | instid1(VALU_DEP_1)
	v_mad_co_u64_u32 v[0:1], null, v0, 48, v[232:233]
	v_ashrrev_i32_e32 v1, 31, v0
	s_wait_dscnt 0x0
	v_lshrrev_b32_e32 v3, 16, v2
	v_cvt_f32_f16_e32 v2, v2
	s_delay_alu instid0(VALU_DEP_3) | instskip(NEXT) | instid1(VALU_DEP_3)
	v_lshlrev_b64_e32 v[0:1], 3, v[0:1]
	v_cvt_f32_f16_e32 v3, v3
	s_delay_alu instid0(VALU_DEP_3) | instskip(NEXT) | instid1(VALU_DEP_3)
	v_add_f32_e32 v2, 0, v2
	v_add_co_u32 v4, vcc_lo, s72, v0
	s_delay_alu instid0(VALU_DEP_3)
	v_add_f32_e32 v3, 0, v3
	s_wait_alu 0xfffd
	v_add_co_ci_u32_e64 v5, null, s73, v1, vcc_lo
	v_mov_b32_e32 v0, 0
	global_store_b64 v[4:5], v[2:3], off
.LBB14_163:                             ;   in Loop: Header=BB14_9 Depth=1
	s_wait_alu 0xfffe
	s_or_b32 exec_lo, exec_lo, s3
	s_mov_b32 s3, -1
	s_mov_b32 s4, exec_lo
	v_cmpx_gt_i32_e32 50, v0
; %bb.164:                              ;   in Loop: Header=BB14_9 Depth=1
	v_cmp_eq_u32_e32 vcc_lo, 0, v0
	s_or_not1_b32 s3, vcc_lo, exec_lo
; %bb.165:                              ;   in Loop: Header=BB14_9 Depth=1
	s_wait_alu 0xfffe
	s_or_b32 exec_lo, exec_lo, s4
	s_delay_alu instid0(SALU_CYCLE_1)
	s_and_b32 exec_lo, exec_lo, s3
	s_cbranch_execz .LBB14_198
; %bb.166:                              ;   in Loop: Header=BB14_9 Depth=1
	v_cmp_gt_i32_e32 vcc_lo, s24, v208
	v_mov_b32_e32 v0, 50
	s_and_b32 s4, vcc_lo, s1
	s_wait_alu 0xfffe
	s_and_saveexec_b32 s3, s4
	s_cbranch_execz .LBB14_168
; %bb.167:                              ;   in Loop: Header=BB14_9 Depth=1
	v_add_nc_u32_e32 v0, v193, v185
	ds_load_b32 v2, v0 offset:4992
	v_mad_co_u64_u32 v[0:1], null, v208, s25, v[131:132]
	s_delay_alu instid0(VALU_DEP_1) | instskip(NEXT) | instid1(VALU_DEP_1)
	v_mad_co_u64_u32 v[0:1], null, v0, 48, v[232:233]
	v_ashrrev_i32_e32 v1, 31, v0
	s_wait_dscnt 0x0
	v_lshrrev_b32_e32 v3, 16, v2
	v_cvt_f32_f16_e32 v2, v2
	s_delay_alu instid0(VALU_DEP_3) | instskip(NEXT) | instid1(VALU_DEP_3)
	v_lshlrev_b64_e32 v[0:1], 3, v[0:1]
	v_cvt_f32_f16_e32 v3, v3
	s_delay_alu instid0(VALU_DEP_3) | instskip(NEXT) | instid1(VALU_DEP_3)
	v_add_f32_e32 v2, 0, v2
	v_add_co_u32 v4, vcc_lo, s72, v0
	s_delay_alu instid0(VALU_DEP_3)
	v_add_f32_e32 v3, 0, v3
	s_wait_alu 0xfffd
	v_add_co_ci_u32_e64 v5, null, s73, v1, vcc_lo
	v_mov_b32_e32 v0, 0
	global_store_b64 v[4:5], v[2:3], off
.LBB14_168:                             ;   in Loop: Header=BB14_9 Depth=1
	s_wait_alu 0xfffe
	s_or_b32 exec_lo, exec_lo, s3
	s_mov_b32 s3, -1
	s_mov_b32 s4, exec_lo
	v_cmpx_gt_i32_e32 50, v0
; %bb.169:                              ;   in Loop: Header=BB14_9 Depth=1
	v_cmp_eq_u32_e32 vcc_lo, 0, v0
	s_or_not1_b32 s3, vcc_lo, exec_lo
; %bb.170:                              ;   in Loop: Header=BB14_9 Depth=1
	s_wait_alu 0xfffe
	s_or_b32 exec_lo, exec_lo, s4
	s_delay_alu instid0(SALU_CYCLE_1)
	s_and_b32 exec_lo, exec_lo, s3
	s_cbranch_execz .LBB14_198
; %bb.171:                              ;   in Loop: Header=BB14_9 Depth=1
	v_cmp_gt_i32_e32 vcc_lo, s24, v172
	v_mov_b32_e32 v0, 50
	s_and_b32 s4, vcc_lo, s1
	s_wait_alu 0xfffe
	s_and_saveexec_b32 s3, s4
	s_cbranch_execz .LBB14_173
; %bb.172:                              ;   in Loop: Header=BB14_9 Depth=1
	v_add_nc_u32_e32 v0, v193, v185
	ds_load_b32 v2, v0 offset:5824
	v_mad_co_u64_u32 v[0:1], null, v172, s25, v[131:132]
	s_delay_alu instid0(VALU_DEP_1) | instskip(NEXT) | instid1(VALU_DEP_1)
	v_mad_co_u64_u32 v[0:1], null, v0, 48, v[232:233]
	v_ashrrev_i32_e32 v1, 31, v0
	s_wait_dscnt 0x0
	v_lshrrev_b32_e32 v3, 16, v2
	v_cvt_f32_f16_e32 v2, v2
	s_delay_alu instid0(VALU_DEP_3) | instskip(NEXT) | instid1(VALU_DEP_3)
	v_lshlrev_b64_e32 v[0:1], 3, v[0:1]
	v_cvt_f32_f16_e32 v3, v3
	s_delay_alu instid0(VALU_DEP_3) | instskip(NEXT) | instid1(VALU_DEP_3)
	v_add_f32_e32 v2, 0, v2
	v_add_co_u32 v4, vcc_lo, s72, v0
	s_delay_alu instid0(VALU_DEP_3)
	v_add_f32_e32 v3, 0, v3
	s_wait_alu 0xfffd
	v_add_co_ci_u32_e64 v5, null, s73, v1, vcc_lo
	v_mov_b32_e32 v0, 0
	global_store_b64 v[4:5], v[2:3], off
.LBB14_173:                             ;   in Loop: Header=BB14_9 Depth=1
	;; [unrolled: 44-line block ×3, first 2 shown]
	s_wait_alu 0xfffe
	s_or_b32 exec_lo, exec_lo, s3
	s_mov_b32 s3, -1
	s_mov_b32 s4, exec_lo
	v_cmpx_gt_i32_e32 50, v0
; %bb.179:                              ;   in Loop: Header=BB14_9 Depth=1
	v_cmp_eq_u32_e32 vcc_lo, 0, v0
	s_or_not1_b32 s3, vcc_lo, exec_lo
; %bb.180:                              ;   in Loop: Header=BB14_9 Depth=1
	s_wait_alu 0xfffe
	s_or_b32 exec_lo, exec_lo, s4
	s_delay_alu instid0(SALU_CYCLE_1)
	s_and_b32 exec_lo, exec_lo, s3
	s_cbranch_execz .LBB14_198
; %bb.181:                              ;   in Loop: Header=BB14_9 Depth=1
	v_cmp_gt_i32_e32 vcc_lo, s24, v171
	v_mov_b32_e32 v0, 50
	s_and_b32 s4, vcc_lo, s1
	s_wait_alu 0xfffe
	s_and_saveexec_b32 s3, s4
	s_cbranch_execz .LBB14_183
; %bb.182:                              ;   in Loop: Header=BB14_9 Depth=1
	scratch_load_b32 v0, off, off offset:612 ; 4-byte Folded Reload
	s_wait_loadcnt 0x0
	ds_load_b32 v2, v0
	v_mad_co_u64_u32 v[0:1], null, v171, s25, v[131:132]
	s_delay_alu instid0(VALU_DEP_1) | instskip(NEXT) | instid1(VALU_DEP_1)
	v_mad_co_u64_u32 v[0:1], null, v0, 48, v[232:233]
	v_ashrrev_i32_e32 v1, 31, v0
	s_wait_dscnt 0x0
	v_lshrrev_b32_e32 v3, 16, v2
	v_cvt_f32_f16_e32 v2, v2
	s_delay_alu instid0(VALU_DEP_3) | instskip(NEXT) | instid1(VALU_DEP_3)
	v_lshlrev_b64_e32 v[0:1], 3, v[0:1]
	v_cvt_f32_f16_e32 v3, v3
	s_delay_alu instid0(VALU_DEP_3) | instskip(NEXT) | instid1(VALU_DEP_3)
	v_add_f32_e32 v2, 0, v2
	v_add_co_u32 v4, vcc_lo, s72, v0
	s_delay_alu instid0(VALU_DEP_3)
	v_add_f32_e32 v3, 0, v3
	s_wait_alu 0xfffd
	v_add_co_ci_u32_e64 v5, null, s73, v1, vcc_lo
	v_mov_b32_e32 v0, 0
	global_store_b64 v[4:5], v[2:3], off
.LBB14_183:                             ;   in Loop: Header=BB14_9 Depth=1
	s_wait_alu 0xfffe
	s_or_b32 exec_lo, exec_lo, s3
	s_mov_b32 s3, -1
	s_mov_b32 s4, exec_lo
	v_cmpx_gt_i32_e32 50, v0
; %bb.184:                              ;   in Loop: Header=BB14_9 Depth=1
	v_cmp_eq_u32_e32 vcc_lo, 0, v0
	s_or_not1_b32 s3, vcc_lo, exec_lo
; %bb.185:                              ;   in Loop: Header=BB14_9 Depth=1
	s_wait_alu 0xfffe
	s_or_b32 exec_lo, exec_lo, s4
	s_delay_alu instid0(SALU_CYCLE_1)
	s_and_b32 exec_lo, exec_lo, s3
	s_cbranch_execz .LBB14_198
; %bb.186:                              ;   in Loop: Header=BB14_9 Depth=1
	v_cmp_gt_i32_e32 vcc_lo, s24, v165
	v_mov_b32_e32 v0, 50
	s_and_b32 s4, vcc_lo, s1
	s_wait_alu 0xfffe
	s_and_saveexec_b32 s3, s4
	s_cbranch_execz .LBB14_188
; %bb.187:                              ;   in Loop: Header=BB14_9 Depth=1
	v_add_nc_u32_e32 v0, v193, v185
	ds_load_b32 v2, v0 offset:8320
	v_mad_co_u64_u32 v[0:1], null, v165, s25, v[131:132]
	s_delay_alu instid0(VALU_DEP_1) | instskip(NEXT) | instid1(VALU_DEP_1)
	v_mad_co_u64_u32 v[0:1], null, v0, 48, v[232:233]
	v_ashrrev_i32_e32 v1, 31, v0
	s_wait_dscnt 0x0
	v_lshrrev_b32_e32 v3, 16, v2
	v_cvt_f32_f16_e32 v2, v2
	s_delay_alu instid0(VALU_DEP_3) | instskip(NEXT) | instid1(VALU_DEP_3)
	v_lshlrev_b64_e32 v[0:1], 3, v[0:1]
	v_cvt_f32_f16_e32 v3, v3
	s_delay_alu instid0(VALU_DEP_3) | instskip(NEXT) | instid1(VALU_DEP_3)
	v_add_f32_e32 v2, 0, v2
	v_add_co_u32 v4, vcc_lo, s72, v0
	s_delay_alu instid0(VALU_DEP_3)
	v_add_f32_e32 v3, 0, v3
	s_wait_alu 0xfffd
	v_add_co_ci_u32_e64 v5, null, s73, v1, vcc_lo
	v_mov_b32_e32 v0, 0
	global_store_b64 v[4:5], v[2:3], off
.LBB14_188:                             ;   in Loop: Header=BB14_9 Depth=1
	s_wait_alu 0xfffe
	s_or_b32 exec_lo, exec_lo, s3
	s_mov_b32 s3, -1
	s_mov_b32 s4, exec_lo
	v_cmpx_gt_i32_e32 50, v0
; %bb.189:                              ;   in Loop: Header=BB14_9 Depth=1
	v_cmp_eq_u32_e32 vcc_lo, 0, v0
	s_or_not1_b32 s3, vcc_lo, exec_lo
; %bb.190:                              ;   in Loop: Header=BB14_9 Depth=1
	s_wait_alu 0xfffe
	s_or_b32 exec_lo, exec_lo, s4
	s_delay_alu instid0(SALU_CYCLE_1)
	s_and_b32 exec_lo, exec_lo, s3
	s_cbranch_execz .LBB14_198
; %bb.191:                              ;   in Loop: Header=BB14_9 Depth=1
	v_cmp_gt_i32_e32 vcc_lo, s24, v164
	v_mov_b32_e32 v0, 50
	s_and_b32 s4, vcc_lo, s1
	s_wait_alu 0xfffe
	s_and_saveexec_b32 s3, s4
	s_cbranch_execz .LBB14_193
; %bb.192:                              ;   in Loop: Header=BB14_9 Depth=1
	v_add_nc_u32_e32 v0, v193, v185
	ds_load_b32 v2, v0 offset:9152
	v_mad_co_u64_u32 v[0:1], null, v164, s25, v[131:132]
	s_delay_alu instid0(VALU_DEP_1) | instskip(NEXT) | instid1(VALU_DEP_1)
	v_mad_co_u64_u32 v[0:1], null, v0, 48, v[232:233]
	v_ashrrev_i32_e32 v1, 31, v0
	s_wait_dscnt 0x0
	v_lshrrev_b32_e32 v3, 16, v2
	v_cvt_f32_f16_e32 v2, v2
	s_delay_alu instid0(VALU_DEP_3) | instskip(NEXT) | instid1(VALU_DEP_3)
	v_lshlrev_b64_e32 v[0:1], 3, v[0:1]
	v_cvt_f32_f16_e32 v3, v3
	s_delay_alu instid0(VALU_DEP_3) | instskip(NEXT) | instid1(VALU_DEP_3)
	v_add_f32_e32 v2, 0, v2
	v_add_co_u32 v4, vcc_lo, s72, v0
	s_delay_alu instid0(VALU_DEP_3)
	v_add_f32_e32 v3, 0, v3
	s_wait_alu 0xfffd
	v_add_co_ci_u32_e64 v5, null, s73, v1, vcc_lo
	v_mov_b32_e32 v0, 0
	global_store_b64 v[4:5], v[2:3], off
.LBB14_193:                             ;   in Loop: Header=BB14_9 Depth=1
	s_wait_alu 0xfffe
	s_or_b32 exec_lo, exec_lo, s3
	s_mov_b32 s3, -1
	s_mov_b32 s4, exec_lo
	v_cmpx_gt_i32_e32 50, v0
; %bb.194:                              ;   in Loop: Header=BB14_9 Depth=1
	v_cmp_eq_u32_e32 vcc_lo, 0, v0
	s_or_not1_b32 s3, vcc_lo, exec_lo
; %bb.195:                              ;   in Loop: Header=BB14_9 Depth=1
	s_wait_alu 0xfffe
	s_or_b32 exec_lo, exec_lo, s4
	s_delay_alu instid0(SALU_CYCLE_1)
	s_and_b32 exec_lo, exec_lo, s3
	s_cbranch_execz .LBB14_198
; %bb.196:                              ;   in Loop: Header=BB14_9 Depth=1
	v_cmp_gt_i32_e32 vcc_lo, s24, v158
	s_and_b32 s1, vcc_lo, s1
	s_wait_alu 0xfffe
	s_and_b32 exec_lo, exec_lo, s1
	s_cbranch_execz .LBB14_198
; %bb.197:                              ;   in Loop: Header=BB14_9 Depth=1
	v_add_nc_u32_e32 v0, v193, v185
	ds_load_b32 v2, v0 offset:9984
	v_mad_co_u64_u32 v[0:1], null, v158, s25, v[131:132]
	s_delay_alu instid0(VALU_DEP_1) | instskip(NEXT) | instid1(VALU_DEP_1)
	v_mad_co_u64_u32 v[0:1], null, v0, 48, v[232:233]
	v_ashrrev_i32_e32 v1, 31, v0
	s_wait_dscnt 0x0
	v_lshrrev_b32_e32 v3, 16, v2
	v_cvt_f32_f16_e32 v2, v2
	s_delay_alu instid0(VALU_DEP_3) | instskip(NEXT) | instid1(VALU_DEP_3)
	v_lshlrev_b64_e32 v[0:1], 3, v[0:1]
	v_cvt_f32_f16_e32 v3, v3
	s_delay_alu instid0(VALU_DEP_3) | instskip(NEXT) | instid1(VALU_DEP_3)
	v_add_f32_e32 v2, 0, v2
	v_add_co_u32 v0, vcc_lo, s72, v0
	s_delay_alu instid0(VALU_DEP_3)
	v_add_f32_e32 v3, 0, v3
	s_wait_alu 0xfffd
	v_add_co_ci_u32_e64 v1, null, s73, v1, vcc_lo
	global_store_b64 v[0:1], v[2:3], off
.LBB14_198:                             ;   in Loop: Header=BB14_9 Depth=1
	s_wait_alu 0xfffe
	s_or_b32 exec_lo, exec_lo, s0
	v_cmp_gt_i32_e64 s3, s24, v138
	v_cmp_gt_i32_e64 s4, s33, v166
	v_mov_b32_e32 v0, 50
	v_cmp_le_i32_e32 vcc_lo, s33, v166
	s_and_b32 s1, s3, s4
	s_wait_alu 0xfffe
	s_and_saveexec_b32 s0, s1
	s_cbranch_execz .LBB14_200
; %bb.199:                              ;   in Loop: Header=BB14_9 Depth=1
	v_add_nc_u32_e32 v0, v141, v155
	ds_load_b32 v2, v0 offset:128
	v_mad_co_u64_u32 v[0:1], null, v138, s25, v[202:203]
	s_delay_alu instid0(VALU_DEP_1) | instskip(NEXT) | instid1(VALU_DEP_1)
	v_mul_lo_u32 v0, v0, 48
	v_ashrrev_i32_e32 v1, 31, v0
	v_or_b32_e32 v0, v0, v154
	s_wait_dscnt 0x0
	v_lshrrev_b32_e32 v3, 16, v2
	v_cvt_f32_f16_e32 v2, v2
	s_delay_alu instid0(VALU_DEP_3) | instskip(NEXT) | instid1(VALU_DEP_3)
	v_lshlrev_b64_e32 v[0:1], 3, v[0:1]
	v_cvt_f32_f16_e32 v3, v3
	s_delay_alu instid0(VALU_DEP_3) | instskip(NEXT) | instid1(VALU_DEP_3)
	v_add_f32_e32 v2, 0, v2
	v_add_co_u32 v4, s3, s72, v0
	s_delay_alu instid0(VALU_DEP_3)
	v_add_f32_e32 v3, 0, v3
	s_wait_alu 0xf1ff
	v_add_co_ci_u32_e64 v5, null, s73, v1, s3
	v_mov_b32_e32 v0, 0
	global_store_b64 v[4:5], v[2:3], off offset:256
.LBB14_200:                             ;   in Loop: Header=BB14_9 Depth=1
	s_wait_alu 0xfffe
	s_or_b32 exec_lo, exec_lo, s0
	s_mov_b32 s4, -1
	s_mov_b32 s0, exec_lo
	v_cmpx_gt_i32_e32 50, v0
; %bb.201:                              ;   in Loop: Header=BB14_9 Depth=1
	v_cmp_eq_u32_e64 s3, 0, v0
	s_or_not1_b32 s4, s3, exec_lo
; %bb.202:                              ;   in Loop: Header=BB14_9 Depth=1
	s_wait_alu 0xfffe
	s_or_b32 exec_lo, exec_lo, s0
	s_mov_b32 s0, 0
	s_mov_b32 s39, 0
                                        ; implicit-def: $vgpr1
	s_and_saveexec_b32 s1, s4
	s_cbranch_execz .LBB14_242
; %bb.203:                              ;   in Loop: Header=BB14_9 Depth=1
	v_cmp_gt_i32_e64 s3, s24, v254
	v_mov_b32_e32 v0, 50
	s_xor_b32 s4, vcc_lo, -1
	s_wait_alu 0xfffe
	s_and_b32 s5, s3, s4
	s_wait_alu 0xfffe
	s_and_saveexec_b32 s3, s5
	s_cbranch_execz .LBB14_205
; %bb.204:                              ;   in Loop: Header=BB14_9 Depth=1
	v_add_nc_u32_e32 v0, v141, v155
	ds_load_b32 v2, v0 offset:1792
	v_mad_co_u64_u32 v[0:1], null, v254, s25, v[202:203]
	s_delay_alu instid0(VALU_DEP_1) | instskip(NEXT) | instid1(VALU_DEP_1)
	v_mul_lo_u32 v0, v0, 48
	v_ashrrev_i32_e32 v1, 31, v0
	v_or_b32_e32 v0, v0, v154
	s_wait_dscnt 0x0
	v_lshrrev_b32_e32 v3, 16, v2
	v_cvt_f32_f16_e32 v2, v2
	s_delay_alu instid0(VALU_DEP_3) | instskip(NEXT) | instid1(VALU_DEP_3)
	v_lshlrev_b64_e32 v[0:1], 3, v[0:1]
	v_cvt_f32_f16_e32 v3, v3
	s_delay_alu instid0(VALU_DEP_3) | instskip(NEXT) | instid1(VALU_DEP_3)
	v_add_f32_e32 v2, 0, v2
	v_add_co_u32 v4, vcc_lo, s72, v0
	s_delay_alu instid0(VALU_DEP_3)
	v_add_f32_e32 v3, 0, v3
	s_wait_alu 0xfffd
	v_add_co_ci_u32_e64 v5, null, s73, v1, vcc_lo
	v_mov_b32_e32 v0, 0
	global_store_b64 v[4:5], v[2:3], off offset:256
.LBB14_205:                             ;   in Loop: Header=BB14_9 Depth=1
	s_wait_alu 0xfffe
	s_or_b32 exec_lo, exec_lo, s3
	s_mov_b32 s30, -1
	s_mov_b32 s3, exec_lo
	v_cmpx_gt_i32_e32 50, v0
; %bb.206:                              ;   in Loop: Header=BB14_9 Depth=1
	v_cmp_eq_u32_e32 vcc_lo, 0, v0
	s_or_not1_b32 s30, vcc_lo, exec_lo
; %bb.207:                              ;   in Loop: Header=BB14_9 Depth=1
	s_wait_alu 0xfffe
	s_or_b32 exec_lo, exec_lo, s3
	s_mov_b32 s5, 0
                                        ; implicit-def: $vgpr1
	s_and_saveexec_b32 s3, s30
	s_cbranch_execz .LBB14_241
; %bb.208:                              ;   in Loop: Header=BB14_9 Depth=1
	v_cmp_gt_i32_e32 vcc_lo, s24, v253
	v_mov_b32_e32 v0, 50
	s_and_b32 s30, vcc_lo, s4
	s_wait_alu 0xfffe
	s_and_saveexec_b32 s5, s30
	s_cbranch_execz .LBB14_210
; %bb.209:                              ;   in Loop: Header=BB14_9 Depth=1
	scratch_load_b32 v0, off, off offset:504 ; 4-byte Folded Reload
	s_wait_loadcnt 0x0
	ds_load_b32 v2, v0 offset:128
	v_mad_co_u64_u32 v[0:1], null, v253, s25, v[202:203]
	s_delay_alu instid0(VALU_DEP_1) | instskip(NEXT) | instid1(VALU_DEP_1)
	v_mul_lo_u32 v0, v0, 48
	v_ashrrev_i32_e32 v1, 31, v0
	v_or_b32_e32 v0, v0, v154
	s_wait_dscnt 0x0
	v_lshrrev_b32_e32 v3, 16, v2
	v_cvt_f32_f16_e32 v2, v2
	s_delay_alu instid0(VALU_DEP_3) | instskip(NEXT) | instid1(VALU_DEP_3)
	v_lshlrev_b64_e32 v[0:1], 3, v[0:1]
	v_cvt_f32_f16_e32 v3, v3
	s_delay_alu instid0(VALU_DEP_3) | instskip(NEXT) | instid1(VALU_DEP_3)
	v_add_f32_e32 v2, 0, v2
	v_add_co_u32 v4, vcc_lo, s72, v0
	s_delay_alu instid0(VALU_DEP_3)
	v_add_f32_e32 v3, 0, v3
	s_wait_alu 0xfffd
	v_add_co_ci_u32_e64 v5, null, s73, v1, vcc_lo
	v_mov_b32_e32 v0, 0
	global_store_b64 v[4:5], v[2:3], off offset:256
.LBB14_210:                             ;   in Loop: Header=BB14_9 Depth=1
	s_wait_alu 0xfffe
	s_or_b32 exec_lo, exec_lo, s5
	s_mov_b32 s39, -1
	s_mov_b32 s5, exec_lo
	v_cmpx_gt_i32_e32 50, v0
; %bb.211:                              ;   in Loop: Header=BB14_9 Depth=1
	v_cmp_eq_u32_e32 vcc_lo, 0, v0
	s_or_not1_b32 s39, vcc_lo, exec_lo
; %bb.212:                              ;   in Loop: Header=BB14_9 Depth=1
	s_wait_alu 0xfffe
	s_or_b32 exec_lo, exec_lo, s5
	s_mov_b32 s30, 0
                                        ; implicit-def: $vgpr1
	s_and_saveexec_b32 s5, s39
	s_cbranch_execz .LBB14_240
; %bb.213:                              ;   in Loop: Header=BB14_9 Depth=1
	v_cmp_gt_i32_e32 vcc_lo, s24, v242
	v_mov_b32_e32 v0, 50
	s_and_b32 s39, vcc_lo, s4
	s_wait_alu 0xfffe
	s_and_saveexec_b32 s30, s39
	s_cbranch_execz .LBB14_215
; %bb.214:                              ;   in Loop: Header=BB14_9 Depth=1
	v_add_nc_u32_e32 v0, v141, v155
	ds_load_b32 v2, v0 offset:5120
	v_mad_co_u64_u32 v[0:1], null, v242, s25, v[202:203]
	s_delay_alu instid0(VALU_DEP_1) | instskip(NEXT) | instid1(VALU_DEP_1)
	v_mul_lo_u32 v0, v0, 48
	v_ashrrev_i32_e32 v1, 31, v0
	v_or_b32_e32 v0, v0, v154
	s_wait_dscnt 0x0
	v_lshrrev_b32_e32 v3, 16, v2
	v_cvt_f32_f16_e32 v2, v2
	s_delay_alu instid0(VALU_DEP_3) | instskip(NEXT) | instid1(VALU_DEP_3)
	v_lshlrev_b64_e32 v[0:1], 3, v[0:1]
	v_cvt_f32_f16_e32 v3, v3
	s_delay_alu instid0(VALU_DEP_3) | instskip(NEXT) | instid1(VALU_DEP_3)
	v_add_f32_e32 v2, 0, v2
	v_add_co_u32 v4, vcc_lo, s72, v0
	s_delay_alu instid0(VALU_DEP_3)
	v_add_f32_e32 v3, 0, v3
	s_wait_alu 0xfffd
	v_add_co_ci_u32_e64 v5, null, s73, v1, vcc_lo
	v_mov_b32_e32 v0, 0
	global_store_b64 v[4:5], v[2:3], off offset:256
.LBB14_215:                             ;   in Loop: Header=BB14_9 Depth=1
	s_wait_alu 0xfffe
	s_or_b32 exec_lo, exec_lo, s30
	s_mov_b32 s40, -1
	s_mov_b32 s30, exec_lo
	v_cmpx_gt_i32_e32 50, v0
; %bb.216:                              ;   in Loop: Header=BB14_9 Depth=1
	v_cmp_eq_u32_e32 vcc_lo, 0, v0
	s_or_not1_b32 s40, vcc_lo, exec_lo
; %bb.217:                              ;   in Loop: Header=BB14_9 Depth=1
	s_wait_alu 0xfffe
	s_or_b32 exec_lo, exec_lo, s30
	s_mov_b32 s39, 0
                                        ; implicit-def: $vgpr1
	s_and_saveexec_b32 s30, s40
	s_cbranch_execz .LBB14_239
; %bb.218:                              ;   in Loop: Header=BB14_9 Depth=1
	v_cmp_gt_i32_e32 vcc_lo, s24, v228
	v_mov_b32_e32 v0, 50
	s_and_b32 s40, vcc_lo, s4
	s_wait_alu 0xfffe
	s_and_saveexec_b32 s39, s40
	s_cbranch_execz .LBB14_220
; %bb.219:                              ;   in Loop: Header=BB14_9 Depth=1
	scratch_load_b32 v0, off, off offset:536 ; 4-byte Folded Reload
	s_wait_loadcnt 0x0
	ds_load_b32 v2, v0 offset:128
	v_mad_co_u64_u32 v[0:1], null, v228, s25, v[202:203]
	s_delay_alu instid0(VALU_DEP_1) | instskip(NEXT) | instid1(VALU_DEP_1)
	v_mul_lo_u32 v0, v0, 48
	v_ashrrev_i32_e32 v1, 31, v0
	v_or_b32_e32 v0, v0, v154
	s_wait_dscnt 0x0
	v_lshrrev_b32_e32 v3, 16, v2
	v_cvt_f32_f16_e32 v2, v2
	s_delay_alu instid0(VALU_DEP_3) | instskip(NEXT) | instid1(VALU_DEP_3)
	v_lshlrev_b64_e32 v[0:1], 3, v[0:1]
	v_cvt_f32_f16_e32 v3, v3
	s_delay_alu instid0(VALU_DEP_3) | instskip(NEXT) | instid1(VALU_DEP_3)
	v_add_f32_e32 v2, 0, v2
	v_add_co_u32 v4, vcc_lo, s72, v0
	s_delay_alu instid0(VALU_DEP_3)
	v_add_f32_e32 v3, 0, v3
	s_wait_alu 0xfffd
	v_add_co_ci_u32_e64 v5, null, s73, v1, vcc_lo
	v_mov_b32_e32 v0, 0
	global_store_b64 v[4:5], v[2:3], off offset:256
.LBB14_220:                             ;   in Loop: Header=BB14_9 Depth=1
	s_wait_alu 0xfffe
	s_or_b32 exec_lo, exec_lo, s39
	s_mov_b32 s41, -1
	s_mov_b32 s39, exec_lo
	v_cmpx_gt_i32_e32 50, v0
; %bb.221:                              ;   in Loop: Header=BB14_9 Depth=1
	v_cmp_eq_u32_e32 vcc_lo, 0, v0
	s_or_not1_b32 s41, vcc_lo, exec_lo
; %bb.222:                              ;   in Loop: Header=BB14_9 Depth=1
	s_wait_alu 0xfffe
	s_or_b32 exec_lo, exec_lo, s39
	s_mov_b32 s40, 0
                                        ; implicit-def: $vgpr1
	s_and_saveexec_b32 s39, s41
	s_cbranch_execz .LBB14_238
; %bb.223:                              ;   in Loop: Header=BB14_9 Depth=1
	v_cmp_gt_i32_e32 vcc_lo, s24, v237
	v_mov_b32_e32 v0, 50
	s_and_b32 s41, vcc_lo, s4
	s_wait_alu 0xfffe
	s_and_saveexec_b32 s40, s41
	s_cbranch_execz .LBB14_225
; %bb.224:                              ;   in Loop: Header=BB14_9 Depth=1
	v_add_nc_u32_e32 v0, v141, v155
	ds_load_b32 v2, v0 offset:8448
	v_mad_co_u64_u32 v[0:1], null, v237, s25, v[202:203]
	s_delay_alu instid0(VALU_DEP_1) | instskip(NEXT) | instid1(VALU_DEP_1)
	v_mul_lo_u32 v0, v0, 48
	v_ashrrev_i32_e32 v1, 31, v0
	v_or_b32_e32 v0, v0, v154
	s_wait_dscnt 0x0
	v_lshrrev_b32_e32 v3, 16, v2
	v_cvt_f32_f16_e32 v2, v2
	s_delay_alu instid0(VALU_DEP_3) | instskip(NEXT) | instid1(VALU_DEP_3)
	v_lshlrev_b64_e32 v[0:1], 3, v[0:1]
	v_cvt_f32_f16_e32 v3, v3
	s_delay_alu instid0(VALU_DEP_3) | instskip(NEXT) | instid1(VALU_DEP_3)
	v_add_f32_e32 v2, 0, v2
	v_add_co_u32 v4, vcc_lo, s72, v0
	s_delay_alu instid0(VALU_DEP_3)
	v_add_f32_e32 v3, 0, v3
	s_wait_alu 0xfffd
	v_add_co_ci_u32_e64 v5, null, s73, v1, vcc_lo
	v_mov_b32_e32 v0, 0
	global_store_b64 v[4:5], v[2:3], off offset:256
.LBB14_225:                             ;   in Loop: Header=BB14_9 Depth=1
	s_wait_alu 0xfffe
	s_or_b32 exec_lo, exec_lo, s40
	s_mov_b32 s42, -1
	s_mov_b32 s40, exec_lo
	v_cmpx_gt_i32_e32 50, v0
; %bb.226:                              ;   in Loop: Header=BB14_9 Depth=1
	v_cmp_eq_u32_e32 vcc_lo, 0, v0
	s_or_not1_b32 s42, vcc_lo, exec_lo
; %bb.227:                              ;   in Loop: Header=BB14_9 Depth=1
	s_wait_alu 0xfffe
	s_or_b32 exec_lo, exec_lo, s40
	s_mov_b32 s41, 0
                                        ; implicit-def: $vgpr1
	s_and_saveexec_b32 s40, s42
	s_cbranch_execz .LBB14_237
; %bb.228:                              ;   in Loop: Header=BB14_9 Depth=1
	v_cmp_gt_i32_e32 vcc_lo, s24, v236
	v_mov_b32_e32 v0, 50
	s_and_b32 s42, vcc_lo, s4
	s_wait_alu 0xfffe
	s_and_saveexec_b32 s41, s42
	s_cbranch_execz .LBB14_230
; %bb.229:                              ;   in Loop: Header=BB14_9 Depth=1
	scratch_load_b32 v0, off, off offset:564 ; 4-byte Folded Reload
	s_wait_loadcnt 0x0
	ds_load_b32 v2, v0 offset:128
	v_mad_co_u64_u32 v[0:1], null, v236, s25, v[202:203]
	s_delay_alu instid0(VALU_DEP_1) | instskip(NEXT) | instid1(VALU_DEP_1)
	v_mul_lo_u32 v0, v0, 48
	v_ashrrev_i32_e32 v1, 31, v0
	v_or_b32_e32 v0, v0, v154
	s_wait_dscnt 0x0
	v_lshrrev_b32_e32 v3, 16, v2
	v_cvt_f32_f16_e32 v2, v2
	s_delay_alu instid0(VALU_DEP_3) | instskip(NEXT) | instid1(VALU_DEP_3)
	v_lshlrev_b64_e32 v[0:1], 3, v[0:1]
	v_cvt_f32_f16_e32 v3, v3
	s_delay_alu instid0(VALU_DEP_3) | instskip(NEXT) | instid1(VALU_DEP_3)
	v_add_f32_e32 v2, 0, v2
	v_add_co_u32 v4, vcc_lo, s72, v0
	s_delay_alu instid0(VALU_DEP_3)
	v_add_f32_e32 v3, 0, v3
	s_wait_alu 0xfffd
	v_add_co_ci_u32_e64 v5, null, s73, v1, vcc_lo
	v_mov_b32_e32 v0, 0
	global_store_b64 v[4:5], v[2:3], off offset:256
.LBB14_230:                             ;   in Loop: Header=BB14_9 Depth=1
	s_wait_alu 0xfffe
	s_or_b32 exec_lo, exec_lo, s41
	s_mov_b32 s43, -1
	s_mov_b32 s41, exec_lo
	v_cmpx_gt_i32_e32 50, v0
; %bb.231:                              ;   in Loop: Header=BB14_9 Depth=1
	v_cmp_eq_u32_e32 vcc_lo, 0, v0
	s_or_not1_b32 s43, vcc_lo, exec_lo
; %bb.232:                              ;   in Loop: Header=BB14_9 Depth=1
	s_wait_alu 0xfffe
	s_or_b32 exec_lo, exec_lo, s41
	s_mov_b32 s42, 0
                                        ; implicit-def: $vgpr1
	s_and_saveexec_b32 s41, s43
	s_cbranch_execz .LBB14_236
; %bb.233:                              ;   in Loop: Header=BB14_9 Depth=1
	v_cmp_gt_i32_e32 vcc_lo, s24, v235
                                        ; implicit-def: $vgpr1
	s_and_b32 s42, vcc_lo, s4
	s_mov_b32 s4, 0
	s_wait_alu 0xfffe
	s_and_saveexec_b32 s43, s42
	s_wait_alu 0xfffe
	s_xor_b32 s42, exec_lo, s43
	s_cbranch_execz .LBB14_235
; %bb.234:                              ;   in Loop: Header=BB14_9 Depth=1
	v_add_nc_u32_e32 v0, v141, v155
	s_mov_b32 s4, exec_lo
	ds_load_b32 v0, v0 offset:11776
	s_wait_dscnt 0x0
	v_lshrrev_b32_e32 v1, 16, v0
	v_cvt_f32_f16_e32 v0, v0
	s_delay_alu instid0(VALU_DEP_2) | instskip(NEXT) | instid1(VALU_DEP_1)
	v_cvt_f32_f16_e32 v1, v1
	v_dual_add_f32 v0, 0, v0 :: v_dual_add_f32 v1, 0, v1
.LBB14_235:                             ;   in Loop: Header=BB14_9 Depth=1
	s_wait_alu 0xfffe
	s_or_b32 exec_lo, exec_lo, s42
	s_delay_alu instid0(SALU_CYCLE_1)
	s_and_b32 s42, s4, exec_lo
.LBB14_236:                             ;   in Loop: Header=BB14_9 Depth=1
	s_wait_alu 0xfffe
	s_or_b32 exec_lo, exec_lo, s41
	s_delay_alu instid0(SALU_CYCLE_1)
	s_and_b32 s41, s42, exec_lo
.LBB14_237:                             ;   in Loop: Header=BB14_9 Depth=1
	s_wait_alu 0xfffe
	s_or_b32 exec_lo, exec_lo, s40
	s_delay_alu instid0(SALU_CYCLE_1)
	s_and_b32 s40, s41, exec_lo
.LBB14_238:                             ;   in Loop: Header=BB14_9 Depth=1
	s_wait_alu 0xfffe
	s_or_b32 exec_lo, exec_lo, s39
	s_delay_alu instid0(SALU_CYCLE_1)
	s_and_b32 s39, s40, exec_lo
.LBB14_239:                             ;   in Loop: Header=BB14_9 Depth=1
	s_wait_alu 0xfffe
	s_or_b32 exec_lo, exec_lo, s30
	s_delay_alu instid0(SALU_CYCLE_1)
	s_and_b32 s30, s39, exec_lo
.LBB14_240:                             ;   in Loop: Header=BB14_9 Depth=1
	s_wait_alu 0xfffe
	s_or_b32 exec_lo, exec_lo, s5
	s_delay_alu instid0(SALU_CYCLE_1)
	s_and_b32 s5, s30, exec_lo
.LBB14_241:                             ;   in Loop: Header=BB14_9 Depth=1
	s_wait_alu 0xfffe
	s_or_b32 exec_lo, exec_lo, s3
	s_delay_alu instid0(SALU_CYCLE_1)
	s_and_b32 s39, s5, exec_lo
.LBB14_242:                             ;   in Loop: Header=BB14_9 Depth=1
	s_wait_alu 0xfffe
	s_or_b32 exec_lo, exec_lo, s1
	s_delay_alu instid0(SALU_CYCLE_1)
	s_and_b32 vcc_lo, exec_lo, s0
	s_wait_alu 0xfffe
	s_cbranch_vccz .LBB14_473
.LBB14_243:                             ;   in Loop: Header=BB14_9 Depth=1
	s_lshl_b32 s4, s6, 5
	v_cmp_gt_i32_e32 vcc_lo, s33, v248
	s_wait_alu 0xfffe
	v_add_nc_u32_e32 v242, s4, v174
	s_delay_alu instid0(VALU_DEP_1) | instskip(SKIP_1) | instid1(SALU_CYCLE_1)
	v_cmp_gt_i32_e64 s3, s24, v242
	s_and_b32 s63, s3, vcc_lo
	s_xor_b32 s0, s63, -1
	s_wait_alu 0xfffe
	s_and_saveexec_b32 s1, s0
	s_wait_alu 0xfffe
	s_xor_b32 s0, exec_lo, s1
; %bb.244:                              ;   in Loop: Header=BB14_9 Depth=1
	v_add_nc_u32_e32 v0, v193, v175
	ds_store_b32 v0, v196
; %bb.245:                              ;   in Loop: Header=BB14_9 Depth=1
	s_wait_alu 0xfffe
	s_and_not1_saveexec_b32 s0, s0
	s_cbranch_execz .LBB14_247
; %bb.246:                              ;   in Loop: Header=BB14_9 Depth=1
	v_mad_co_u64_u32 v[0:1], null, v242, s7, v[225:226]
	s_delay_alu instid0(VALU_DEP_1) | instskip(NEXT) | instid1(VALU_DEP_1)
	v_ashrrev_i32_e32 v1, 31, v0
	v_lshlrev_b64_e32 v[0:1], 3, v[0:1]
	s_delay_alu instid0(VALU_DEP_1) | instskip(SKIP_1) | instid1(VALU_DEP_2)
	v_add_co_u32 v0, s3, s90, v0
	s_wait_alu 0xf1ff
	v_add_co_ci_u32_e64 v1, null, s91, v1, s3
	global_load_b64 v[0:1], v[0:1], off
	s_wait_loadcnt 0x0
	v_cvt_f16_f32_e32 v0, v0
	v_cvt_f16_f32_e32 v1, v1
	s_delay_alu instid0(VALU_DEP_1) | instskip(SKIP_1) | instid1(VALU_DEP_2)
	v_pack_b32_f16 v0, v0, v1
	v_add_nc_u32_e32 v1, v193, v175
	v_pk_mul_f16 v0, v0, s100
	ds_store_b32 v1, v0
.LBB14_247:                             ;   in Loop: Header=BB14_9 Depth=1
	s_wait_alu 0xfffe
	s_or_b32 exec_lo, exec_lo, s0
	v_add_nc_u32_e32 v241, s4, v176
	s_delay_alu instid0(VALU_DEP_1) | instskip(SKIP_1) | instid1(SALU_CYCLE_1)
	v_cmp_gt_i32_e64 s3, s24, v241
	s_and_b32 s62, s3, vcc_lo
	s_xor_b32 s0, s62, -1
	s_wait_alu 0xfffe
	s_and_saveexec_b32 s1, s0
	s_wait_alu 0xfffe
	s_xor_b32 s0, exec_lo, s1
; %bb.248:                              ;   in Loop: Header=BB14_9 Depth=1
	v_add_nc_u32_e32 v0, v193, v177
	ds_store_b32 v0, v196
; %bb.249:                              ;   in Loop: Header=BB14_9 Depth=1
	s_wait_alu 0xfffe
	s_and_not1_saveexec_b32 s0, s0
	s_cbranch_execz .LBB14_251
; %bb.250:                              ;   in Loop: Header=BB14_9 Depth=1
	v_mad_co_u64_u32 v[0:1], null, v241, s7, v[225:226]
	s_delay_alu instid0(VALU_DEP_1) | instskip(NEXT) | instid1(VALU_DEP_1)
	v_ashrrev_i32_e32 v1, 31, v0
	v_lshlrev_b64_e32 v[0:1], 3, v[0:1]
	s_delay_alu instid0(VALU_DEP_1) | instskip(SKIP_1) | instid1(VALU_DEP_2)
	v_add_co_u32 v0, s3, s90, v0
	s_wait_alu 0xf1ff
	v_add_co_ci_u32_e64 v1, null, s91, v1, s3
	global_load_b64 v[0:1], v[0:1], off
	s_wait_loadcnt 0x0
	v_cvt_f16_f32_e32 v0, v0
	v_cvt_f16_f32_e32 v1, v1
	s_delay_alu instid0(VALU_DEP_1) | instskip(SKIP_1) | instid1(VALU_DEP_2)
	v_pack_b32_f16 v0, v0, v1
	v_add_nc_u32_e32 v1, v193, v177
	v_pk_mul_f16 v0, v0, s100
	ds_store_b32 v1, v0
.LBB14_251:                             ;   in Loop: Header=BB14_9 Depth=1
	s_wait_alu 0xfffe
	s_or_b32 exec_lo, exec_lo, s0
	;; [unrolled: 37-line block ×6, first 2 shown]
	v_add_nc_u32_e32 v236, s4, v204
	s_delay_alu instid0(VALU_DEP_1)
	v_cmp_gt_i32_e64 s3, s24, v236
	s_and_b32 s45, s3, vcc_lo
	s_wait_alu 0xfffe
	s_xor_b32 s0, s45, -1
	s_wait_alu 0xfffe
	s_and_saveexec_b32 s1, s0
	s_wait_alu 0xfffe
	s_xor_b32 s0, exec_lo, s1
; %bb.268:                              ;   in Loop: Header=BB14_9 Depth=1
	v_add_nc_u32_e32 v0, v193, v229
	ds_store_b32 v0, v196
; %bb.269:                              ;   in Loop: Header=BB14_9 Depth=1
	s_wait_alu 0xfffe
	s_and_not1_saveexec_b32 s0, s0
	s_cbranch_execz .LBB14_271
; %bb.270:                              ;   in Loop: Header=BB14_9 Depth=1
	v_mad_co_u64_u32 v[0:1], null, v236, s7, v[225:226]
	s_delay_alu instid0(VALU_DEP_1) | instskip(NEXT) | instid1(VALU_DEP_1)
	v_ashrrev_i32_e32 v1, 31, v0
	v_lshlrev_b64_e32 v[0:1], 3, v[0:1]
	s_delay_alu instid0(VALU_DEP_1) | instskip(SKIP_1) | instid1(VALU_DEP_2)
	v_add_co_u32 v0, s3, s90, v0
	s_wait_alu 0xf1ff
	v_add_co_ci_u32_e64 v1, null, s91, v1, s3
	global_load_b64 v[0:1], v[0:1], off
	s_wait_loadcnt 0x0
	v_cvt_f16_f32_e32 v0, v0
	v_cvt_f16_f32_e32 v1, v1
	s_delay_alu instid0(VALU_DEP_1) | instskip(SKIP_1) | instid1(VALU_DEP_2)
	v_pack_b32_f16 v0, v0, v1
	v_add_nc_u32_e32 v1, v193, v229
	v_pk_mul_f16 v0, v0, s100
	ds_store_b32 v1, v0
.LBB14_271:                             ;   in Loop: Header=BB14_9 Depth=1
	s_wait_alu 0xfffe
	s_or_b32 exec_lo, exec_lo, s0
	v_add_nc_u32_e32 v228, s4, v205
	s_delay_alu instid0(VALU_DEP_1) | instskip(SKIP_1) | instid1(SALU_CYCLE_1)
	v_cmp_gt_i32_e64 s3, s24, v228
	s_and_b32 s99, s3, vcc_lo
	s_xor_b32 s0, s99, -1
	s_wait_alu 0xfffe
	s_and_saveexec_b32 s1, s0
	s_wait_alu 0xfffe
	s_xor_b32 s0, exec_lo, s1
; %bb.272:                              ;   in Loop: Header=BB14_9 Depth=1
	v_add_nc_u32_e32 v0, v193, v229
	ds_store_b32 v0, v196 offset:832
; %bb.273:                              ;   in Loop: Header=BB14_9 Depth=1
	s_wait_alu 0xfffe
	s_and_not1_saveexec_b32 s0, s0
	s_cbranch_execz .LBB14_275
; %bb.274:                              ;   in Loop: Header=BB14_9 Depth=1
	v_mad_co_u64_u32 v[0:1], null, v228, s7, v[225:226]
	s_delay_alu instid0(VALU_DEP_1) | instskip(NEXT) | instid1(VALU_DEP_1)
	v_ashrrev_i32_e32 v1, 31, v0
	v_lshlrev_b64_e32 v[0:1], 3, v[0:1]
	s_delay_alu instid0(VALU_DEP_1) | instskip(SKIP_1) | instid1(VALU_DEP_2)
	v_add_co_u32 v0, s3, s90, v0
	s_wait_alu 0xf1ff
	v_add_co_ci_u32_e64 v1, null, s91, v1, s3
	global_load_b64 v[0:1], v[0:1], off
	s_wait_loadcnt 0x0
	v_cvt_f16_f32_e32 v0, v0
	v_cvt_f16_f32_e32 v1, v1
	s_delay_alu instid0(VALU_DEP_1) | instskip(SKIP_1) | instid1(VALU_DEP_2)
	v_pack_b32_f16 v0, v0, v1
	v_add_nc_u32_e32 v1, v193, v229
	v_pk_mul_f16 v0, v0, s100
	ds_store_b32 v1, v0 offset:832
.LBB14_275:                             ;   in Loop: Header=BB14_9 Depth=1
	s_wait_alu 0xfffe
	s_or_b32 exec_lo, exec_lo, s0
	v_add_nc_u32_e32 v222, s4, v206
	s_delay_alu instid0(VALU_DEP_1)
	v_cmp_gt_i32_e64 s3, s24, v222
	s_and_b32 s50, s3, vcc_lo
	s_wait_alu 0xfffe
	s_xor_b32 s0, s50, -1
	s_wait_alu 0xfffe
	s_and_saveexec_b32 s1, s0
	s_wait_alu 0xfffe
	s_xor_b32 s0, exec_lo, s1
; %bb.276:                              ;   in Loop: Header=BB14_9 Depth=1
	v_add_nc_u32_e32 v0, v193, v229
	ds_store_b32 v0, v196 offset:1664
; %bb.277:                              ;   in Loop: Header=BB14_9 Depth=1
	s_wait_alu 0xfffe
	s_and_not1_saveexec_b32 s0, s0
	s_cbranch_execz .LBB14_279
; %bb.278:                              ;   in Loop: Header=BB14_9 Depth=1
	v_mad_co_u64_u32 v[0:1], null, v222, s7, v[225:226]
	s_delay_alu instid0(VALU_DEP_1) | instskip(NEXT) | instid1(VALU_DEP_1)
	v_ashrrev_i32_e32 v1, 31, v0
	v_lshlrev_b64_e32 v[0:1], 3, v[0:1]
	s_delay_alu instid0(VALU_DEP_1) | instskip(SKIP_1) | instid1(VALU_DEP_2)
	v_add_co_u32 v0, s3, s90, v0
	s_wait_alu 0xf1ff
	v_add_co_ci_u32_e64 v1, null, s91, v1, s3
	global_load_b64 v[0:1], v[0:1], off
	s_wait_loadcnt 0x0
	v_cvt_f16_f32_e32 v0, v0
	v_cvt_f16_f32_e32 v1, v1
	s_delay_alu instid0(VALU_DEP_1) | instskip(SKIP_1) | instid1(VALU_DEP_2)
	v_pack_b32_f16 v0, v0, v1
	v_add_nc_u32_e32 v1, v193, v229
	v_pk_mul_f16 v0, v0, s100
	ds_store_b32 v1, v0 offset:1664
.LBB14_279:                             ;   in Loop: Header=BB14_9 Depth=1
	s_wait_alu 0xfffe
	s_or_b32 exec_lo, exec_lo, s0
	v_add_nc_u32_e32 v220, s4, v207
	s_delay_alu instid0(VALU_DEP_1)
	v_cmp_gt_i32_e64 s3, s24, v220
	s_and_b32 s30, s3, vcc_lo
	s_wait_alu 0xfffe
	s_xor_b32 s0, s30, -1
	s_wait_alu 0xfffe
	s_and_saveexec_b32 s1, s0
	s_wait_alu 0xfffe
	s_xor_b32 s0, exec_lo, s1
; %bb.280:                              ;   in Loop: Header=BB14_9 Depth=1
	v_add_nc_u32_e32 v0, v193, v229
	ds_store_b32 v0, v196 offset:2496
; %bb.281:                              ;   in Loop: Header=BB14_9 Depth=1
	s_wait_alu 0xfffe
	s_and_not1_saveexec_b32 s0, s0
	s_cbranch_execz .LBB14_283
; %bb.282:                              ;   in Loop: Header=BB14_9 Depth=1
	v_mad_co_u64_u32 v[0:1], null, v220, s7, v[225:226]
	s_delay_alu instid0(VALU_DEP_1) | instskip(NEXT) | instid1(VALU_DEP_1)
	v_ashrrev_i32_e32 v1, 31, v0
	v_lshlrev_b64_e32 v[0:1], 3, v[0:1]
	s_delay_alu instid0(VALU_DEP_1) | instskip(SKIP_1) | instid1(VALU_DEP_2)
	v_add_co_u32 v0, s3, s90, v0
	s_wait_alu 0xf1ff
	v_add_co_ci_u32_e64 v1, null, s91, v1, s3
	global_load_b64 v[0:1], v[0:1], off
	s_wait_loadcnt 0x0
	v_cvt_f16_f32_e32 v0, v0
	v_cvt_f16_f32_e32 v1, v1
	s_delay_alu instid0(VALU_DEP_1) | instskip(SKIP_1) | instid1(VALU_DEP_2)
	v_pack_b32_f16 v0, v0, v1
	v_add_nc_u32_e32 v1, v193, v229
	v_pk_mul_f16 v0, v0, s100
	ds_store_b32 v1, v0 offset:2496
.LBB14_283:                             ;   in Loop: Header=BB14_9 Depth=1
	s_wait_alu 0xfffe
	s_or_b32 exec_lo, exec_lo, s0
	v_add_nc_u32_e32 v218, s4, v210
	s_delay_alu instid0(VALU_DEP_1)
	v_cmp_gt_i32_e64 s3, s24, v218
	s_and_b32 vcc_hi, s3, vcc_lo
	s_wait_alu 0xfffe
	s_xor_b32 s0, vcc_hi, -1
	s_wait_alu 0xfffe
	s_and_saveexec_b32 s1, s0
	s_wait_alu 0xfffe
	s_xor_b32 s0, exec_lo, s1
; %bb.284:                              ;   in Loop: Header=BB14_9 Depth=1
	v_add_nc_u32_e32 v0, v193, v229
	ds_store_b32 v0, v196 offset:3328
; %bb.285:                              ;   in Loop: Header=BB14_9 Depth=1
	s_wait_alu 0xfffe
	s_and_not1_saveexec_b32 s0, s0
	s_cbranch_execz .LBB14_287
; %bb.286:                              ;   in Loop: Header=BB14_9 Depth=1
	v_mad_co_u64_u32 v[0:1], null, v218, s7, v[225:226]
	s_delay_alu instid0(VALU_DEP_1) | instskip(NEXT) | instid1(VALU_DEP_1)
	v_ashrrev_i32_e32 v1, 31, v0
	v_lshlrev_b64_e32 v[0:1], 3, v[0:1]
	s_delay_alu instid0(VALU_DEP_1) | instskip(SKIP_1) | instid1(VALU_DEP_2)
	v_add_co_u32 v0, s3, s90, v0
	s_wait_alu 0xf1ff
	v_add_co_ci_u32_e64 v1, null, s91, v1, s3
	global_load_b64 v[0:1], v[0:1], off
	s_wait_loadcnt 0x0
	v_cvt_f16_f32_e32 v0, v0
	v_cvt_f16_f32_e32 v1, v1
	s_delay_alu instid0(VALU_DEP_1) | instskip(SKIP_1) | instid1(VALU_DEP_2)
	v_pack_b32_f16 v0, v0, v1
	v_add_nc_u32_e32 v1, v193, v229
	v_pk_mul_f16 v0, v0, s100
	ds_store_b32 v1, v0 offset:3328
.LBB14_287:                             ;   in Loop: Header=BB14_9 Depth=1
	s_wait_alu 0xfffe
	s_or_b32 exec_lo, exec_lo, s0
	v_add_nc_u32_e32 v208, s4, v211
	s_delay_alu instid0(VALU_DEP_1)
	v_cmp_gt_i32_e64 s3, s24, v208
	s_and_b32 s51, s3, vcc_lo
	s_wait_alu 0xfffe
	s_xor_b32 s0, s51, -1
	s_wait_alu 0xfffe
	s_and_saveexec_b32 s1, s0
	s_wait_alu 0xfffe
	s_xor_b32 s0, exec_lo, s1
; %bb.288:                              ;   in Loop: Header=BB14_9 Depth=1
	v_add_nc_u32_e32 v0, v193, v229
	ds_store_b32 v0, v196 offset:4160
; %bb.289:                              ;   in Loop: Header=BB14_9 Depth=1
	s_wait_alu 0xfffe
	s_and_not1_saveexec_b32 s0, s0
	s_cbranch_execz .LBB14_291
; %bb.290:                              ;   in Loop: Header=BB14_9 Depth=1
	v_mad_co_u64_u32 v[0:1], null, v208, s7, v[225:226]
	s_delay_alu instid0(VALU_DEP_1) | instskip(NEXT) | instid1(VALU_DEP_1)
	v_ashrrev_i32_e32 v1, 31, v0
	v_lshlrev_b64_e32 v[0:1], 3, v[0:1]
	s_delay_alu instid0(VALU_DEP_1) | instskip(SKIP_1) | instid1(VALU_DEP_2)
	v_add_co_u32 v0, s3, s90, v0
	s_wait_alu 0xf1ff
	v_add_co_ci_u32_e64 v1, null, s91, v1, s3
	global_load_b64 v[0:1], v[0:1], off
	s_wait_loadcnt 0x0
	v_cvt_f16_f32_e32 v0, v0
	v_cvt_f16_f32_e32 v1, v1
	s_delay_alu instid0(VALU_DEP_1) | instskip(SKIP_1) | instid1(VALU_DEP_2)
	v_pack_b32_f16 v0, v0, v1
	v_add_nc_u32_e32 v1, v193, v229
	v_pk_mul_f16 v0, v0, s100
	ds_store_b32 v1, v0 offset:4160
.LBB14_291:                             ;   in Loop: Header=BB14_9 Depth=1
	s_wait_alu 0xfffe
	s_or_b32 exec_lo, exec_lo, s0
	v_add_nc_u32_e32 v191, s4, v212
	s_delay_alu instid0(VALU_DEP_1)
	v_cmp_gt_i32_e64 s3, s24, v191
	s_and_b32 s43, s3, vcc_lo
	s_wait_alu 0xfffe
	s_xor_b32 s0, s43, -1
	;; [unrolled: 38-line block ×5, first 2 shown]
	s_wait_alu 0xfffe
	s_and_saveexec_b32 s5, s3
	s_wait_alu 0xfffe
	s_xor_b32 s3, exec_lo, s5
; %bb.304:                              ;   in Loop: Header=BB14_9 Depth=1
	v_add_nc_u32_e32 v0, v193, v229
	ds_store_b32 v0, v196 offset:7488
; %bb.305:                              ;   in Loop: Header=BB14_9 Depth=1
	s_wait_alu 0xfffe
	s_and_not1_saveexec_b32 s3, s3
	s_cbranch_execz .LBB14_307
; %bb.306:                              ;   in Loop: Header=BB14_9 Depth=1
	v_mad_co_u64_u32 v[0:1], null, v183, s7, v[225:226]
	s_delay_alu instid0(VALU_DEP_1) | instskip(NEXT) | instid1(VALU_DEP_1)
	v_ashrrev_i32_e32 v1, 31, v0
	v_lshlrev_b64_e32 v[0:1], 3, v[0:1]
	s_delay_alu instid0(VALU_DEP_1) | instskip(SKIP_1) | instid1(VALU_DEP_2)
	v_add_co_u32 v0, vcc_lo, s90, v0
	s_wait_alu 0xfffd
	v_add_co_ci_u32_e64 v1, null, s91, v1, vcc_lo
	global_load_b64 v[0:1], v[0:1], off
	s_wait_loadcnt 0x0
	v_cvt_f16_f32_e32 v0, v0
	v_cvt_f16_f32_e32 v1, v1
	s_delay_alu instid0(VALU_DEP_1) | instskip(SKIP_1) | instid1(VALU_DEP_2)
	v_pack_b32_f16 v0, v0, v1
	v_add_nc_u32_e32 v1, v193, v229
	v_pk_mul_f16 v0, v0, s100
	ds_store_b32 v1, v0 offset:7488
.LBB14_307:                             ;   in Loop: Header=BB14_9 Depth=1
	s_wait_alu 0xfffe
	s_or_b32 exec_lo, exec_lo, s3
	v_add_nc_u32_e32 v172, s4, v159
	v_or_b32_e32 v0, s67, v202
	s_delay_alu instid0(VALU_DEP_2) | instskip(NEXT) | instid1(VALU_DEP_2)
	v_cmp_gt_i32_e64 s3, s24, v172
	v_cmp_gt_i32_e32 vcc_lo, s33, v0
	s_and_b32 s44, s3, vcc_lo
	s_wait_alu 0xfffe
	s_xor_b32 s3, s44, -1
	s_wait_alu 0xfffe
	s_and_saveexec_b32 s5, s3
	s_wait_alu 0xfffe
	s_xor_b32 s3, exec_lo, s5
	s_cbranch_execz .LBB14_309
; %bb.308:                              ;   in Loop: Header=BB14_9 Depth=1
	scratch_load_b32 v0, off, off offset:8  ; 4-byte Folded Reload
	s_wait_loadcnt 0x0
	ds_store_b32 v0, v196 offset:128
.LBB14_309:                             ;   in Loop: Header=BB14_9 Depth=1
	s_wait_alu 0xfffe
	s_and_not1_saveexec_b32 s5, s3
	s_cbranch_execz .LBB14_311
; %bb.310:                              ;   in Loop: Header=BB14_9 Depth=1
	v_mad_co_u64_u32 v[0:1], null, v172, s7, v[224:225]
	s_delay_alu instid0(VALU_DEP_1) | instskip(NEXT) | instid1(VALU_DEP_1)
	v_ashrrev_i32_e32 v1, 31, v0
	v_lshlrev_b64_e32 v[0:1], 3, v[0:1]
	s_delay_alu instid0(VALU_DEP_1) | instskip(SKIP_1) | instid1(VALU_DEP_2)
	v_add_co_u32 v0, s3, s90, v0
	s_wait_alu 0xf1ff
	v_add_co_ci_u32_e64 v1, null, s91, v1, s3
	global_load_b64 v[0:1], v[0:1], off
	s_wait_loadcnt 0x0
	v_cvt_f16_f32_e32 v0, v0
	v_cvt_f16_f32_e32 v1, v1
	s_delay_alu instid0(VALU_DEP_1) | instskip(SKIP_1) | instid1(VALU_DEP_2)
	v_pack_b32_f16 v0, v0, v1
	v_add_nc_u32_e32 v1, v141, v155
	v_pk_mul_f16 v0, v0, s100
	ds_store_b32 v1, v0 offset:128
.LBB14_311:                             ;   in Loop: Header=BB14_9 Depth=1
	s_wait_alu 0xfffe
	s_or_b32 exec_lo, exec_lo, s5
	v_add_nc_u32_e32 v171, s4, v160
	s_delay_alu instid0(VALU_DEP_1)
	v_cmp_gt_i32_e64 s3, s24, v171
	s_and_b32 s41, s3, vcc_lo
	s_wait_alu 0xfffe
	s_xor_b32 s3, s41, -1
	s_wait_alu 0xfffe
	s_and_saveexec_b32 s5, s3
	s_wait_alu 0xfffe
	s_xor_b32 s3, exec_lo, s5
	s_cbranch_execz .LBB14_313
; %bb.312:                              ;   in Loop: Header=BB14_9 Depth=1
	scratch_load_b32 v0, off, off offset:16 ; 4-byte Folded Reload
	s_wait_loadcnt 0x0
	ds_store_b32 v0, v196 offset:128
.LBB14_313:                             ;   in Loop: Header=BB14_9 Depth=1
	s_wait_alu 0xfffe
	s_and_not1_saveexec_b32 s5, s3
	s_cbranch_execz .LBB14_315
; %bb.314:                              ;   in Loop: Header=BB14_9 Depth=1
	v_mad_co_u64_u32 v[0:1], null, v171, s7, v[224:225]
	s_delay_alu instid0(VALU_DEP_1) | instskip(NEXT) | instid1(VALU_DEP_1)
	v_ashrrev_i32_e32 v1, 31, v0
	v_lshlrev_b64_e32 v[0:1], 3, v[0:1]
	s_delay_alu instid0(VALU_DEP_1) | instskip(SKIP_1) | instid1(VALU_DEP_2)
	v_add_co_u32 v0, s3, s90, v0
	s_wait_alu 0xf1ff
	v_add_co_ci_u32_e64 v1, null, s91, v1, s3
	global_load_b64 v[0:1], v[0:1], off
	s_wait_loadcnt 0x0
	v_cvt_f16_f32_e32 v0, v0
	v_cvt_f16_f32_e32 v1, v1
	s_delay_alu instid0(VALU_DEP_1) | instskip(SKIP_1) | instid1(VALU_DEP_2)
	v_pack_b32_f16 v0, v0, v1
	v_add_nc_u32_e32 v1, v141, v155
	v_pk_mul_f16 v0, v0, s100
	ds_store_b32 v1, v0 offset:1792
.LBB14_315:                             ;   in Loop: Header=BB14_9 Depth=1
	s_wait_alu 0xfffe
	s_or_b32 exec_lo, exec_lo, s5
	v_add_nc_u32_e32 v166, s4, v161
	s_delay_alu instid0(VALU_DEP_1)
	v_cmp_gt_i32_e64 s3, s24, v166
	s_and_b32 s40, s3, vcc_lo
	s_wait_alu 0xfffe
	s_xor_b32 s3, s40, -1
	s_wait_alu 0xfffe
	s_and_saveexec_b32 s5, s3
	s_wait_alu 0xfffe
	s_xor_b32 s3, exec_lo, s5
	s_cbranch_execz .LBB14_317
; %bb.316:                              ;   in Loop: Header=BB14_9 Depth=1
	scratch_load_b32 v0, off, off offset:260 ; 4-byte Folded Reload
	s_wait_loadcnt 0x0
	ds_store_b32 v0, v196 offset:128
.LBB14_317:                             ;   in Loop: Header=BB14_9 Depth=1
	s_wait_alu 0xfffe
	s_and_not1_saveexec_b32 s5, s3
	s_cbranch_execz .LBB14_319
; %bb.318:                              ;   in Loop: Header=BB14_9 Depth=1
	v_mad_co_u64_u32 v[0:1], null, v166, s7, v[224:225]
	s_delay_alu instid0(VALU_DEP_1) | instskip(NEXT) | instid1(VALU_DEP_1)
	v_ashrrev_i32_e32 v1, 31, v0
	v_lshlrev_b64_e32 v[0:1], 3, v[0:1]
	s_delay_alu instid0(VALU_DEP_1) | instskip(SKIP_1) | instid1(VALU_DEP_2)
	v_add_co_u32 v0, s3, s90, v0
	s_wait_alu 0xf1ff
	v_add_co_ci_u32_e64 v1, null, s91, v1, s3
	global_load_b64 v[0:1], v[0:1], off
	s_wait_loadcnt 0x0
	v_cvt_f16_f32_e32 v0, v0
	v_cvt_f16_f32_e32 v1, v1
	s_delay_alu instid0(VALU_DEP_1) | instskip(SKIP_1) | instid1(VALU_DEP_2)
	v_pack_b32_f16 v0, v0, v1
	v_add_nc_u32_e32 v1, v141, v155
	v_pk_mul_f16 v0, v0, s100
	ds_store_b32 v1, v0 offset:3456
.LBB14_319:                             ;   in Loop: Header=BB14_9 Depth=1
	s_wait_alu 0xfffe
	s_or_b32 exec_lo, exec_lo, s5
	v_add_nc_u32_e32 v165, s4, v162
	s_delay_alu instid0(VALU_DEP_1) | instskip(SKIP_1) | instid1(SALU_CYCLE_1)
	v_cmp_gt_i32_e64 s3, s24, v165
	s_and_b32 s94, s3, vcc_lo
	s_xor_b32 s3, s94, -1
	s_wait_alu 0xfffe
	s_and_saveexec_b32 s5, s3
	s_wait_alu 0xfffe
	s_xor_b32 s3, exec_lo, s5
	s_cbranch_execz .LBB14_321
; %bb.320:                              ;   in Loop: Header=BB14_9 Depth=1
	scratch_load_b32 v0, off, off offset:264 ; 4-byte Folded Reload
	s_wait_loadcnt 0x0
	ds_store_b32 v0, v196 offset:128
.LBB14_321:                             ;   in Loop: Header=BB14_9 Depth=1
	s_wait_alu 0xfffe
	s_and_not1_saveexec_b32 s5, s3
	s_cbranch_execz .LBB14_323
; %bb.322:                              ;   in Loop: Header=BB14_9 Depth=1
	v_mad_co_u64_u32 v[0:1], null, v165, s7, v[224:225]
	s_delay_alu instid0(VALU_DEP_1) | instskip(NEXT) | instid1(VALU_DEP_1)
	v_ashrrev_i32_e32 v1, 31, v0
	v_lshlrev_b64_e32 v[0:1], 3, v[0:1]
	s_delay_alu instid0(VALU_DEP_1) | instskip(SKIP_1) | instid1(VALU_DEP_2)
	v_add_co_u32 v0, s3, s90, v0
	s_wait_alu 0xf1ff
	v_add_co_ci_u32_e64 v1, null, s91, v1, s3
	global_load_b64 v[0:1], v[0:1], off
	s_wait_loadcnt 0x0
	v_cvt_f16_f32_e32 v0, v0
	v_cvt_f16_f32_e32 v1, v1
	s_delay_alu instid0(VALU_DEP_1) | instskip(SKIP_1) | instid1(VALU_DEP_2)
	v_pack_b32_f16 v0, v0, v1
	v_add_nc_u32_e32 v1, v141, v155
	v_pk_mul_f16 v0, v0, s100
	ds_store_b32 v1, v0 offset:5120
.LBB14_323:                             ;   in Loop: Header=BB14_9 Depth=1
	s_wait_alu 0xfffe
	s_or_b32 exec_lo, exec_lo, s5
	v_add_nc_u32_e32 v164, s4, v163
	s_delay_alu instid0(VALU_DEP_1) | instskip(SKIP_1) | instid1(SALU_CYCLE_1)
	v_cmp_gt_i32_e64 s3, s24, v164
	s_and_b32 s93, s3, vcc_lo
	;; [unrolled: 39-line block ×3, first 2 shown]
	s_xor_b32 s3, s92, -1
	s_wait_alu 0xfffe
	s_and_saveexec_b32 s5, s3
	s_wait_alu 0xfffe
	s_xor_b32 s3, exec_lo, s5
	s_cbranch_execz .LBB14_329
; %bb.328:                              ;   in Loop: Header=BB14_9 Depth=1
	scratch_load_b32 v0, off, off offset:272 ; 4-byte Folded Reload
	s_wait_loadcnt 0x0
	ds_store_b32 v0, v196 offset:128
.LBB14_329:                             ;   in Loop: Header=BB14_9 Depth=1
	s_wait_alu 0xfffe
	s_and_not1_saveexec_b32 s5, s3
	s_cbranch_execz .LBB14_331
; %bb.330:                              ;   in Loop: Header=BB14_9 Depth=1
	v_mad_co_u64_u32 v[0:1], null, v158, s7, v[224:225]
	s_delay_alu instid0(VALU_DEP_1) | instskip(NEXT) | instid1(VALU_DEP_1)
	v_ashrrev_i32_e32 v1, 31, v0
	v_lshlrev_b64_e32 v[0:1], 3, v[0:1]
	s_delay_alu instid0(VALU_DEP_1) | instskip(SKIP_1) | instid1(VALU_DEP_2)
	v_add_co_u32 v0, s3, s90, v0
	s_wait_alu 0xf1ff
	v_add_co_ci_u32_e64 v1, null, s91, v1, s3
	global_load_b64 v[0:1], v[0:1], off
	s_wait_loadcnt 0x0
	v_cvt_f16_f32_e32 v0, v0
	v_cvt_f16_f32_e32 v1, v1
	s_delay_alu instid0(VALU_DEP_1) | instskip(SKIP_1) | instid1(VALU_DEP_2)
	v_pack_b32_f16 v0, v0, v1
	v_add_nc_u32_e32 v1, v141, v155
	v_pk_mul_f16 v0, v0, s100
	ds_store_b32 v1, v0 offset:8448
.LBB14_331:                             ;   in Loop: Header=BB14_9 Depth=1
	s_wait_alu 0xfffe
	s_or_b32 exec_lo, exec_lo, s5
	v_add_nc_u32_e32 v138, s4, v168
	s_delay_alu instid0(VALU_DEP_1)
	v_cmp_gt_i32_e64 s3, s24, v138
	s_and_b32 s67, s3, vcc_lo
	s_wait_alu 0xfffe
	s_xor_b32 s3, s67, -1
	s_wait_alu 0xfffe
	s_and_saveexec_b32 s5, s3
	s_wait_alu 0xfffe
	s_xor_b32 s3, exec_lo, s5
	s_cbranch_execz .LBB14_333
; %bb.332:                              ;   in Loop: Header=BB14_9 Depth=1
	scratch_load_b32 v0, off, off offset:276 ; 4-byte Folded Reload
	s_wait_loadcnt 0x0
	ds_store_b32 v0, v196 offset:128
.LBB14_333:                             ;   in Loop: Header=BB14_9 Depth=1
	s_wait_alu 0xfffe
	s_and_not1_saveexec_b32 s5, s3
	s_cbranch_execz .LBB14_335
; %bb.334:                              ;   in Loop: Header=BB14_9 Depth=1
	v_mad_co_u64_u32 v[0:1], null, v138, s7, v[224:225]
	s_delay_alu instid0(VALU_DEP_1) | instskip(NEXT) | instid1(VALU_DEP_1)
	v_ashrrev_i32_e32 v1, 31, v0
	v_lshlrev_b64_e32 v[0:1], 3, v[0:1]
	s_delay_alu instid0(VALU_DEP_1) | instskip(SKIP_1) | instid1(VALU_DEP_2)
	v_add_co_u32 v0, s3, s90, v0
	s_wait_alu 0xf1ff
	v_add_co_ci_u32_e64 v1, null, s91, v1, s3
	global_load_b64 v[0:1], v[0:1], off
	s_wait_loadcnt 0x0
	v_cvt_f16_f32_e32 v0, v0
	v_cvt_f16_f32_e32 v1, v1
	s_delay_alu instid0(VALU_DEP_1) | instskip(SKIP_1) | instid1(VALU_DEP_2)
	v_pack_b32_f16 v0, v0, v1
	v_add_nc_u32_e32 v1, v141, v155
	v_pk_mul_f16 v0, v0, s100
	ds_store_b32 v1, v0 offset:10112
.LBB14_335:                             ;   in Loop: Header=BB14_9 Depth=1
	s_wait_alu 0xfffe
	s_or_b32 exec_lo, exec_lo, s5
	v_add_nc_u32_e32 v235, s4, v169
	s_delay_alu instid0(VALU_DEP_1)
	v_cmp_gt_i32_e64 s3, s24, v235
	s_and_b32 s6, s3, vcc_lo
	s_wait_alu 0xfffe
	s_xor_b32 s3, s6, -1
	s_wait_alu 0xfffe
	s_and_saveexec_b32 s5, s3
	s_wait_alu 0xfffe
	s_xor_b32 s3, exec_lo, s5
	s_cbranch_execz .LBB14_337
; %bb.336:                              ;   in Loop: Header=BB14_9 Depth=1
	scratch_load_b32 v0, off, off offset:280 ; 4-byte Folded Reload
	s_wait_loadcnt 0x0
	ds_store_b32 v0, v196 offset:128
.LBB14_337:                             ;   in Loop: Header=BB14_9 Depth=1
	s_wait_alu 0xfffe
	s_and_not1_saveexec_b32 s3, s3
	s_cbranch_execz .LBB14_339
; %bb.338:                              ;   in Loop: Header=BB14_9 Depth=1
	v_mad_co_u64_u32 v[0:1], null, v235, s7, v[224:225]
	s_delay_alu instid0(VALU_DEP_1) | instskip(NEXT) | instid1(VALU_DEP_1)
	v_ashrrev_i32_e32 v1, 31, v0
	v_lshlrev_b64_e32 v[0:1], 3, v[0:1]
	s_delay_alu instid0(VALU_DEP_1) | instskip(SKIP_1) | instid1(VALU_DEP_2)
	v_add_co_u32 v0, vcc_lo, s90, v0
	s_wait_alu 0xfffd
	v_add_co_ci_u32_e64 v1, null, s91, v1, vcc_lo
	global_load_b64 v[0:1], v[0:1], off
	s_wait_loadcnt 0x0
	v_cvt_f16_f32_e32 v0, v0
	v_cvt_f16_f32_e32 v1, v1
	s_delay_alu instid0(VALU_DEP_1) | instskip(SKIP_1) | instid1(VALU_DEP_2)
	v_pack_b32_f16 v0, v0, v1
	v_add_nc_u32_e32 v1, v141, v155
	v_pk_mul_f16 v0, v0, s100
	ds_store_b32 v1, v0 offset:11776
.LBB14_339:                             ;   in Loop: Header=BB14_9 Depth=1
	s_wait_alu 0xfffe
	s_or_b32 exec_lo, exec_lo, s3
	s_wait_storecnt 0x0
	s_wait_loadcnt_dscnt 0x0
	s_barrier_signal -1
	s_barrier_wait -1
	global_inv scope:SCOPE_SE
	ds_load_b128 v[40:43], v170
	ds_load_b128 v[44:47], v170 offset:32
	ds_load_b128 v[36:39], v170 offset:64
	;; [unrolled: 1-line block ×5, first 2 shown]
	s_cmp_gt_i32 s49, 1
	s_mov_b32 s3, -1
	s_wait_loadcnt_dscnt 0x0
	s_barrier_signal -1
	s_barrier_wait -1
	global_inv scope:SCOPE_SE
                                        ; implicit-def: $vgpr187
                                        ; implicit-def: $vgpr81
                                        ; implicit-def: $vgpr62_vgpr63
                                        ; implicit-def: $vgpr48_vgpr49
                                        ; implicit-def: $vgpr50_vgpr51
                                        ; implicit-def: $vgpr60_vgpr61
                                        ; implicit-def: $vgpr52_vgpr53
                                        ; implicit-def: $vgpr54_vgpr55
                                        ; implicit-def: $vgpr56_vgpr57
                                        ; implicit-def: $vgpr58_vgpr59
	s_cbranch_scc1 .LBB14_341
; %bb.340:                              ;   in Loop: Header=BB14_9 Depth=1
	v_add_nc_u32_e32 v1, s4, v130
	v_dual_mov_b32 v81, 32 :: v_dual_add_nc_u32 v0, s4, v231
	v_add_nc_u32_e32 v2, s4, v129
	v_add_nc_u32_e32 v4, s4, v128
	s_delay_alu instid0(VALU_DEP_4) | instskip(NEXT) | instid1(VALU_DEP_4)
	v_mul_hi_u32 v5, s36, v1
	v_mul_hi_u32 v3, s36, v0
	v_add_nc_u32_e32 v6, s4, v233
	v_mul_hi_u32 v10, s36, v2
	v_mul_hi_u32 v11, s36, v4
	v_add_nc_u32_e32 v7, s4, v127
	v_add_nc_u32_e32 v8, s4, v126
	;; [unrolled: 1-line block ×5, first 2 shown]
	v_mul_hi_u32 v12, s36, v6
	v_add_nc_u32_e32 v10, v2, v10
	v_mul_hi_u32 v13, s36, v7
	v_lshrrev_b32_e32 v5, s37, v5
	v_lshrrev_b32_e32 v3, s37, v3
	v_mul_hi_u32 v14, s36, v8
	v_add_nc_u32_e32 v11, v4, v11
	v_mul_hi_u32 v15, s36, v9
	v_mul_lo_u32 v5, v5, s24
	v_mul_lo_u32 v3, v3, s24
	v_lshrrev_b32_e32 v10, s37, v10
	v_lshrrev_b32_e32 v11, s37, v11
	v_add_nc_u32_e32 v12, v6, v12
	v_add_nc_u32_e32 v13, v7, v13
	v_xor_b32_e32 v187, 16, v234
	s_mov_b32 s3, 0
	v_sub_nc_u32_e32 v1, v1, v5
	v_sub_nc_u32_e32 v0, v0, v3
	v_mul_lo_u32 v3, v10, s24
	v_add_nc_u32_e32 v10, v9, v15
	v_mul_lo_u32 v5, v11, s24
	v_mad_co_i64_i32 v[48:49], null, v1, s38, 0
	v_add_nc_u32_e32 v1, v8, v14
	v_lshrrev_b32_e32 v12, s37, v12
	v_mad_co_i64_i32 v[62:63], null, v0, s38, 0
	v_lshrrev_b32_e32 v0, s37, v13
	v_sub_nc_u32_e32 v2, v2, v3
	v_lshrrev_b32_e32 v1, s37, v1
	v_lshrrev_b32_e32 v10, s37, v10
	v_mul_lo_u32 v3, v12, s24
	v_mul_lo_u32 v0, v0, s24
	v_mad_co_i64_i32 v[50:51], null, v2, s38, 0
	v_sub_nc_u32_e32 v2, v4, v5
	v_mul_lo_u32 v1, v1, s24
	v_mul_lo_u32 v4, v10, s24
	v_sub_nc_u32_e32 v3, v6, v3
	s_delay_alu instid0(VALU_DEP_4) | instskip(SKIP_4) | instid1(VALU_DEP_4)
	v_mad_co_i64_i32 v[60:61], null, v2, s38, 0
	v_sub_nc_u32_e32 v0, v7, v0
	v_sub_nc_u32_e32 v1, v8, v1
	v_sub_nc_u32_e32 v2, v9, v4
	v_mad_co_i64_i32 v[52:53], null, v3, s38, 0
	v_mad_co_i64_i32 v[54:55], null, v0, s38, 0
	s_delay_alu instid0(VALU_DEP_4) | instskip(NEXT) | instid1(VALU_DEP_4)
	v_mad_co_i64_i32 v[56:57], null, v1, s38, 0
	v_mad_co_i64_i32 v[58:59], null, v2, s38, 0
.LBB14_341:                             ;   in Loop: Header=BB14_9 Depth=1
	s_wait_alu 0xfffe
	s_and_not1_b32 vcc_lo, exec_lo, s3
	s_wait_alu 0xfffe
	s_cbranch_vccnz .LBB14_345
; %bb.342:                              ;   in Loop: Header=BB14_9 Depth=1
	s_clause 0x17
	scratch_store_b32 off, v242, off offset:372
	scratch_store_b32 off, v241, off offset:368
	;; [unrolled: 1-line block ×24, first 2 shown]
	scratch_load_b32 v48, off, off offset:392 ; 4-byte Folded Reload
	v_dual_mov_b32 v184, 0 :: v_dual_add_nc_u32 v5, s4, v233
	v_add_nc_u32_e32 v0, s4, v231
	v_xor_b32_e32 v187, 16, v234
	s_add_nc_u64 s[86:87], s[86:87], s[88:89]
	s_delay_alu instid0(VALU_DEP_3)
	v_mul_hi_u32 v9, s36, v5
	v_dual_mov_b32 v17, v184 :: v_dual_add_nc_u32 v10, s4, v127
	v_mul_hi_u32 v3, s36, v0
	v_cmp_gt_i32_e32 vcc_lo, 32, v187
	v_dual_mov_b32 v12, 0 :: v_dual_add_nc_u32 v1, s4, v130
	v_add_nc_u32_e32 v4, s4, v128
	v_add_nc_u32_e32 v9, v5, v9
	v_dual_mov_b32 v11, v184 :: v_dual_add_nc_u32 v2, s4, v129
	s_delay_alu instid0(VALU_DEP_4) | instskip(NEXT) | instid1(VALU_DEP_4)
	v_mov_b32_e32 v13, v12
	v_mul_hi_u32 v8, s36, v4
	v_add_nc_u32_e32 v3, v0, v3
	s_delay_alu instid0(VALU_DEP_4)
	v_mul_hi_u32 v7, s36, v2
	v_lshrrev_b32_e32 v9, s37, v9
	v_mov_b32_e32 v18, v184
	v_mov_b32_e32 v20, v12
	;; [unrolled: 1-line block ×4, first 2 shown]
	v_add_nc_u32_e32 v8, v4, v8
	s_add_co_i32 s49, s49, -1
	v_add_nc_u32_e32 v7, v2, v7
	s_mov_b32 s56, s49
	v_mov_b32_e32 v19, v184
	v_lshrrev_b32_e32 v8, s37, v8
	v_mov_b32_e32 v23, v12
	v_dual_mov_b32 v15, v12 :: v_dual_mov_b32 v14, v12
	v_mov_b32_e32 v21, v12
	s_delay_alu instid0(VALU_DEP_4) | instskip(SKIP_1) | instid1(VALU_DEP_2)
	v_mul_lo_u32 v8, v8, s24
	v_mov_b32_e32 v16, 0
	v_sub_nc_u32_e32 v177, v4, v8
	v_mov_b32_e32 v8, 0
	v_lshrrev_b32_e32 v3, s37, v3
	s_delay_alu instid0(VALU_DEP_3) | instskip(NEXT) | instid1(VALU_DEP_2)
	v_mad_co_i64_i32 v[112:113], null, s66, v177, s[80:81]
	v_mul_lo_u32 v3, v3, s24
	s_delay_alu instid0(VALU_DEP_1)
	v_sub_nc_u32_e32 v49, v0, v3
	v_add_nc_u32_e32 v0, s4, v126
	v_mul_lo_u32 v3, v9, s24
	v_mov_b32_e32 v9, v184
	s_clause 0x1
	scratch_store_b32 off, v234, off
	scratch_store_b32 off, v49, off offset:376
	v_mul_hi_u32 v4, s36, v0
	v_mad_co_i64_i32 v[106:107], null, s66, v49, s[80:81]
	v_sub_nc_u32_e32 v202, v5, v3
	v_mov_b32_e32 v5, v12
	s_delay_alu instid0(VALU_DEP_4) | instskip(NEXT) | instid1(VALU_DEP_3)
	v_add_nc_u32_e32 v4, v0, v4
	v_mad_co_i64_i32 v[114:115], null, s66, v202, s[80:81]
	s_delay_alu instid0(VALU_DEP_2) | instskip(NEXT) | instid1(VALU_DEP_1)
	v_lshrrev_b32_e32 v4, s37, v4
	v_mul_lo_u32 v4, v4, s24
	s_delay_alu instid0(VALU_DEP_1)
	v_sub_nc_u32_e32 v158, v0, v4
	s_wait_alu 0xfffd
	v_cndmask_b32_e32 v0, v234, v187, vcc_lo
	v_mul_hi_u32 v6, s36, v1
	v_mov_b32_e32 v4, v12
	v_mad_co_i64_i32 v[118:119], null, s66, v158, s[80:81]
	s_delay_alu instid0(VALU_DEP_4) | instskip(SKIP_2) | instid1(VALU_DEP_1)
	v_lshlrev_b32_e32 v250, 2, v0
	v_mov_b32_e32 v0, 0
	v_add_nc_u32_e32 v6, v1, v6
	v_lshrrev_b32_e32 v6, s37, v6
	s_delay_alu instid0(VALU_DEP_1) | instskip(NEXT) | instid1(VALU_DEP_1)
	v_mul_lo_u32 v6, v6, s24
	v_sub_nc_u32_e32 v248, v1, v6
	v_mul_hi_u32 v1, s36, v10
	v_mov_b32_e32 v6, v12
	s_delay_alu instid0(VALU_DEP_3) | instskip(NEXT) | instid1(VALU_DEP_3)
	v_mad_co_i64_i32 v[108:109], null, s66, v248, s[80:81]
	v_add_nc_u32_e32 v1, v10, v1
	s_delay_alu instid0(VALU_DEP_1) | instskip(NEXT) | instid1(VALU_DEP_1)
	v_lshrrev_b32_e32 v1, s37, v1
	v_mul_lo_u32 v1, v1, s24
	s_delay_alu instid0(VALU_DEP_1) | instskip(SKIP_2) | instid1(VALU_DEP_3)
	v_sub_nc_u32_e32 v175, v10, v1
	v_mov_b32_e32 v10, v184
	v_lshrrev_b32_e32 v7, s37, v7
	v_mad_co_i64_i32 v[116:117], null, s66, v175, s[80:81]
	s_delay_alu instid0(VALU_DEP_2) | instskip(NEXT) | instid1(VALU_DEP_1)
	v_mul_lo_u32 v7, v7, s24
	v_sub_nc_u32_e32 v183, v2, v7
	v_add_nc_u32_e32 v2, s4, v125
	s_add_nc_u64 s[4:5], s[84:85], s[82:83]
	v_mov_b32_e32 v7, v12
	s_delay_alu instid0(VALU_DEP_3) | instskip(NEXT) | instid1(VALU_DEP_3)
	v_mad_co_i64_i32 v[110:111], null, s66, v183, s[80:81]
	v_mul_hi_u32 v3, s36, v2
	s_delay_alu instid0(VALU_DEP_1) | instskip(NEXT) | instid1(VALU_DEP_1)
	v_add_nc_u32_e32 v3, v2, v3
	v_lshrrev_b32_e32 v3, s37, v3
	s_delay_alu instid0(VALU_DEP_1) | instskip(SKIP_1) | instid1(VALU_DEP_2)
	v_mul_lo_u32 v1, v3, s24
	v_mov_b32_e32 v3, v184
	v_sub_nc_u32_e32 v138, v2, v1
	v_dual_mov_b32 v1, v184 :: v_dual_mov_b32 v2, v184
	s_delay_alu instid0(VALU_DEP_2)
	v_mad_co_i64_i32 v[120:121], null, s66, v138, s[80:81]
	s_wait_loadcnt 0x0
	s_wait_alu 0xfffe
	v_add_co_u32 v249, vcc_lo, v48, s86
	scratch_load_b32 v48, off, off offset:396 ; 4-byte Folded Reload
	s_wait_loadcnt 0x0
	s_wait_alu 0xfffd
	v_add_co_ci_u32_e64 v168, null, s87, v48, vcc_lo
	scratch_load_b32 v48, off, off offset:400 ; 4-byte Folded Reload
	s_wait_loadcnt 0x0
	v_add_co_u32 v198, vcc_lo, v48, s86
	scratch_load_b32 v48, off, off offset:404 ; 4-byte Folded Reload
	s_wait_loadcnt 0x0
	s_wait_alu 0xfffd
	v_add_co_ci_u32_e64 v176, null, s87, v48, vcc_lo
	scratch_load_b32 v48, off, off offset:432 ; 4-byte Folded Reload
	s_wait_loadcnt 0x0
	;; [unrolled: 7-line block ×11, first 2 shown]
	v_add_co_u32 v218, vcc_lo, v48, s4
	scratch_load_b32 v48, off, off offset:492 ; 4-byte Folded Reload
	s_wait_loadcnt 0x0
	s_wait_alu 0xfffd
	v_add_co_ci_u32_e64 v220, null, s5, v48, vcc_lo
.LBB14_343:                             ;   Parent Loop BB14_9 Depth=1
                                        ; =>  This Inner Loop Header: Depth=2
	v_add_co_u32 v48, vcc_lo, v106, v139
	s_wait_alu 0xfffd
	v_add_co_ci_u32_e64 v49, null, 0, v107, vcc_lo
	v_add_nc_u32_e32 v51, v193, v140
	s_add_co_i32 s56, s56, -1
	s_delay_alu instid0(SALU_CYCLE_1)
	s_cmp_lg_u32 s56, 0
	global_load_b32 v50, v[48:49], off
	v_add_co_u32 v48, vcc_lo, v108, v139
	s_wait_alu 0xfffd
	v_add_co_ci_u32_e64 v49, null, 0, v109, vcc_lo
	global_load_b32 v48, v[48:49], off
	v_add_nc_u32_e32 v49, 0x3400, v51
	s_wait_loadcnt 0x0
	ds_store_2addr_b32 v49, v50, v48 offset1:144
	v_add_co_u32 v48, vcc_lo, v110, v139
	s_wait_alu 0xfffd
	v_add_co_ci_u32_e64 v49, null, 0, v111, vcc_lo
	global_load_b32 v50, v[48:49], off
	v_add_co_u32 v48, vcc_lo, v112, v139
	s_wait_alu 0xfffd
	v_add_co_ci_u32_e64 v49, null, 0, v113, vcc_lo
	global_load_b32 v48, v[48:49], off
	v_add_nc_u32_e32 v49, 0x3800, v51
	s_wait_loadcnt 0x0
	ds_store_2addr_b32 v49, v50, v48 offset0:32 offset1:176
	v_add_co_u32 v48, vcc_lo, v114, v139
	s_wait_alu 0xfffd
	v_add_co_ci_u32_e64 v49, null, 0, v115, vcc_lo
	global_load_b32 v50, v[48:49], off
	v_add_co_u32 v48, vcc_lo, v116, v139
	s_wait_alu 0xfffd
	v_add_co_ci_u32_e64 v49, null, 0, v117, vcc_lo
	global_load_b32 v48, v[48:49], off
	v_add_nc_u32_e32 v49, 0x3c00, v51
	s_wait_loadcnt 0x0
	ds_store_2addr_b32 v49, v50, v48 offset0:64 offset1:208
	;; [unrolled: 11-line block ×3, first 2 shown]
	v_add_co_u32 v48, vcc_lo, v241, v182
	s_wait_alu 0xfffd
	v_add_co_ci_u32_e64 v49, null, 0, v242, vcc_lo
	v_add_co_u32 v52, vcc_lo, v243, v182
	s_wait_alu 0xfffd
	v_add_co_ci_u32_e64 v53, null, 0, v244, vcc_lo
	global_load_b128 v[48:51], v[48:49], off
	global_load_b128 v[52:55], v[52:53], off
	s_wait_loadcnt 0x1
	ds_store_b128 v145, v[48:51]
	s_wait_loadcnt 0x0
	ds_store_b128 v146, v[52:55]
	v_add_co_u32 v48, vcc_lo, v247, v188
	s_wait_alu 0xfffd
	v_add_co_ci_u32_e64 v49, null, 0, v77, vcc_lo
	v_add_co_u32 v52, vcc_lo, v78, v188
	s_wait_alu 0xfffd
	v_add_co_ci_u32_e64 v53, null, 0, v153, vcc_lo
	global_load_b128 v[48:51], v[48:49], off
	global_load_b128 v[52:55], v[52:53], off
	s_wait_loadcnt 0x1
	ds_store_b128 v147, v[48:51]
	s_wait_loadcnt 0x0
	ds_store_b128 v203, v[52:55]
	;; [unrolled: 12-line block ×3, first 2 shown]
	s_wait_storecnt_dscnt 0x0
	s_barrier_signal -1
	s_barrier_wait -1
	global_inv scope:SCOPE_SE
	ds_load_b128 v[48:51], v142
	ds_load_b128 v[62:65], v142 offset:32
	s_wait_dscnt 0x1
	v_wmma_f32_16x16x16_f16 v[54:61], v[48:51], v[40:43], 0
	s_wait_dscnt 0x0
	s_delay_alu instid0(VALU_DEP_1)
	v_wmma_f32_16x16x16_f16 v[54:61], v[62:65], v[44:47], v[54:61]
	ds_load_b128 v[48:51], v142 offset:64
	ds_load_b128 v[62:65], v142 offset:96
	s_wait_dscnt 0x1
	v_wmma_f32_16x16x16_f16 v[54:61], v[48:51], v[36:39], v[54:61]
	s_wait_dscnt 0x0
	s_delay_alu instid0(VALU_DEP_1)
	v_wmma_f32_16x16x16_f16 v[54:61], v[62:65], v[32:35], v[54:61]
	ds_load_b128 v[48:51], v142 offset:128
	ds_load_b128 v[62:65], v142 offset:160
	s_wait_dscnt 0x1
	v_wmma_f32_16x16x16_f16 v[54:61], v[48:51], v[28:31], v[54:61]
	ds_load_b128 v[48:51], v142 offset:3328
	ds_load_b128 v[67:70], v142 offset:3360
	;; [unrolled: 1-line block ×18, first 2 shown]
	s_wait_loadcnt_dscnt 0x0
	s_barrier_signal -1
	s_barrier_wait -1
	v_wmma_f32_16x16x16_f16 v[54:61], v[62:65], v[24:27], v[54:61]
	v_add_nc_u32_e32 v52, 0x3400, v148
	v_add_nc_u32_e32 v62, 0x3400, v124
	global_inv scope:SCOPE_SE
	ds_load_2addr_b32 v[52:53], v52 offset1:1
	ds_load_2addr_b32 v[130:131], v62 offset1:1
	ds_load_b32 v62, v149 offset:13312
	ds_load_b32 v65, v148 offset:13320
	s_wait_dscnt 0x3
	v_cvt_f32_f16_e32 v64, v53
	v_lshrrev_b32_e32 v53, 16, v53
	s_wait_dscnt 0x1
	v_lshrrev_b32_e32 v125, 16, v62
	s_wait_dscnt 0x0
	v_cvt_f32_f16_e32 v66, v65
	v_lshrrev_b32_e32 v65, 16, v65
	v_cvt_f32_f16_e32 v63, v52
	v_lshrrev_b32_e32 v52, 16, v52
	v_cvt_f32_f16_e32 v62, v62
	v_cvt_f32_f16_e32 v53, v53
	;; [unrolled: 1-line block ×3, first 2 shown]
	v_cvt_f32_f16_e64 v144, v125
	v_cvt_f32_f16_e32 v52, v52
	v_add_f32_e32 v54, v54, v63
	v_dual_add_f32 v56, v56, v64 :: v_dual_add_f32 v157, v57, v53
	v_add_f32_e32 v143, v58, v66
	v_dual_add_f32 v125, v59, v65 :: v_dual_add_f32 v58, v60, v62
	v_add_f32_e32 v57, v61, v144
	v_wmma_f32_16x16x16_f16 v[59:66], v[48:51], v[40:43], 0
	v_dual_add_f32 v55, v55, v52 :: v_dual_add_nc_u32 v48, 0x3400, v103
	v_add_nc_u32_e32 v50, 0x3400, v219
	s_delay_alu instid0(VALU_DEP_3)
	v_wmma_f32_16x16x16_f16 v[59:66], v[67:70], v[44:47], v[59:66]
	v_add_nc_u32_e32 v52, 0x3400, v223
	v_add_nc_u32_e32 v67, 0x3400, v214
	ds_load_2addr_b32 v[48:49], v48 offset1:1
	ds_load_2addr_b32 v[50:51], v50 offset1:1
	;; [unrolled: 1-line block ×4, first 2 shown]
	v_wmma_f32_16x16x16_f16 v[59:66], v[71:74], v[36:39], v[59:66]
	v_lshrrev_b32_e32 v70, 16, v130
	v_lshrrev_b32_e32 v72, 16, v131
	v_cvt_f32_f16_e64 v69, v130
	v_cvt_f32_f16_e64 v71, v131
	v_wmma_f32_16x16x16_f16 v[59:66], v[126:129], v[32:35], v[59:66]
	v_cvt_f32_f16_e32 v70, v70
	v_cvt_f32_f16_e32 v72, v72
	s_delay_alu instid0(VALU_DEP_3) | instskip(NEXT) | instid1(VALU_DEP_1)
	v_wmma_f32_16x16x16_f16 v[59:66], v[159:162], v[28:31], v[59:66]
	v_wmma_f32_16x16x16_f16 v[59:66], v[230:233], v[24:27], v[59:66]
	s_wait_dscnt 0x3
	v_cvt_f32_f16_e32 v73, v48
	v_lshrrev_b32_e32 v48, 16, v48
	v_lshrrev_b32_e32 v74, 16, v49
	v_cvt_f32_f16_e32 v49, v49
	v_add_f32_e32 v130, v60, v70
	s_wait_dscnt 0x1
	v_lshrrev_b32_e32 v70, 16, v53
	v_cvt_f32_f16_e32 v48, v48
	v_cvt_f32_f16_e32 v74, v74
	v_add_f32_e32 v129, v59, v69
	v_add_f32_e32 v217, v65, v49
	v_lshrrev_b32_e32 v49, 16, v50
	v_add_f32_e32 v156, v64, v48
	v_add_f32_e32 v204, v66, v74
	v_cvt_f32_f16_e32 v48, v50
	v_cvt_f32_f16_e32 v50, v51
	v_add_f32_e32 v185, v62, v72
	v_cvt_f32_f16_e32 v69, v52
	v_add_f32_e32 v131, v61, v71
	;; [unrolled: 2-line block ×3, first 2 shown]
	v_wmma_f32_16x16x16_f16 v[59:66], v[234:237], v[40:43], 0
	v_lshrrev_b32_e32 v51, 16, v51
	v_lshrrev_b32_e32 v52, 16, v52
	v_cvt_f32_f16_e32 v53, v53
	s_delay_alu instid0(VALU_DEP_4) | instskip(SKIP_3) | instid1(VALU_DEP_4)
	v_wmma_f32_16x16x16_f16 v[59:66], v[224:227], v[44:47], v[59:66]
	v_cvt_f32_f16_e32 v49, v49
	v_cvt_f32_f16_e32 v51, v51
	;; [unrolled: 1-line block ×3, first 2 shown]
	v_wmma_f32_16x16x16_f16 v[59:66], v[132:135], v[36:39], v[59:66]
	s_delay_alu instid0(VALU_DEP_1) | instskip(NEXT) | instid1(VALU_DEP_1)
	v_wmma_f32_16x16x16_f16 v[59:66], v[169:172], v[32:35], v[59:66]
	v_wmma_f32_16x16x16_f16 v[59:66], v[189:192], v[28:31], v[59:66]
	s_delay_alu instid0(VALU_DEP_1) | instskip(NEXT) | instid1(VALU_DEP_1)
	v_wmma_f32_16x16x16_f16 v[59:66], v[251:254], v[24:27], v[59:66]
	v_dual_add_f32 v234, v59, v48 :: v_dual_add_f32 v237, v62, v51
	s_delay_alu instid0(VALU_DEP_2)
	v_add_f32_e32 v126, v65, v53
	s_wait_dscnt 0x0
	v_lshrrev_b32_e32 v53, 16, v68
	v_add_nc_u32_e32 v48, 0x3400, v215
	v_add_f32_e32 v236, v61, v50
	v_add_f32_e32 v128, v63, v69
	;; [unrolled: 1-line block ×3, first 2 shown]
	v_cvt_f32_f16_e32 v50, v67
	v_add_f32_e32 v235, v60, v49
	ds_load_2addr_b32 v[48:49], v48 offset1:1
	v_cvt_f32_f16_e32 v53, v53
	v_add_f32_e32 v127, v64, v52
	v_wmma_f32_16x16x16_f16 v[59:66], v[210:213], v[40:43], 0
	v_lshrrev_b32_e32 v51, 16, v67
	v_cvt_f32_f16_e32 v52, v68
	s_delay_alu instid0(VALU_DEP_3) | instskip(NEXT) | instid1(VALU_DEP_3)
	v_wmma_f32_16x16x16_f16 v[59:66], v[163:166], v[44:47], v[59:66]
	v_cvt_f32_f16_e32 v51, v51
	s_delay_alu instid0(VALU_DEP_2) | instskip(NEXT) | instid1(VALU_DEP_1)
	v_wmma_f32_16x16x16_f16 v[59:66], v[205:208], v[36:39], v[59:66]
	v_wmma_f32_16x16x16_f16 v[59:66], v[79:82], v[32:35], v[59:66]
	s_wait_dscnt 0x0
	v_cvt_f32_f16_e32 v67, v48
	v_lshrrev_b32_e32 v48, 16, v48
	v_lshrrev_b32_e32 v68, 16, v49
	v_wmma_f32_16x16x16_f16 v[59:66], v[83:86], v[28:31], v[59:66]
	v_cvt_f32_f16_e32 v49, v49
	s_delay_alu instid0(VALU_DEP_4) | instskip(NEXT) | instid1(VALU_DEP_4)
	v_cvt_f32_f16_e32 v48, v48
	v_cvt_f32_f16_e32 v68, v68
	s_delay_alu instid0(VALU_DEP_4) | instskip(NEXT) | instid1(VALU_DEP_1)
	v_wmma_f32_16x16x16_f16 v[59:66], v[87:90], v[24:27], v[59:66]
	v_add_f32_e32 v232, v64, v48
	v_add_co_u32 v48, vcc_lo, v249, v182
	s_delay_alu instid0(VALU_DEP_3) | instskip(NEXT) | instid1(VALU_DEP_4)
	v_dual_add_f32 v224, v60, v51 :: v_dual_add_f32 v231, v65, v49
	v_dual_add_f32 v226, v61, v52 :: v_dual_add_f32 v233, v63, v67
	s_wait_alu 0xfffd
	v_add_co_ci_u32_e64 v49, null, 0, v168, vcc_lo
	v_add_co_u32 v52, vcc_lo, v198, v182
	v_add_f32_e32 v228, v62, v53
	s_wait_alu 0xfffd
	v_add_co_ci_u32_e64 v53, null, 0, v176, vcc_lo
	v_add_f32_e32 v222, v59, v50
	global_load_b128 v[48:51], v[48:49], off
	global_load_b128 v[59:62], v[52:53], off
	v_add_f32_e32 v230, v66, v68
	s_wait_loadcnt 0x1
	ds_store_b128 v145, v[48:51]
	s_wait_loadcnt 0x0
	ds_store_b128 v146, v[59:62]
	v_add_co_u32 v48, vcc_lo, v197, v188
	s_wait_alu 0xfffd
	v_add_co_ci_u32_e64 v49, null, 0, v167, vcc_lo
	v_add_co_u32 v52, vcc_lo, v181, v188
	s_wait_alu 0xfffd
	v_add_co_ci_u32_e64 v53, null, 0, v174, vcc_lo
	global_load_b128 v[48:51], v[48:49], off
	global_load_b128 v[59:62], v[52:53], off
	s_wait_loadcnt 0x1
	ds_store_b128 v147, v[48:51]
	s_wait_loadcnt 0x0
	ds_store_b128 v203, v[59:62]
	v_add_co_u32 v48, vcc_lo, v180, v188
	s_wait_alu 0xfffd
	v_add_co_ci_u32_e64 v49, null, 0, v201, vcc_lo
	v_add_co_u32 v52, vcc_lo, v179, v188
	s_wait_alu 0xfffd
	v_add_co_ci_u32_e64 v53, null, 0, v239, vcc_lo
	global_load_b128 v[48:51], v[48:49], off
	global_load_b128 v[59:62], v[52:53], off
	s_wait_loadcnt 0x1
	ds_store_b128 v178, v[48:51]
	s_wait_loadcnt 0x0
	ds_store_b128 v209, v[59:62]
	v_add_nc_u32_e32 v48, 0x200, v150
	s_wait_dscnt 0x0
	s_barrier_signal -1
	s_barrier_wait -1
	global_inv scope:SCOPE_SE
	ds_load_2addr_b32 v[48:49], v48 offset0:112 offset1:132
	ds_load_2addr_b32 v[50:51], v150 offset0:208 offset1:224
	ds_load_2addr_b32 v[52:53], v151 offset1:16
	ds_load_2addr_b32 v[59:60], v152 offset1:16
	s_wait_dscnt 0x2
	v_perm_b32 v61, v49, v50, 0x7060302
	v_perm_b32 v65, v49, v50, 0x5040100
	v_add_nc_u32_e32 v49, 0x400, v150
	s_wait_dscnt 0x0
	v_perm_b32 v62, v59, v52, 0x7060302
	v_perm_b32 v66, v59, v52, 0x5040100
	;; [unrolled: 1-line block ×4, first 2 shown]
	ds_load_2addr_b32 v[79:80], v49 offset0:20 offset1:36
	s_wait_dscnt 0x0
	v_perm_b32 v69, v79, v51, 0x7060302
	v_perm_b32 v73, v79, v51, 0x5040100
	ds_load_2addr_b32 v[49:50], v150 offset0:104 offset1:120
	ds_load_2addr_b32 v[51:52], v150 offset0:136 offset1:156
	;; [unrolled: 1-line block ×3, first 2 shown]
	v_perm_b32 v53, v80, v48, 0x5040100
	s_wait_dscnt 0x1
	v_perm_b32 v60, v52, v49, 0x7060302
	v_perm_b32 v64, v52, v49, 0x5040100
	s_wait_dscnt 0x0
	v_perm_b32 v68, v81, v50, 0x7060302
	v_perm_b32 v72, v81, v50, 0x5040100
	;; [unrolled: 1-line block ×5, first 2 shown]
	ds_load_2addr_b32 v[79:80], v150 offset1:16
	ds_load_2addr_b32 v[81:82], v150 offset0:32 offset1:52
	s_wait_dscnt 0x0
	v_perm_b32 v59, v82, v79, 0x7060302
	v_perm_b32 v63, v82, v79, 0x5040100
	ds_load_2addr_b32 v[82:83], v150 offset0:68 offset1:84
	v_mov_b32_e32 v79, v186
	s_wait_dscnt 0x0
	v_perm_b32 v67, v82, v80, 0x7060302
	v_perm_b32 v71, v82, v80, 0x5040100
	;; [unrolled: 1-line block ×4, first 2 shown]
	v_dual_add_f32 v80, 0x40051340, v54 :: v_dual_add_f32 v81, 0x40051340, v55
	v_add_f32_e32 v82, 0x40051340, v157
	s_delay_alu instid0(VALU_DEP_2) | instskip(SKIP_1) | instid1(VALU_DEP_1)
	v_max3_num_f32 v80, v79, v80, v81
	v_add_f32_e32 v81, 0x40051340, v56
	v_max3_num_f32 v80, v80, v81, v82
	v_dual_add_f32 v81, 0x40051340, v143 :: v_dual_add_f32 v82, 0x40051340, v125
	s_delay_alu instid0(VALU_DEP_1) | instskip(SKIP_1) | instid1(VALU_DEP_1)
	v_max3_num_f32 v80, v80, v81, v82
	v_dual_add_f32 v81, 0x40051340, v58 :: v_dual_add_f32 v82, 0x40051340, v57
	v_max3_num_f32 v80, v80, v81, v82
	v_dual_add_f32 v81, 0x40051340, v129 :: v_dual_add_f32 v82, 0x40051340, v130
	s_delay_alu instid0(VALU_DEP_1) | instskip(SKIP_1) | instid1(VALU_DEP_1)
	v_max3_num_f32 v80, v80, v81, v82
	v_dual_add_f32 v81, 0x40051340, v131 :: v_dual_add_f32 v82, 0x40051340, v185
	;; [unrolled: 5-line block ×4, first 2 shown]
	v_max3_num_f32 v80, v80, v81, v82
	v_dual_add_f32 v81, 0x40051340, v128 :: v_dual_add_f32 v82, 0x40051340, v127
	s_delay_alu instid0(VALU_DEP_1) | instskip(SKIP_2) | instid1(VALU_DEP_1)
	v_max3_num_f32 v80, v80, v81, v82
	v_add_f32_e32 v81, 0x40051340, v126
	v_add_f32_e32 v82, 0x40051340, v238
	v_max3_num_f32 v80, v80, v81, v82
	v_dual_add_f32 v81, 0x40051340, v222 :: v_dual_add_f32 v82, 0x40051340, v224
	s_delay_alu instid0(VALU_DEP_1) | instskip(SKIP_1) | instid1(VALU_DEP_1)
	v_max3_num_f32 v80, v80, v81, v82
	v_dual_add_f32 v81, 0x40051340, v226 :: v_dual_add_f32 v82, 0x40051340, v228
	v_max3_num_f32 v80, v80, v81, v82
	v_dual_add_f32 v81, 0x40051340, v233 :: v_dual_add_f32 v82, 0x40051340, v232
	s_delay_alu instid0(VALU_DEP_1) | instskip(SKIP_1) | instid1(VALU_DEP_1)
	v_max3_num_f32 v80, v80, v81, v82
	v_dual_add_f32 v81, 0x40051340, v231 :: v_dual_add_f32 v82, 0x40051340, v230
	v_max3_num_f32 v80, v80, v81, v82
	ds_bpermute_b32 v81, v250, v80
	s_wait_dscnt 0x0
	v_max_num_f32_e32 v81, v81, v81
	s_delay_alu instid0(VALU_DEP_1) | instskip(NEXT) | instid1(VALU_DEP_1)
	v_max_num_f32_e32 v186, v80, v81
	v_sub_f32_e32 v80, v143, v186
	s_delay_alu instid0(VALU_DEP_1)
	v_mul_f32_e32 v81, 0x3fb8aa3b, v80
	v_sub_f32_e32 v57, v57, v186
	v_sub_f32_e32 v58, v58, v186
	;; [unrolled: 1-line block ×4, first 2 shown]
	v_fma_f32 v82, 0x3fb8aa3b, v80, -v81
	v_rndne_f32_e32 v83, v81
	s_delay_alu instid0(VALU_DEP_1) | instskip(NEXT) | instid1(VALU_DEP_3)
	v_dual_sub_f32 v54, v54, v186 :: v_dual_sub_f32 v81, v81, v83
	v_fmac_f32_e32 v82, 0x32a5705f, v80
	v_cvt_i32_f32_e32 v83, v83
	v_cmp_ngt_f32_e64 s5, 0xc2ce8ed0, v80
	s_delay_alu instid0(VALU_DEP_3) | instskip(SKIP_1) | instid1(VALU_DEP_1)
	v_add_f32_e32 v81, v81, v82
	v_sub_f32_e32 v82, v125, v186
	v_mul_f32_e32 v84, 0x3fb8aa3b, v82
	s_delay_alu instid0(VALU_DEP_1) | instskip(SKIP_1) | instid1(VALU_DEP_2)
	v_fma_f32 v85, 0x3fb8aa3b, v82, -v84
	v_rndne_f32_e32 v86, v84
	v_fmac_f32_e32 v85, 0x32a5705f, v82
	s_delay_alu instid0(VALU_DEP_2) | instskip(NEXT) | instid1(VALU_DEP_1)
	v_sub_f32_e32 v84, v84, v86
	v_dual_add_f32 v84, v84, v85 :: v_dual_mul_f32 v85, 0x3fb8aa3b, v58
	v_exp_f32_e32 v81, v81
	s_delay_alu instid0(VALU_DEP_1) | instskip(NEXT) | instid1(VALU_DEP_1)
	v_exp_f32_e32 v84, v84
	v_fma_f32 v87, 0x3fb8aa3b, v58, -v85
	v_rndne_f32_e32 v88, v85
	s_delay_alu instid0(VALU_DEP_2) | instskip(NEXT) | instid1(VALU_DEP_2)
	v_fmac_f32_e32 v87, 0x32a5705f, v58
	v_sub_f32_e32 v85, v85, v88
	s_delay_alu instid0(TRANS32_DEP_2) | instskip(SKIP_1) | instid1(VALU_DEP_3)
	v_ldexp_f32 v81, v81, v83
	v_cvt_i32_f32_e32 v83, v88
	v_add_f32_e32 v85, v85, v87
	v_mul_f32_e32 v87, 0x3fb8aa3b, v57
	v_cmp_ngt_f32_e32 vcc_lo, 0xc2ce8ed0, v82
	s_delay_alu instid0(VALU_DEP_3) | instskip(NEXT) | instid1(VALU_DEP_2)
	v_exp_f32_e32 v85, v85
	v_rndne_f32_e32 v90, v87
	s_delay_alu instid0(TRANS32_DEP_1) | instskip(SKIP_1) | instid1(VALU_DEP_1)
	v_ldexp_f32 v83, v85, v83
	v_cvt_i32_f32_e32 v85, v86
	v_ldexp_f32 v84, v84, v85
	s_delay_alu instid0(VALU_DEP_4) | instskip(SKIP_1) | instid1(VALU_DEP_2)
	v_cvt_i32_f32_e32 v85, v90
	s_wait_alu 0xfffd
	v_cndmask_b32_e32 v84, 0, v84, vcc_lo
	v_cmp_nlt_f32_e32 vcc_lo, 0x42b17218, v82
	s_wait_alu 0xfffd
	s_delay_alu instid0(VALU_DEP_2) | instskip(SKIP_3) | instid1(VALU_DEP_3)
	v_cndmask_b32_e32 v154, 0x7f800000, v84, vcc_lo
	v_fma_f32 v89, 0x3fb8aa3b, v57, -v87
	v_sub_f32_e32 v87, v87, v90
	v_cmp_ngt_f32_e64 s4, 0xc2ce8ed0, v57
	v_fmac_f32_e32 v89, 0x32a5705f, v57
	v_cmp_ngt_f32_e64 s3, 0xc2ce8ed0, v58
	s_delay_alu instid0(VALU_DEP_2) | instskip(SKIP_1) | instid1(VALU_DEP_2)
	v_add_f32_e32 v87, v87, v89
	s_wait_alu 0xf1ff
	v_cndmask_b32_e64 v82, 0, v83, s3
	v_cmp_nlt_f32_e64 s3, 0x42b17218, v58
	s_delay_alu instid0(VALU_DEP_3) | instskip(SKIP_1) | instid1(VALU_DEP_1)
	v_exp_f32_e32 v86, v87
	s_wait_alu 0xf1ff
	v_cndmask_b32_e64 v125, 0x7f800000, v82, s3
	s_delay_alu instid0(TRANS32_DEP_1) | instskip(NEXT) | instid1(VALU_DEP_1)
	v_ldexp_f32 v85, v86, v85
	v_cndmask_b32_e64 v58, 0, v85, s4
	v_cmp_nlt_f32_e64 s4, 0x42b17218, v57
	v_cndmask_b32_e64 v57, 0, v81, s5
	v_cmp_nlt_f32_e64 s5, 0x42b17218, v80
	v_cvt_f16_f32_e64 v81, v154
	s_wait_alu 0xf1ff
	v_cndmask_b32_e64 v143, 0x7f800000, v58, s4
	v_cvt_f16_f32_e32 v58, v125
	v_cndmask_b32_e64 v144, 0x7f800000, v57, s5
	s_delay_alu instid0(VALU_DEP_3) | instskip(NEXT) | instid1(VALU_DEP_2)
	v_cvt_f16_f32_e64 v80, v143
	v_cvt_f16_f32_e64 v57, v144
	s_delay_alu instid0(VALU_DEP_2) | instskip(SKIP_1) | instid1(VALU_DEP_3)
	v_pack_b32_f16 v58, v58, v80
	v_sub_f32_e32 v80, v157, v186
	v_pack_b32_f16 v57, v57, v81
	s_delay_alu instid0(VALU_DEP_2) | instskip(SKIP_1) | instid1(VALU_DEP_2)
	v_mul_f32_e32 v81, 0x3fb8aa3b, v80
	v_cmp_ngt_f32_e32 vcc_lo, 0xc2ce8ed0, v80
	v_fma_f32 v82, 0x3fb8aa3b, v80, -v81
	v_rndne_f32_e32 v83, v81
	s_delay_alu instid0(VALU_DEP_1) | instskip(SKIP_1) | instid1(VALU_DEP_2)
	v_dual_fmac_f32 v82, 0x32a5705f, v80 :: v_dual_sub_f32 v81, v81, v83
	v_cvt_i32_f32_e32 v83, v83
	v_dual_add_f32 v81, v81, v82 :: v_dual_mul_f32 v82, 0x3fb8aa3b, v56
	s_delay_alu instid0(VALU_DEP_1) | instskip(SKIP_1) | instid1(VALU_DEP_2)
	v_fma_f32 v84, 0x3fb8aa3b, v56, -v82
	v_rndne_f32_e32 v85, v82
	v_fmac_f32_e32 v84, 0x32a5705f, v56
	s_delay_alu instid0(VALU_DEP_2) | instskip(NEXT) | instid1(VALU_DEP_1)
	v_sub_f32_e32 v82, v82, v85
	v_add_f32_e32 v82, v82, v84
	v_exp_f32_e32 v81, v81
	s_delay_alu instid0(VALU_DEP_1) | instskip(NEXT) | instid1(TRANS32_DEP_2)
	v_exp_f32_e32 v82, v82
	v_ldexp_f32 v81, v81, v83
	v_cvt_i32_f32_e32 v83, v85
	s_wait_alu 0xfffd
	s_delay_alu instid0(VALU_DEP_2)
	v_cndmask_b32_e32 v81, 0, v81, vcc_lo
	s_delay_alu instid0(TRANS32_DEP_1) | instid1(VALU_DEP_2)
	v_ldexp_f32 v82, v82, v83
	v_cmp_ngt_f32_e64 s3, 0xc2ce8ed0, v56
	v_cmp_nlt_f32_e32 vcc_lo, 0x42b17218, v80
	s_wait_alu 0xf1ff
	s_delay_alu instid0(VALU_DEP_2) | instskip(SKIP_4) | instid1(VALU_DEP_2)
	v_cndmask_b32_e64 v80, 0, v82, s3
	v_cmp_nlt_f32_e64 s3, 0x42b17218, v56
	s_wait_alu 0xfffd
	v_cndmask_b32_e32 v159, 0x7f800000, v81, vcc_lo
	s_wait_alu 0xf1ff
	v_cndmask_b32_e64 v157, 0x7f800000, v80, s3
	s_delay_alu instid0(VALU_DEP_2) | instskip(NEXT) | instid1(VALU_DEP_2)
	v_cvt_f16_f32_e64 v80, v159
	v_cvt_f16_f32_e64 v56, v157
	s_delay_alu instid0(VALU_DEP_1) | instskip(SKIP_1) | instid1(VALU_DEP_1)
	v_pack_b32_f16 v56, v56, v80
	v_mul_f32_e32 v80, 0x3fb8aa3b, v55
	v_fma_f32 v81, 0x3fb8aa3b, v55, -v80
	v_rndne_f32_e32 v82, v80
	s_delay_alu instid0(VALU_DEP_1) | instskip(SKIP_1) | instid1(VALU_DEP_2)
	v_dual_fmac_f32 v81, 0x32a5705f, v55 :: v_dual_sub_f32 v80, v80, v82
	v_cvt_i32_f32_e32 v82, v82
	v_dual_add_f32 v80, v80, v81 :: v_dual_mul_f32 v81, 0x3fb8aa3b, v54
	v_cmp_ngt_f32_e32 vcc_lo, 0xc2ce8ed0, v55
	s_delay_alu instid0(VALU_DEP_2) | instskip(NEXT) | instid1(VALU_DEP_2)
	v_exp_f32_e32 v80, v80
	v_fma_f32 v83, 0x3fb8aa3b, v54, -v81
	v_rndne_f32_e32 v84, v81
	s_delay_alu instid0(VALU_DEP_1) | instskip(NEXT) | instid1(VALU_DEP_3)
	v_sub_f32_e32 v81, v81, v84
	v_fmac_f32_e32 v83, 0x32a5705f, v54
	v_cmp_ngt_f32_e64 s3, 0xc2ce8ed0, v54
	s_delay_alu instid0(TRANS32_DEP_1) | instskip(SKIP_2) | instid1(VALU_DEP_2)
	v_ldexp_f32 v80, v80, v82
	v_cvt_i32_f32_e32 v82, v84
	s_wait_alu 0xfffd
	v_dual_add_f32 v81, v81, v83 :: v_dual_cndmask_b32 v80, 0, v80
	v_cmp_nlt_f32_e32 vcc_lo, 0x42b17218, v55
	s_delay_alu instid0(VALU_DEP_2) | instskip(SKIP_1) | instid1(VALU_DEP_2)
	v_exp_f32_e32 v81, v81
	s_wait_alu 0xfffd
	v_cndmask_b32_e32 v161, 0x7f800000, v80, vcc_lo
	s_delay_alu instid0(TRANS32_DEP_1) | instskip(SKIP_1) | instid1(VALU_DEP_1)
	v_ldexp_f32 v81, v81, v82
	s_wait_alu 0xf1ff
	v_cndmask_b32_e64 v55, 0, v81, s3
	v_cmp_nlt_f32_e64 s3, 0x42b17218, v54
	s_wait_alu 0xf1ff
	s_delay_alu instid0(VALU_DEP_1) | instskip(SKIP_1) | instid1(VALU_DEP_2)
	v_cndmask_b32_e64 v160, 0x7f800000, v55, s3
	v_cvt_f16_f32_e64 v55, v161
	v_cvt_f16_f32_e64 v54, v160
	s_delay_alu instid0(VALU_DEP_1) | instskip(SKIP_1) | instid1(VALU_DEP_1)
	v_pack_b32_f16 v55, v54, v55
	v_sub_f32_e32 v54, v79, v186
	v_mul_f32_e32 v79, 0x3fb8aa3b, v54
	v_cmp_ngt_f32_e32 vcc_lo, 0xc2ce8ed0, v54
	s_delay_alu instid0(VALU_DEP_2) | instskip(SKIP_1) | instid1(VALU_DEP_1)
	v_fma_f32 v80, 0x3fb8aa3b, v54, -v79
	v_rndne_f32_e32 v81, v79
	v_dual_fmac_f32 v80, 0x32a5705f, v54 :: v_dual_sub_f32 v79, v79, v81
	s_delay_alu instid0(VALU_DEP_1) | instskip(SKIP_1) | instid1(VALU_DEP_2)
	v_add_f32_e32 v79, v79, v80
	v_cvt_i32_f32_e32 v80, v81
	v_exp_f32_e32 v79, v79
	s_delay_alu instid0(TRANS32_DEP_1) | instskip(SKIP_1) | instid1(VALU_DEP_1)
	v_ldexp_f32 v79, v79, v80
	s_wait_alu 0xfffd
	v_cndmask_b32_e32 v79, 0, v79, vcc_lo
	v_cmp_nlt_f32_e32 vcc_lo, 0x42b17218, v54
	s_wait_alu 0xfffd
	s_delay_alu instid0(VALU_DEP_2) | instskip(SKIP_2) | instid1(VALU_DEP_2)
	v_cndmask_b32_e32 v79, 0x7f800000, v79, vcc_lo
	v_cmp_le_f32_e32 vcc_lo, 0xc1a00000, v54
	s_wait_alu 0xfffd
	v_cndmask_b32_e32 v162, 0, v79, vcc_lo
	s_delay_alu instid0(VALU_DEP_1) | instskip(NEXT) | instid1(VALU_DEP_1)
	v_cvt_f16_f32_e64 v54, v162
	v_and_b32_e32 v54, 0xffff, v54
	s_delay_alu instid0(VALU_DEP_1) | instskip(NEXT) | instid1(VALU_DEP_1)
	v_mul_u32_u24_e32 v163, 0x10001, v54
	v_pk_mul_f16 v20, v20, v163
	v_pk_mul_f16 v21, v21, v163
	;; [unrolled: 1-line block ×8, first 2 shown]
	v_wmma_f16_16x16x16_f16 v[20:23], v[63:66], v[55:58], v[20:23]
	v_pk_mul_f16 v4, v4, v163
	v_pk_mul_f16 v5, v5, v163
	;; [unrolled: 1-line block ×3, first 2 shown]
	v_wmma_f16_16x16x16_f16 v[16:19], v[59:62], v[55:58], v[16:19]
	ds_load_b32 v59, v151 offset:128
	ds_load_b32 v60, v152 offset:128
	;; [unrolled: 1-line block ×8, first 2 shown]
	v_pk_mul_f16 v7, v7, v163
	v_pk_mul_f16 v0, v0, v163
	;; [unrolled: 1-line block ×13, first 2 shown]
	s_wait_dscnt 0x6
	v_perm_b32 v54, v60, v59, 0x5040100
	v_wmma_f16_16x16x16_f16 v[12:15], v[71:74], v[55:58], v[12:15]
	s_delay_alu instid0(VALU_DEP_3) | instskip(NEXT) | instid1(VALU_DEP_3)
	v_wmma_f16_16x16x16_f16 v[8:11], v[67:70], v[55:58], v[8:11]
	v_wmma_f16_16x16x16_f16 v[4:7], v[51:54], v[55:58], v[4:7]
	v_perm_b32 v51, v60, v59, 0x7060302
	v_sub_f32_e32 v60, v173, v186
	s_delay_alu instid0(VALU_DEP_2)
	v_wmma_f16_16x16x16_f16 v[0:3], v[48:51], v[55:58], v[0:3]
	v_add_nc_u32_e32 v48, 0xc00, v151
	v_add_nc_u32_e32 v50, 0xc00, v152
	v_add_nc_u32_e32 v58, 0x1000, v150
	ds_load_2addr_b32 v[48:49], v48 offset0:64 offset1:80
	ds_load_2addr_b32 v[52:53], v50 offset0:64 offset1:80
	;; [unrolled: 1-line block ×4, first 2 shown]
	v_cmp_ngt_f32_e64 s5, 0xc2ce8ed0, v60
	ds_load_2addr_b32 v[73:74], v58 offset0:84 offset1:100
	s_wait_dscnt 0x3
	v_perm_b32 v51, v52, v48, 0x7060302
	v_perm_b32 v55, v52, v48, 0x5040100
	s_wait_dscnt 0x1
	v_perm_b32 v50, v68, v56, 0x7060302
	v_perm_b32 v54, v68, v56, 0x5040100
	v_add_nc_u32_e32 v56, 0xc00, v150
	v_perm_b32 v59, v53, v49, 0x7060302
	v_perm_b32 v70, v53, v49, 0x5040100
	ds_load_2addr_b32 v[71:72], v56 offset0:168 offset1:184
	ds_load_2addr_b32 v[52:53], v56 offset0:200 offset1:220
	;; [unrolled: 1-line block ×5, first 2 shown]
	s_wait_dscnt 0x5
	v_perm_b32 v58, v73, v57, 0x7060302
	v_perm_b32 v69, v73, v57, 0x5040100
	;; [unrolled: 1-line block ×4, first 2 shown]
	v_mul_f32_e32 v74, 0x3fb8aa3b, v60
	s_wait_dscnt 0x3
	v_perm_b32 v49, v53, v71, 0x7060302
	s_wait_dscnt 0x2
	v_perm_b32 v57, v79, v72, 0x7060302
	v_perm_b32 v68, v79, v72, 0x5040100
	;; [unrolled: 1-line block ×4, first 2 shown]
	s_wait_dscnt 0x0
	v_perm_b32 v48, v85, v82, 0x7060302
	v_perm_b32 v52, v85, v82, 0x5040100
	ds_load_2addr_b32 v[85:86], v56 offset0:132 offset1:148
	v_fma_f32 v82, 0x3fb8aa3b, v60, -v74
	v_perm_b32 v53, v53, v71, 0x5040100
	s_delay_alu instid0(VALU_DEP_2)
	v_fmac_f32_e32 v82, 0x32a5705f, v60
	s_wait_dscnt 0x0
	v_perm_b32 v56, v85, v83, 0x7060302
	v_perm_b32 v67, v85, v83, 0x5040100
	v_rndne_f32_e32 v83, v74
	v_perm_b32 v71, v86, v84, 0x7060302
	v_perm_b32 v79, v86, v84, 0x5040100
	s_delay_alu instid0(VALU_DEP_3) | instskip(SKIP_1) | instid1(VALU_DEP_2)
	v_sub_f32_e32 v74, v74, v83
	v_cvt_i32_f32_e32 v83, v83
	v_add_f32_e32 v74, v74, v82
	v_sub_f32_e32 v82, v156, v186
	s_delay_alu instid0(VALU_DEP_2) | instskip(NEXT) | instid1(VALU_DEP_1)
	v_exp_f32_e32 v74, v74
	v_mul_f32_e32 v84, 0x3fb8aa3b, v82
	s_delay_alu instid0(VALU_DEP_1) | instskip(SKIP_1) | instid1(TRANS32_DEP_1)
	v_fma_f32 v85, 0x3fb8aa3b, v82, -v84
	v_rndne_f32_e32 v86, v84
	v_ldexp_f32 v74, v74, v83
	s_delay_alu instid0(VALU_DEP_3) | instskip(NEXT) | instid1(VALU_DEP_3)
	v_fmac_f32_e32 v85, 0x32a5705f, v82
	v_sub_f32_e32 v84, v84, v86
	v_cvt_i32_f32_e32 v86, v86
	s_wait_alu 0xf1ff
	v_cndmask_b32_e64 v74, 0, v74, s5
	v_cmp_nlt_f32_e64 s5, 0x42b17218, v60
	v_dual_add_f32 v84, v84, v85 :: v_dual_sub_f32 v85, v217, v186
	s_delay_alu instid0(VALU_DEP_1) | instskip(NEXT) | instid1(VALU_DEP_1)
	v_exp_f32_e32 v84, v84
	v_mul_f32_e32 v87, 0x3fb8aa3b, v85
	v_cmp_ngt_f32_e32 vcc_lo, 0xc2ce8ed0, v82
	v_cmp_ngt_f32_e64 s3, 0xc2ce8ed0, v85
	s_delay_alu instid0(VALU_DEP_3) | instskip(SKIP_1) | instid1(TRANS32_DEP_1)
	v_fma_f32 v88, 0x3fb8aa3b, v85, -v87
	v_rndne_f32_e32 v89, v87
	v_ldexp_f32 v84, v84, v86
	s_delay_alu instid0(VALU_DEP_3) | instskip(NEXT) | instid1(VALU_DEP_3)
	v_fmac_f32_e32 v88, 0x32a5705f, v85
	v_sub_f32_e32 v87, v87, v89
	v_cvt_i32_f32_e32 v83, v89
	s_wait_alu 0xfffd
	v_cndmask_b32_e32 v84, 0, v84, vcc_lo
	v_cmp_nlt_f32_e32 vcc_lo, 0x42b17218, v82
	v_dual_add_f32 v87, v87, v88 :: v_dual_sub_f32 v88, v204, v186
	s_delay_alu instid0(VALU_DEP_1) | instskip(NEXT) | instid1(VALU_DEP_1)
	v_exp_f32_e32 v87, v87
	v_mul_f32_e32 v90, 0x3fb8aa3b, v88
	v_cmp_ngt_f32_e64 s4, 0xc2ce8ed0, v88
	s_delay_alu instid0(VALU_DEP_2) | instskip(SKIP_1) | instid1(TRANS32_DEP_1)
	v_fma_f32 v132, 0x3fb8aa3b, v88, -v90
	v_rndne_f32_e32 v133, v90
	v_ldexp_f32 v83, v87, v83
	s_delay_alu instid0(VALU_DEP_3) | instskip(NEXT) | instid1(VALU_DEP_3)
	v_fmac_f32_e32 v132, 0x32a5705f, v88
	v_sub_f32_e32 v90, v90, v133
	v_cvt_i32_f32_e32 v86, v133
	s_wait_alu 0xf1ff
	v_cndmask_b32_e64 v82, 0, v83, s3
	v_cmp_nlt_f32_e64 s3, 0x42b17218, v85
	v_add_f32_e32 v90, v90, v132
	s_delay_alu instid0(VALU_DEP_1) | instskip(SKIP_2) | instid1(TRANS32_DEP_1)
	v_exp_f32_e32 v87, v90
	s_wait_alu 0xfffd
	v_cndmask_b32_e32 v90, 0x7f800000, v84, vcc_lo
	v_ldexp_f32 v86, v87, v86
	v_cndmask_b32_e64 v87, 0x7f800000, v74, s5
	s_delay_alu instid0(VALU_DEP_2) | instskip(SKIP_4) | instid1(VALU_DEP_3)
	v_cndmask_b32_e64 v83, 0, v86, s4
	v_cmp_nlt_f32_e64 s4, 0x42b17218, v88
	s_wait_alu 0xf1ff
	v_cndmask_b32_e64 v88, 0x7f800000, v82, s3
	v_cvt_f16_f32_e32 v60, v87
	v_cndmask_b32_e64 v89, 0x7f800000, v83, s4
	v_cvt_f16_f32_e32 v83, v90
	s_delay_alu instid0(VALU_DEP_4) | instskip(NEXT) | instid1(VALU_DEP_3)
	v_cvt_f16_f32_e32 v74, v88
	v_cvt_f16_f32_e32 v82, v89
	s_delay_alu instid0(VALU_DEP_3) | instskip(SKIP_1) | instid1(VALU_DEP_3)
	v_pack_b32_f16 v85, v60, v83
	v_sub_f32_e32 v60, v185, v186
	v_pack_b32_f16 v86, v74, v82
	s_delay_alu instid0(VALU_DEP_2) | instskip(SKIP_1) | instid1(VALU_DEP_2)
	v_mul_f32_e32 v74, 0x3fb8aa3b, v60
	v_cmp_ngt_f32_e32 vcc_lo, 0xc2ce8ed0, v60
	v_fma_f32 v82, 0x3fb8aa3b, v60, -v74
	v_rndne_f32_e32 v83, v74
	s_delay_alu instid0(VALU_DEP_2) | instskip(NEXT) | instid1(VALU_DEP_2)
	v_fmac_f32_e32 v82, 0x32a5705f, v60
	v_sub_f32_e32 v74, v74, v83
	v_cvt_i32_f32_e32 v83, v83
	s_delay_alu instid0(VALU_DEP_2) | instskip(SKIP_1) | instid1(VALU_DEP_2)
	v_add_f32_e32 v74, v74, v82
	v_sub_f32_e32 v82, v131, v186
	v_exp_f32_e32 v74, v74
	s_delay_alu instid0(VALU_DEP_1) | instskip(SKIP_1) | instid1(VALU_DEP_2)
	v_mul_f32_e32 v84, 0x3fb8aa3b, v82
	v_cmp_ngt_f32_e64 s3, 0xc2ce8ed0, v82
	v_fma_f32 v131, 0x3fb8aa3b, v82, -v84
	v_rndne_f32_e32 v132, v84
	s_delay_alu instid0(TRANS32_DEP_1) | instskip(NEXT) | instid1(VALU_DEP_2)
	v_ldexp_f32 v74, v74, v83
	v_dual_fmac_f32 v131, 0x32a5705f, v82 :: v_dual_sub_f32 v84, v84, v132
	v_cvt_i32_f32_e32 v83, v132
	s_wait_alu 0xfffd
	s_delay_alu instid0(VALU_DEP_3) | instskip(SKIP_3) | instid1(VALU_DEP_3)
	v_cndmask_b32_e32 v74, 0, v74, vcc_lo
	v_cmp_nlt_f32_e32 vcc_lo, 0x42b17218, v60
	v_add_f32_e32 v84, v84, v131
	s_wait_alu 0xfffd
	v_cndmask_b32_e32 v132, 0x7f800000, v74, vcc_lo
	s_delay_alu instid0(VALU_DEP_2) | instskip(NEXT) | instid1(VALU_DEP_1)
	v_exp_f32_e32 v84, v84
	v_cvt_f16_f32_e64 v74, v132
	s_delay_alu instid0(TRANS32_DEP_1) | instskip(SKIP_1) | instid1(VALU_DEP_1)
	v_ldexp_f32 v83, v84, v83
	s_wait_alu 0xf1ff
	v_cndmask_b32_e64 v60, 0, v83, s3
	v_cmp_nlt_f32_e64 s3, 0x42b17218, v82
	s_wait_alu 0xf1ff
	s_delay_alu instid0(VALU_DEP_1) | instskip(NEXT) | instid1(VALU_DEP_1)
	v_cndmask_b32_e64 v131, 0x7f800000, v60, s3
	v_cvt_f16_f32_e64 v60, v131
	s_delay_alu instid0(VALU_DEP_1) | instskip(SKIP_1) | instid1(VALU_DEP_1)
	v_pack_b32_f16 v84, v60, v74
	v_sub_f32_e32 v60, v130, v186
	v_mul_f32_e32 v74, 0x3fb8aa3b, v60
	v_cmp_ngt_f32_e32 vcc_lo, 0xc2ce8ed0, v60
	s_delay_alu instid0(VALU_DEP_2) | instskip(SKIP_1) | instid1(VALU_DEP_2)
	v_fma_f32 v82, 0x3fb8aa3b, v60, -v74
	v_rndne_f32_e32 v83, v74
	v_fmac_f32_e32 v82, 0x32a5705f, v60
	s_delay_alu instid0(VALU_DEP_2) | instskip(SKIP_1) | instid1(VALU_DEP_2)
	v_sub_f32_e32 v74, v74, v83
	v_cvt_i32_f32_e32 v83, v83
	v_add_f32_e32 v74, v74, v82
	v_sub_f32_e32 v82, v129, v186
	s_delay_alu instid0(VALU_DEP_2) | instskip(NEXT) | instid1(VALU_DEP_1)
	v_exp_f32_e32 v74, v74
	v_mul_f32_e32 v129, 0x3fb8aa3b, v82
	v_cmp_ngt_f32_e64 s3, 0xc2ce8ed0, v82
	s_delay_alu instid0(VALU_DEP_2) | instskip(SKIP_1) | instid1(TRANS32_DEP_1)
	v_fma_f32 v130, 0x3fb8aa3b, v82, -v129
	v_rndne_f32_e32 v133, v129
	v_ldexp_f32 v74, v74, v83
	s_delay_alu instid0(VALU_DEP_2) | instskip(SKIP_2) | instid1(VALU_DEP_3)
	v_dual_fmac_f32 v130, 0x32a5705f, v82 :: v_dual_sub_f32 v129, v129, v133
	v_cvt_i32_f32_e32 v83, v133
	s_wait_alu 0xfffd
	v_cndmask_b32_e32 v74, 0, v74, vcc_lo
	v_cmp_nlt_f32_e32 vcc_lo, 0x42b17218, v60
	v_add_f32_e32 v129, v129, v130
	s_wait_alu 0xfffd
	s_delay_alu instid0(VALU_DEP_3) | instskip(NEXT) | instid1(VALU_DEP_2)
	v_cndmask_b32_e32 v130, 0x7f800000, v74, vcc_lo
	v_exp_f32_e32 v129, v129
	s_delay_alu instid0(VALU_DEP_1) | instskip(NEXT) | instid1(TRANS32_DEP_1)
	v_cvt_f16_f32_e64 v74, v130
	v_ldexp_f32 v83, v129, v83
	s_wait_alu 0xf1ff
	s_delay_alu instid0(VALU_DEP_1) | instskip(SKIP_3) | instid1(VALU_DEP_2)
	v_cndmask_b32_e64 v60, 0, v83, s3
	v_cmp_nlt_f32_e64 s3, 0x42b17218, v82
	v_perm_b32 v82, v62, v61, 0x5040100
	s_wait_alu 0xf1ff
	v_cndmask_b32_e64 v129, 0x7f800000, v60, s3
	s_delay_alu instid0(VALU_DEP_1) | instskip(NEXT) | instid1(VALU_DEP_1)
	v_cvt_f16_f32_e64 v60, v129
	v_pack_b32_f16 v83, v60, v74
	v_perm_b32 v74, v62, v61, 0x7060302
	s_delay_alu instid0(VALU_DEP_2)
	v_wmma_f16_16x16x16_f16 v[16:19], v[48:51], v[83:86], v[16:19]
	v_add_nc_u32_e32 v48, 0x1800, v151
	v_add_nc_u32_e32 v50, 0x1800, v152
	v_wmma_f16_16x16x16_f16 v[12:15], v[67:70], v[83:86], v[12:15]
	v_add_nc_u32_e32 v67, 0x1c00, v150
	v_wmma_f16_16x16x16_f16 v[20:23], v[52:55], v[83:86], v[20:23]
	v_wmma_f16_16x16x16_f16 v[8:11], v[56:59], v[83:86], v[8:11]
	ds_load_2addr_b32 v[48:49], v48 offset0:128 offset1:144
	ds_load_2addr_b32 v[52:53], v50 offset0:128 offset1:144
	;; [unrolled: 1-line block ×4, first 2 shown]
	v_wmma_f16_16x16x16_f16 v[4:7], v[79:82], v[83:86], v[4:7]
	v_wmma_f16_16x16x16_f16 v[0:3], v[71:74], v[83:86], v[0:3]
	ds_load_2addr_b32 v[71:72], v67 offset0:148 offset1:164
	s_wait_dscnt 0x3
	v_perm_b32 v51, v52, v48, 0x7060302
	v_perm_b32 v55, v52, v48, 0x5040100
	s_wait_dscnt 0x1
	v_perm_b32 v50, v61, v56, 0x7060302
	v_perm_b32 v54, v61, v56, 0x5040100
	v_add_nc_u32_e32 v56, 0x1800, v150
	v_perm_b32 v59, v53, v49, 0x7060302
	v_perm_b32 v70, v53, v49, 0x5040100
	ds_load_2addr_b32 v[61:62], v56 offset0:232 offset1:248
	ds_load_2addr_b32 v[52:53], v67 offset0:8 offset1:28
	;; [unrolled: 1-line block ×5, first 2 shown]
	s_wait_dscnt 0x5
	v_perm_b32 v58, v71, v57, 0x7060302
	v_perm_b32 v69, v71, v57, 0x5040100
	s_wait_dscnt 0x3
	v_perm_b32 v49, v53, v61, 0x7060302
	v_perm_b32 v53, v53, v61, 0x5040100
	;; [unrolled: 3-line block ×3, first 2 shown]
	v_perm_b32 v61, v74, v52, 0x7060302
	v_perm_b32 v62, v72, v60, 0x7060302
	v_perm_b32 v73, v72, v60, 0x5040100
	v_perm_b32 v72, v74, v52, 0x5040100
	s_wait_dscnt 0x0
	v_perm_b32 v48, v82, v79, 0x7060302
	v_perm_b32 v52, v82, v79, 0x5040100
	ds_load_2addr_b32 v[82:83], v56 offset0:196 offset1:212
	v_sub_f32_e32 v74, v128, v186
	s_delay_alu instid0(VALU_DEP_1)
	v_mul_f32_e32 v79, 0x3fb8aa3b, v74
	v_cmp_ngt_f32_e64 s5, 0xc2ce8ed0, v74
	s_wait_dscnt 0x0
	v_perm_b32 v56, v82, v80, 0x7060302
	v_perm_b32 v67, v82, v80, 0x5040100
	;; [unrolled: 1-line block ×4, first 2 shown]
	v_fma_f32 v80, 0x3fb8aa3b, v74, -v79
	v_rndne_f32_e32 v81, v79
	s_delay_alu instid0(VALU_DEP_1) | instskip(SKIP_1) | instid1(VALU_DEP_2)
	v_dual_fmac_f32 v80, 0x32a5705f, v74 :: v_dual_sub_f32 v79, v79, v81
	v_cvt_i32_f32_e32 v81, v81
	v_add_f32_e32 v79, v79, v80
	v_sub_f32_e32 v80, v127, v186
	s_delay_alu instid0(VALU_DEP_2) | instskip(NEXT) | instid1(VALU_DEP_1)
	v_exp_f32_e32 v79, v79
	v_mul_f32_e32 v82, 0x3fb8aa3b, v80
	v_cmp_ngt_f32_e32 vcc_lo, 0xc2ce8ed0, v80
	s_delay_alu instid0(VALU_DEP_2) | instskip(SKIP_1) | instid1(TRANS32_DEP_1)
	v_fma_f32 v83, 0x3fb8aa3b, v80, -v82
	v_rndne_f32_e32 v84, v82
	v_ldexp_f32 v79, v79, v81
	s_delay_alu instid0(VALU_DEP_3) | instskip(NEXT) | instid1(VALU_DEP_3)
	v_fmac_f32_e32 v83, 0x32a5705f, v80
	v_sub_f32_e32 v82, v82, v84
	v_cvt_i32_f32_e32 v84, v84
	s_wait_alu 0xf1ff
	v_cndmask_b32_e64 v79, 0, v79, s5
	v_cmp_nlt_f32_e64 s5, 0x42b17218, v74
	v_add_f32_e32 v82, v82, v83
	v_sub_f32_e32 v83, v126, v186
	s_delay_alu instid0(VALU_DEP_2) | instskip(NEXT) | instid1(VALU_DEP_1)
	v_exp_f32_e32 v82, v82
	v_mul_f32_e32 v85, 0x3fb8aa3b, v83
	v_cmp_ngt_f32_e64 s3, 0xc2ce8ed0, v83
	s_delay_alu instid0(VALU_DEP_2) | instskip(SKIP_1) | instid1(TRANS32_DEP_1)
	v_fma_f32 v86, 0x3fb8aa3b, v83, -v85
	v_rndne_f32_e32 v126, v85
	v_ldexp_f32 v82, v82, v84
	s_delay_alu instid0(VALU_DEP_2) | instskip(SKIP_2) | instid1(VALU_DEP_3)
	v_dual_fmac_f32 v86, 0x32a5705f, v83 :: v_dual_sub_f32 v85, v85, v126
	v_cvt_i32_f32_e32 v81, v126
	s_wait_alu 0xfffd
	v_cndmask_b32_e32 v82, 0, v82, vcc_lo
	v_cmp_nlt_f32_e32 vcc_lo, 0x42b17218, v80
	v_add_f32_e32 v85, v85, v86
	v_sub_f32_e32 v86, v238, v186
	s_delay_alu instid0(VALU_DEP_2) | instskip(NEXT) | instid1(VALU_DEP_1)
	v_exp_f32_e32 v85, v85
	v_mul_f32_e32 v127, 0x3fb8aa3b, v86
	v_cmp_ngt_f32_e64 s4, 0xc2ce8ed0, v86
	s_delay_alu instid0(VALU_DEP_2) | instskip(SKIP_1) | instid1(TRANS32_DEP_1)
	v_fma_f32 v128, 0x3fb8aa3b, v86, -v127
	v_rndne_f32_e32 v133, v127
	v_ldexp_f32 v81, v85, v81
	s_delay_alu instid0(VALU_DEP_2) | instskip(SKIP_2) | instid1(VALU_DEP_3)
	v_dual_fmac_f32 v128, 0x32a5705f, v86 :: v_dual_sub_f32 v127, v127, v133
	v_cvt_i32_f32_e32 v84, v133
	s_wait_alu 0xf1ff
	v_cndmask_b32_e64 v80, 0, v81, s3
	v_cmp_nlt_f32_e64 s3, 0x42b17218, v83
	v_add_f32_e32 v127, v127, v128
	v_cndmask_b32_e64 v83, 0x7f800000, v79, s5
	s_delay_alu instid0(VALU_DEP_2) | instskip(NEXT) | instid1(VALU_DEP_1)
	v_exp_f32_e32 v85, v127
	v_cvt_f16_f32_e32 v74, v83
	s_delay_alu instid0(TRANS32_DEP_1) | instskip(NEXT) | instid1(VALU_DEP_1)
	v_ldexp_f32 v84, v85, v84
	v_cndmask_b32_e64 v81, 0, v84, s4
	v_cmp_nlt_f32_e64 s4, 0x42b17218, v86
	s_wait_alu 0xfffd
	v_cndmask_b32_e32 v86, 0x7f800000, v82, vcc_lo
	s_wait_alu 0xf1ff
	v_cndmask_b32_e64 v84, 0x7f800000, v80, s3
	v_cndmask_b32_e64 v85, 0x7f800000, v81, s4
	s_delay_alu instid0(VALU_DEP_3) | instskip(NEXT) | instid1(VALU_DEP_3)
	v_cvt_f16_f32_e32 v81, v86
	v_cvt_f16_f32_e32 v79, v84
	s_delay_alu instid0(VALU_DEP_3) | instskip(NEXT) | instid1(VALU_DEP_3)
	v_cvt_f16_f32_e32 v80, v85
	v_pack_b32_f16 v81, v74, v81
	v_sub_f32_e32 v74, v237, v186
	s_delay_alu instid0(VALU_DEP_3) | instskip(NEXT) | instid1(VALU_DEP_2)
	v_pack_b32_f16 v82, v79, v80
	v_mul_f32_e32 v79, 0x3fb8aa3b, v74
	v_cmp_ngt_f32_e32 vcc_lo, 0xc2ce8ed0, v74
	s_delay_alu instid0(VALU_DEP_2) | instskip(SKIP_1) | instid1(VALU_DEP_2)
	v_fma_f32 v80, 0x3fb8aa3b, v74, -v79
	v_rndne_f32_e32 v126, v79
	v_fmac_f32_e32 v80, 0x32a5705f, v74
	s_delay_alu instid0(VALU_DEP_2) | instskip(SKIP_1) | instid1(VALU_DEP_2)
	v_sub_f32_e32 v79, v79, v126
	v_cvt_i32_f32_e32 v126, v126
	v_dual_add_f32 v79, v79, v80 :: v_dual_sub_f32 v80, v236, v186
	s_delay_alu instid0(VALU_DEP_1) | instskip(NEXT) | instid1(VALU_DEP_1)
	v_exp_f32_e32 v79, v79
	v_mul_f32_e32 v127, 0x3fb8aa3b, v80
	v_cmp_ngt_f32_e64 s3, 0xc2ce8ed0, v80
	s_delay_alu instid0(VALU_DEP_2) | instskip(SKIP_1) | instid1(TRANS32_DEP_1)
	v_fma_f32 v128, 0x3fb8aa3b, v80, -v127
	v_rndne_f32_e32 v133, v127
	v_ldexp_f32 v79, v79, v126
	s_delay_alu instid0(VALU_DEP_2) | instskip(SKIP_2) | instid1(VALU_DEP_3)
	v_dual_fmac_f32 v128, 0x32a5705f, v80 :: v_dual_sub_f32 v127, v127, v133
	v_cvt_i32_f32_e32 v126, v133
	s_wait_alu 0xfffd
	v_cndmask_b32_e32 v79, 0, v79, vcc_lo
	v_cmp_nlt_f32_e32 vcc_lo, 0x42b17218, v74
	v_add_f32_e32 v127, v127, v128
	s_delay_alu instid0(VALU_DEP_1) | instskip(NEXT) | instid1(TRANS32_DEP_1)
	v_exp_f32_e32 v127, v127
	v_ldexp_f32 v126, v127, v126
	s_wait_alu 0xfffd
	v_cndmask_b32_e32 v127, 0x7f800000, v79, vcc_lo
	s_wait_alu 0xf1ff
	s_delay_alu instid0(VALU_DEP_2) | instskip(SKIP_1) | instid1(VALU_DEP_3)
	v_cndmask_b32_e64 v74, 0, v126, s3
	v_cmp_nlt_f32_e64 s3, 0x42b17218, v80
	v_cvt_f16_f32_e32 v79, v127
	s_wait_alu 0xf1ff
	s_delay_alu instid0(VALU_DEP_2) | instskip(NEXT) | instid1(VALU_DEP_1)
	v_cndmask_b32_e64 v126, 0x7f800000, v74, s3
	v_cvt_f16_f32_e32 v74, v126
	s_delay_alu instid0(VALU_DEP_1) | instskip(SKIP_1) | instid1(VALU_DEP_1)
	v_pack_b32_f16 v80, v74, v79
	v_sub_f32_e32 v74, v235, v186
	v_mul_f32_e32 v79, 0x3fb8aa3b, v74
	v_cmp_ngt_f32_e32 vcc_lo, 0xc2ce8ed0, v74
	s_delay_alu instid0(VALU_DEP_2) | instskip(SKIP_1) | instid1(VALU_DEP_1)
	v_fma_f32 v128, 0x3fb8aa3b, v74, -v79
	v_rndne_f32_e32 v133, v79
	v_dual_fmac_f32 v128, 0x32a5705f, v74 :: v_dual_sub_f32 v79, v79, v133
	v_cvt_i32_f32_e32 v133, v133
	s_delay_alu instid0(VALU_DEP_2) | instskip(NEXT) | instid1(VALU_DEP_1)
	v_dual_add_f32 v79, v79, v128 :: v_dual_sub_f32 v128, v234, v186
	v_exp_f32_e32 v79, v79
	s_delay_alu instid0(VALU_DEP_1) | instskip(SKIP_1) | instid1(VALU_DEP_2)
	v_mul_f32_e32 v134, 0x3fb8aa3b, v128
	v_cmp_ngt_f32_e64 s3, 0xc2ce8ed0, v128
	v_fma_f32 v135, 0x3fb8aa3b, v128, -v134
	v_rndne_f32_e32 v156, v134
	s_delay_alu instid0(TRANS32_DEP_1) | instskip(NEXT) | instid1(VALU_DEP_3)
	v_ldexp_f32 v79, v79, v133
	v_fmac_f32_e32 v135, 0x32a5705f, v128
	s_delay_alu instid0(VALU_DEP_3)
	v_sub_f32_e32 v134, v134, v156
	v_cvt_i32_f32_e32 v133, v156
	s_wait_alu 0xfffd
	v_cndmask_b32_e32 v79, 0, v79, vcc_lo
	v_cmp_nlt_f32_e32 vcc_lo, 0x42b17218, v74
	v_add_f32_e32 v134, v134, v135
	s_delay_alu instid0(VALU_DEP_1) | instskip(NEXT) | instid1(TRANS32_DEP_1)
	v_exp_f32_e32 v134, v134
	v_ldexp_f32 v133, v134, v133
	s_wait_alu 0xf1ff
	s_delay_alu instid0(VALU_DEP_1) | instskip(SKIP_4) | instid1(VALU_DEP_2)
	v_cndmask_b32_e64 v74, 0, v133, s3
	v_cmp_nlt_f32_e64 s3, 0x42b17218, v128
	s_wait_alu 0xfffd
	v_cndmask_b32_e32 v133, 0x7f800000, v79, vcc_lo
	s_wait_alu 0xf1ff
	v_cndmask_b32_e64 v128, 0x7f800000, v74, s3
	s_delay_alu instid0(VALU_DEP_2) | instskip(NEXT) | instid1(VALU_DEP_2)
	v_cvt_f16_f32_e64 v79, v133
	v_cvt_f16_f32_e64 v74, v128
	s_delay_alu instid0(VALU_DEP_1) | instskip(SKIP_3) | instid1(VALU_DEP_4)
	v_pack_b32_f16 v79, v74, v79
	v_perm_b32 v74, v64, v63, 0x5040100
	v_perm_b32 v63, v64, v63, 0x7060302
	v_add_nc_u32_e32 v64, 0x2800, v150
	v_wmma_f16_16x16x16_f16 v[16:19], v[48:51], v[79:82], v[16:19]
	v_add_nc_u32_e32 v48, 0x2400, v151
	v_add_nc_u32_e32 v50, 0x2400, v152
	v_wmma_f16_16x16x16_f16 v[20:23], v[52:55], v[79:82], v[20:23]
	v_wmma_f16_16x16x16_f16 v[8:11], v[56:59], v[79:82], v[8:11]
	v_wmma_f16_16x16x16_f16 v[0:3], v[60:63], v[79:82], v[0:3]
	ds_load_2addr_b32 v[48:49], v48 offset0:192 offset1:208
	ds_load_2addr_b32 v[52:53], v50 offset0:192 offset1:208
	ds_load_2addr_b32 v[56:57], v64 offset0:144 offset1:160
	ds_load_2addr_b32 v[60:61], v64 offset0:176 offset1:196
	v_wmma_f16_16x16x16_f16 v[12:15], v[67:70], v[79:82], v[12:15]
	v_wmma_f16_16x16x16_f16 v[4:7], v[71:74], v[79:82], v[4:7]
	ds_load_2addr_b32 v[69:70], v64 offset0:212 offset1:228
	s_wait_dscnt 0x3
	v_perm_b32 v51, v52, v48, 0x7060302
	v_perm_b32 v55, v52, v48, 0x5040100
	;; [unrolled: 1-line block ×4, first 2 shown]
	ds_load_2addr_b32 v[67:68], v64 offset0:40 offset1:56
	ds_load_2addr_b32 v[52:53], v64 offset0:72 offset1:92
	;; [unrolled: 1-line block ×3, first 2 shown]
	v_add_nc_u32_e32 v48, 0x2400, v150
	s_wait_dscnt 0x4
	v_perm_b32 v50, v61, v56, 0x7060302
	v_perm_b32 v54, v61, v56, 0x5040100
	s_wait_dscnt 0x3
	v_perm_b32 v58, v69, v57, 0x7060302
	v_perm_b32 v62, v69, v57, 0x5040100
	;; [unrolled: 1-line block ×3, first 2 shown]
	s_wait_dscnt 0x1
	v_perm_b32 v49, v53, v67, 0x7060302
	s_wait_dscnt 0x0
	v_perm_b32 v57, v72, v68, 0x7060302
	v_perm_b32 v61, v72, v68, 0x5040100
	;; [unrolled: 1-line block ×4, first 2 shown]
	ds_load_2addr_b32 v[73:74], v48 offset0:192 offset1:208
	ds_load_2addr_b32 v[79:80], v48 offset0:224 offset1:244
	v_perm_b32 v53, v53, v67, 0x5040100
	v_perm_b32 v72, v70, v60, 0x5040100
	s_wait_dscnt 0x0
	v_perm_b32 v48, v80, v73, 0x7060302
	v_perm_b32 v52, v80, v73, 0x5040100
	ds_load_2addr_b32 v[80:81], v64 offset0:4 offset1:20
	v_sub_f32_e32 v64, v233, v186
	s_wait_loadcnt_dscnt 0x0
	s_barrier_signal -1
	s_barrier_wait -1
	global_inv scope:SCOPE_SE
	v_mul_f32_e32 v73, 0x3fb8aa3b, v64
	v_cmp_ngt_f32_e64 s5, 0xc2ce8ed0, v64
	v_perm_b32 v56, v80, v74, 0x7060302
	v_perm_b32 v60, v80, v74, 0x5040100
	;; [unrolled: 1-line block ×4, first 2 shown]
	v_fma_f32 v74, 0x3fb8aa3b, v64, -v73
	v_rndne_f32_e32 v79, v73
	s_delay_alu instid0(VALU_DEP_1) | instskip(SKIP_1) | instid1(VALU_DEP_2)
	v_dual_fmac_f32 v74, 0x32a5705f, v64 :: v_dual_sub_f32 v73, v73, v79
	v_cvt_i32_f32_e32 v79, v79
	v_add_f32_e32 v73, v73, v74
	v_sub_f32_e32 v74, v232, v186
	s_delay_alu instid0(VALU_DEP_2) | instskip(NEXT) | instid1(VALU_DEP_1)
	v_exp_f32_e32 v73, v73
	v_mul_f32_e32 v80, 0x3fb8aa3b, v74
	v_cmp_ngt_f32_e32 vcc_lo, 0xc2ce8ed0, v74
	s_delay_alu instid0(VALU_DEP_2) | instskip(SKIP_1) | instid1(TRANS32_DEP_1)
	v_fma_f32 v81, 0x3fb8aa3b, v74, -v80
	v_rndne_f32_e32 v82, v80
	v_ldexp_f32 v73, v73, v79
	s_delay_alu instid0(VALU_DEP_3) | instskip(NEXT) | instid1(VALU_DEP_3)
	v_fmac_f32_e32 v81, 0x32a5705f, v74
	v_sub_f32_e32 v80, v80, v82
	v_cvt_i32_f32_e32 v82, v82
	s_wait_alu 0xf1ff
	v_cndmask_b32_e64 v73, 0, v73, s5
	v_cmp_nlt_f32_e64 s5, 0x42b17218, v64
	v_dual_add_f32 v80, v80, v81 :: v_dual_sub_f32 v81, v231, v186
	s_wait_alu 0xf1ff
	s_delay_alu instid0(VALU_DEP_2) | instskip(NEXT) | instid1(VALU_DEP_2)
	v_cndmask_b32_e64 v64, 0x7f800000, v73, s5
	v_exp_f32_e32 v80, v80
	s_delay_alu instid0(VALU_DEP_2) | instskip(SKIP_1) | instid1(VALU_DEP_3)
	v_mul_f32_e32 v134, 0x3fb8aa3b, v81
	v_cmp_ngt_f32_e64 s3, 0xc2ce8ed0, v81
	v_cvt_f16_f32_e32 v73, v64
	s_delay_alu instid0(VALU_DEP_3) | instskip(SKIP_1) | instid1(TRANS32_DEP_1)
	v_fma_f32 v135, 0x3fb8aa3b, v81, -v134
	v_rndne_f32_e32 v156, v134
	v_ldexp_f32 v80, v80, v82
	s_delay_alu instid0(VALU_DEP_2) | instskip(SKIP_2) | instid1(VALU_DEP_3)
	v_dual_fmac_f32 v135, 0x32a5705f, v81 :: v_dual_sub_f32 v134, v134, v156
	v_cvt_i32_f32_e32 v79, v156
	s_wait_alu 0xfffd
	v_cndmask_b32_e32 v80, 0, v80, vcc_lo
	v_cmp_nlt_f32_e32 vcc_lo, 0x42b17218, v74
	v_add_f32_e32 v134, v134, v135
	v_sub_f32_e32 v135, v230, v186
	s_delay_alu instid0(VALU_DEP_2) | instskip(NEXT) | instid1(VALU_DEP_1)
	v_exp_f32_e32 v134, v134
	v_mul_f32_e32 v163, 0x3fb8aa3b, v135
	v_cmp_ngt_f32_e64 s4, 0xc2ce8ed0, v135
	s_delay_alu instid0(VALU_DEP_2) | instskip(SKIP_1) | instid1(TRANS32_DEP_1)
	v_fma_f32 v164, 0x3fb8aa3b, v135, -v163
	v_rndne_f32_e32 v165, v163
	v_ldexp_f32 v79, v134, v79
	s_delay_alu instid0(VALU_DEP_2) | instskip(SKIP_2) | instid1(VALU_DEP_3)
	v_dual_fmac_f32 v164, 0x32a5705f, v135 :: v_dual_sub_f32 v163, v163, v165
	v_cvt_i32_f32_e32 v82, v165
	s_wait_alu 0xf1ff
	v_cndmask_b32_e64 v74, 0, v79, s3
	v_cmp_nlt_f32_e64 s3, 0x42b17218, v81
	v_add_f32_e32 v163, v163, v164
	s_wait_alu 0xf1ff
	s_delay_alu instid0(VALU_DEP_2) | instskip(NEXT) | instid1(VALU_DEP_2)
	v_cndmask_b32_e64 v74, 0x7f800000, v74, s3
	v_exp_f32_e32 v134, v163
	s_delay_alu instid0(TRANS32_DEP_1) | instskip(NEXT) | instid1(VALU_DEP_1)
	v_ldexp_f32 v82, v134, v82
	v_cndmask_b32_e64 v79, 0, v82, s4
	v_cmp_nlt_f32_e64 s4, 0x42b17218, v135
	s_wait_alu 0xfffd
	v_cndmask_b32_e32 v135, 0x7f800000, v80, vcc_lo
	s_wait_alu 0xf1ff
	s_delay_alu instid0(VALU_DEP_2) | instskip(NEXT) | instid1(VALU_DEP_2)
	v_cndmask_b32_e64 v134, 0x7f800000, v79, s4
	v_cvt_f16_f32_e64 v81, v135
	v_cvt_f16_f32_e32 v79, v74
	s_delay_alu instid0(VALU_DEP_3) | instskip(NEXT) | instid1(VALU_DEP_3)
	v_cvt_f16_f32_e64 v80, v134
	v_pack_b32_f16 v81, v73, v81
	v_sub_f32_e32 v73, v228, v186
	s_delay_alu instid0(VALU_DEP_3) | instskip(NEXT) | instid1(VALU_DEP_2)
	v_pack_b32_f16 v82, v79, v80
	v_mul_f32_e32 v79, 0x3fb8aa3b, v73
	v_cmp_ngt_f32_e32 vcc_lo, 0xc2ce8ed0, v73
	s_delay_alu instid0(VALU_DEP_2) | instskip(SKIP_1) | instid1(VALU_DEP_1)
	v_fma_f32 v80, 0x3fb8aa3b, v73, -v79
	v_rndne_f32_e32 v156, v79
	v_dual_fmac_f32 v80, 0x32a5705f, v73 :: v_dual_sub_f32 v79, v79, v156
	v_cvt_i32_f32_e32 v156, v156
	s_delay_alu instid0(VALU_DEP_2) | instskip(NEXT) | instid1(VALU_DEP_1)
	v_dual_add_f32 v79, v79, v80 :: v_dual_sub_f32 v80, v226, v186
	v_exp_f32_e32 v79, v79
	s_delay_alu instid0(VALU_DEP_1) | instskip(SKIP_1) | instid1(VALU_DEP_2)
	v_mul_f32_e32 v163, 0x3fb8aa3b, v80
	v_cmp_ngt_f32_e64 s3, 0xc2ce8ed0, v80
	v_fma_f32 v164, 0x3fb8aa3b, v80, -v163
	v_rndne_f32_e32 v165, v163
	s_delay_alu instid0(TRANS32_DEP_1) | instskip(NEXT) | instid1(VALU_DEP_2)
	v_ldexp_f32 v79, v79, v156
	v_dual_fmac_f32 v164, 0x32a5705f, v80 :: v_dual_sub_f32 v163, v163, v165
	v_cvt_i32_f32_e32 v156, v165
	s_wait_alu 0xfffd
	s_delay_alu instid0(VALU_DEP_3) | instskip(SKIP_2) | instid1(VALU_DEP_1)
	v_cndmask_b32_e32 v79, 0, v79, vcc_lo
	v_cmp_nlt_f32_e32 vcc_lo, 0x42b17218, v73
	v_add_f32_e32 v163, v163, v164
	v_exp_f32_e32 v163, v163
	s_delay_alu instid0(TRANS32_DEP_1) | instskip(SKIP_3) | instid1(VALU_DEP_2)
	v_ldexp_f32 v156, v163, v156
	s_wait_alu 0xfffd
	v_cndmask_b32_e32 v163, 0x7f800000, v79, vcc_lo
	s_wait_alu 0xf1ff
	v_cndmask_b32_e64 v73, 0, v156, s3
	v_cmp_nlt_f32_e64 s3, 0x42b17218, v80
	s_delay_alu instid0(VALU_DEP_3) | instskip(SKIP_1) | instid1(VALU_DEP_2)
	v_cvt_f16_f32_e64 v79, v163
	s_wait_alu 0xf1ff
	v_cndmask_b32_e64 v156, 0x7f800000, v73, s3
	s_delay_alu instid0(VALU_DEP_1) | instskip(NEXT) | instid1(VALU_DEP_1)
	v_cvt_f16_f32_e64 v73, v156
	v_pack_b32_f16 v80, v73, v79
	v_sub_f32_e32 v73, v224, v186
	s_delay_alu instid0(VALU_DEP_1) | instskip(SKIP_1) | instid1(VALU_DEP_2)
	v_mul_f32_e32 v79, 0x3fb8aa3b, v73
	v_cmp_ngt_f32_e32 vcc_lo, 0xc2ce8ed0, v73
	v_fma_f32 v164, 0x3fb8aa3b, v73, -v79
	v_rndne_f32_e32 v165, v79
	s_delay_alu instid0(VALU_DEP_2) | instskip(NEXT) | instid1(VALU_DEP_2)
	v_fmac_f32_e32 v164, 0x32a5705f, v73
	v_sub_f32_e32 v79, v79, v165
	v_cvt_i32_f32_e32 v165, v165
	s_delay_alu instid0(VALU_DEP_2) | instskip(NEXT) | instid1(VALU_DEP_1)
	v_dual_add_f32 v79, v79, v164 :: v_dual_sub_f32 v164, v222, v186
	v_exp_f32_e32 v79, v79
	s_delay_alu instid0(VALU_DEP_1) | instskip(SKIP_1) | instid1(VALU_DEP_2)
	v_mul_f32_e32 v166, 0x3fb8aa3b, v164
	v_cmp_ngt_f32_e64 s3, 0xc2ce8ed0, v164
	v_fma_f32 v169, 0x3fb8aa3b, v164, -v166
	v_rndne_f32_e32 v170, v166
	s_delay_alu instid0(TRANS32_DEP_1) | instskip(NEXT) | instid1(VALU_DEP_2)
	v_ldexp_f32 v79, v79, v165
	v_dual_fmac_f32 v169, 0x32a5705f, v164 :: v_dual_sub_f32 v166, v166, v170
	v_cvt_i32_f32_e32 v165, v170
	s_wait_alu 0xfffd
	s_delay_alu instid0(VALU_DEP_3) | instskip(SKIP_2) | instid1(VALU_DEP_1)
	v_cndmask_b32_e32 v79, 0, v79, vcc_lo
	v_cmp_nlt_f32_e32 vcc_lo, 0x42b17218, v73
	v_add_f32_e32 v166, v166, v169
	v_exp_f32_e32 v166, v166
	s_delay_alu instid0(TRANS32_DEP_1) | instskip(SKIP_1) | instid1(VALU_DEP_1)
	v_ldexp_f32 v165, v166, v165
	s_wait_alu 0xf1ff
	v_cndmask_b32_e64 v73, 0, v165, s3
	v_cmp_nlt_f32_e64 s3, 0x42b17218, v164
	s_wait_alu 0xfffd
	v_cndmask_b32_e32 v165, 0x7f800000, v79, vcc_lo
	v_add_co_u32 v106, vcc_lo, 0x80, v106
	s_wait_alu 0xfffd
	v_add_co_ci_u32_e64 v107, null, 0, v107, vcc_lo
	s_wait_alu 0xf1ff
	v_cndmask_b32_e64 v164, 0x7f800000, v73, s3
	v_cvt_f16_f32_e64 v79, v165
	v_add_co_u32 v108, vcc_lo, 0x80, v108
	s_wait_alu 0xfffd
	v_add_co_ci_u32_e64 v109, null, 0, v109, vcc_lo
	v_cvt_f16_f32_e64 v73, v164
	v_add_co_u32 v110, vcc_lo, 0x80, v110
	s_wait_alu 0xfffd
	v_add_co_ci_u32_e64 v111, null, 0, v111, vcc_lo
	s_delay_alu instid0(VALU_DEP_3) | instskip(SKIP_3) | instid1(VALU_DEP_3)
	v_pack_b32_f16 v79, v73, v79
	v_add_co_u32 v112, vcc_lo, 0x80, v112
	s_wait_alu 0xfffd
	v_add_co_ci_u32_e64 v113, null, 0, v113, vcc_lo
	v_wmma_f16_16x16x16_f16 v[16:19], v[48:51], v[79:82], v[16:19]
	v_add_f32_e32 v48, v160, v161
	v_add_co_u32 v114, vcc_lo, 0x80, v114
	s_wait_alu 0xfffd
	v_add_co_ci_u32_e64 v115, null, 0, v115, vcc_lo
	s_delay_alu instid0(VALU_DEP_3) | instskip(SKIP_3) | instid1(VALU_DEP_3)
	v_add_f32_e32 v48, v157, v48
	v_add_co_u32 v116, vcc_lo, 0x80, v116
	s_wait_alu 0xfffd
	v_add_co_ci_u32_e64 v117, null, 0, v117, vcc_lo
	v_add_f32_e32 v48, v159, v48
	v_add_co_u32 v118, vcc_lo, 0x80, v118
	s_wait_alu 0xfffd
	v_add_co_ci_u32_e64 v119, null, 0, v119, vcc_lo
	s_delay_alu instid0(VALU_DEP_3) | instskip(SKIP_3) | instid1(VALU_DEP_3)
	v_add_f32_e32 v48, v144, v48
	v_add_co_u32 v120, vcc_lo, 0x80, v120
	s_wait_alu 0xfffd
	v_add_co_ci_u32_e64 v121, null, 0, v121, vcc_lo
	;; [unrolled: 9-line block ×5, first 2 shown]
	v_add_f32_e32 v48, v132, v48
	v_add_co_u32 v241, vcc_lo, v241, s70
	v_perm_b32 v73, v65, v66, 0x5040100
	s_wait_alu 0xfffd
	v_add_co_ci_u32_e64 v242, null, s71, v242, vcc_lo
	v_add_f32_e32 v48, v87, v48
	v_add_co_u32 v243, vcc_lo, v243, s70
	s_wait_alu 0xfffd
	v_add_co_ci_u32_e64 v244, null, s71, v244, vcc_lo
	s_delay_alu instid0(VALU_DEP_3) | instskip(SKIP_3) | instid1(VALU_DEP_3)
	v_add_f32_e32 v48, v90, v48
	v_add_co_u32 v247, vcc_lo, v247, s70
	s_wait_alu 0xfffd
	v_add_co_ci_u32_e64 v77, null, s71, v77, vcc_lo
	v_add_f32_e32 v48, v88, v48
	v_add_co_u32 v78, vcc_lo, v78, s70
	v_wmma_f16_16x16x16_f16 v[4:7], v[70:73], v[79:82], v[4:7]
	v_perm_b32 v70, v65, v66, 0x7060302
	s_delay_alu instid0(VALU_DEP_4) | instskip(SKIP_3) | instid1(VALU_DEP_3)
	v_dual_add_f32 v48, v89, v48 :: v_dual_mov_b32 v49, v184
	s_wait_alu 0xfffd
	v_add_co_ci_u32_e64 v153, null, s71, v153, vcc_lo
	v_add_co_u32 v240, vcc_lo, v240, s70
	v_add_f32_e32 v48, v128, v48
	s_wait_alu 0xfffd
	v_add_co_ci_u32_e64 v216, null, s71, v216, vcc_lo
	v_add_co_u32 v218, vcc_lo, v218, s70
	s_delay_alu instid0(VALU_DEP_3)
	v_add_f32_e32 v48, v133, v48
	v_wmma_f16_16x16x16_f16 v[20:23], v[52:55], v[79:82], v[20:23]
	v_wmma_f16_16x16x16_f16 v[12:15], v[60:63], v[79:82], v[12:15]
	;; [unrolled: 1-line block ×4, first 2 shown]
	v_add_f32_e32 v48, v126, v48
	s_wait_alu 0xfffd
	v_add_co_ci_u32_e64 v220, null, s71, v220, vcc_lo
	s_delay_alu instid0(VALU_DEP_2) | instskip(NEXT) | instid1(VALU_DEP_1)
	v_add_f32_e32 v48, v127, v48
	v_add_f32_e32 v48, v83, v48
	s_delay_alu instid0(VALU_DEP_1) | instskip(NEXT) | instid1(VALU_DEP_1)
	v_add_f32_e32 v48, v86, v48
	v_add_f32_e32 v48, v84, v48
	s_delay_alu instid0(VALU_DEP_1) | instskip(NEXT) | instid1(VALU_DEP_1)
	;; [unrolled: 3-line block ×6, first 2 shown]
	v_add_f32_e32 v184, v134, v48
	v_fmac_f32_e32 v184, v49, v162
	s_cbranch_scc1 .LBB14_343
; %bb.344:                              ;   in Loop: Header=BB14_9 Depth=1
	s_clause 0x2
	scratch_load_b32 v48, off, off offset:376 th:TH_LOAD_LU
	scratch_load_b32 v231, off, off offset:20
	scratch_load_b64 v[232:233], off, off offset:24
	s_wait_loadcnt 0x0
	s_clause 0x7
	scratch_load_b32 v233, off, off offset:32
	scratch_load_b32 v125, off, off offset:44
	;; [unrolled: 1-line block ×7, first 2 shown]
	scratch_load_b64 v[131:132], off, off offset:68
	v_mad_co_i64_i32 v[60:61], null, v177, s38, 0
	v_mad_co_i64_i32 v[54:55], null, v175, s38, 0
	s_wait_loadcnt 0x0
	s_clause 0x1f
	scratch_load_b32 v132, off, off offset:76
	scratch_load_b32 v133, off, off offset:80
	;; [unrolled: 1-line block ×32, first 2 shown]
	s_clause 0xb
	scratch_load_b64 v[64:65], off, off offset:204
	scratch_load_b32 v204, off, off offset:212
	scratch_load_b32 v205, off, off offset:216
	;; [unrolled: 1-line block ×10, first 2 shown]
	scratch_load_b64 v[224:225], off, off offset:252
	v_mad_co_i64_i32 v[50:51], null, v183, s38, 0
	v_mad_co_i64_i32 v[56:57], null, v158, s38, 0
	v_mad_co_i64_i32 v[58:59], null, v138, s38, 0
	s_wait_loadcnt 0x0
	s_clause 0x19
	scratch_load_b64 v[225:226], off, off offset:284
	; meta instruction
	scratch_load_b32 v234, off, off
	scratch_load_b32 v235, off, off offset:4
	scratch_load_b32 v138, off, off offset:36
	scratch_load_b32 v158, off, off offset:40
	scratch_load_b32 v164, off, off offset:292
	scratch_load_b32 v165, off, off offset:296
	scratch_load_b32 v166, off, off offset:300
	scratch_load_b32 v171, off, off offset:304
	scratch_load_b32 v172, off, off offset:308
	scratch_load_b32 v183, off, off offset:312
	scratch_load_b32 v189, off, off offset:316
	scratch_load_b32 v190, off, off offset:320
	scratch_load_b32 v191, off, off offset:324
	scratch_load_b32 v208, off, off offset:328
	scratch_load_b32 v218, off, off offset:332
	scratch_load_b32 v220, off, off offset:336
	scratch_load_b32 v222, off, off offset:340
	scratch_load_b32 v228, off, off offset:344
	scratch_load_b32 v236, off, off offset:348
	scratch_load_b32 v237, off, off offset:352
	scratch_load_b32 v238, off, off offset:356
	scratch_load_b32 v239, off, off offset:360
	scratch_load_b32 v240, off, off offset:364
	scratch_load_b32 v241, off, off offset:368
	scratch_load_b32 v242, off, off offset:372
	v_mad_co_i64_i32 v[52:53], null, v202, s38, 0
	s_lshl_b32 s56, s49, 6
	v_mov_b32_e32 v81, 32
	s_mov_b64 s[4:5], s[56:57]
	v_mad_co_i64_i32 v[62:63], null, v48, s38, 0
	v_mad_co_i64_i32 v[48:49], null, v248, s38, 0
	v_add_nc_u32_e32 v227, 32, v231
	v_add_nc_u32_e32 v230, 48, v231
	v_mov_b32_e32 v202, v64
	s_branch .LBB14_346
.LBB14_345:                             ;   in Loop: Header=BB14_9 Depth=1
	v_dual_mov_b32 v3, 0 :: v_dual_mov_b32 v186, 0xfeffffff
	v_dual_mov_b32 v7, 0 :: v_dual_mov_b32 v184, 0
	s_mov_b64 s[4:5], 0
	s_delay_alu instid0(VALU_DEP_2) | instskip(NEXT) | instid1(VALU_DEP_2)
	v_dual_mov_b32 v2, v3 :: v_dual_mov_b32 v1, v3
	v_dual_mov_b32 v0, v3 :: v_dual_mov_b32 v5, v7
	;; [unrolled: 1-line block ×10, first 2 shown]
	v_mov_b32_e32 v10, v3
	v_mov_b32_e32 v8, v3
.LBB14_346:                             ;   in Loop: Header=BB14_9 Depth=1
	v_lshlrev_b32_e32 v64, 1, v173
	s_wait_alu 0xfffe
	s_lshl_b64 s[82:83], s[4:5], 1
	v_lshlrev_b64_e32 v[62:63], 1, v[62:63]
	s_add_nc_u64 s[80:81], s[80:81], s[82:83]
	v_lshlrev_b64_e32 v[48:49], 1, v[48:49]
	s_wait_alu 0xfffe
	v_add_co_u32 v66, s3, s80, v64
	s_wait_alu 0xf1ff
	v_add_co_ci_u32_e64 v67, null, s81, 0, s3
	v_lshlrev_b64_e32 v[52:53], 1, v[52:53]
	s_delay_alu instid0(VALU_DEP_3) | instskip(SKIP_1) | instid1(VALU_DEP_3)
	v_add_co_u32 v62, vcc_lo, v66, v62
	s_wait_alu 0xfffd
	v_add_co_ci_u32_e64 v63, null, v67, v63, vcc_lo
	v_add_co_u32 v64, vcc_lo, v66, v48
	s_wait_alu 0xfffd
	v_add_co_ci_u32_e64 v65, null, v67, v49, vcc_lo
	v_lshlrev_b64_e32 v[48:49], 1, v[50:51]
	v_lshlrev_b64_e32 v[50:51], 1, v[60:61]
	v_lshlrev_b64_e32 v[54:55], 1, v[54:55]
	v_lshlrev_b64_e32 v[56:57], 1, v[56:57]
	v_lshlrev_b64_e32 v[58:59], 1, v[58:59]
	s_mul_u64 s[80:81], s[4:5], s[26:27]
	v_add_co_u32 v48, vcc_lo, v66, v48
	s_wait_alu 0xfffd
	v_add_co_ci_u32_e64 v49, null, v67, v49, vcc_lo
	v_add_co_u32 v50, vcc_lo, v66, v50
	s_wait_alu 0xfffd
	v_add_co_ci_u32_e64 v51, null, v67, v51, vcc_lo
	;; [unrolled: 3-line block ×6, first 2 shown]
	s_clause 0x7
	global_load_b32 v60, v[62:63], off
	global_load_b32 v61, v[64:65], off
	;; [unrolled: 1-line block ×8, first 2 shown]
	v_add_nc_u32_e32 v54, v193, v140
	s_wait_alu 0xfffe
	s_lshl_b64 s[80:81], s[80:81], 2
	s_mul_u64 s[4:5], s[4:5], s[34:35]
	s_wait_alu 0xfffe
	s_add_nc_u64 s[78:79], s[78:79], s[80:81]
	s_lshl_b64 s[4:5], s[4:5], 2
	v_add_nc_u32_e32 v55, 0x3400, v54
	s_wait_alu 0xfffe
	s_add_nc_u64 s[4:5], s[76:77], s[4:5]
	s_cmp_lg_u64 s[74:75], 0
	s_wait_loadcnt 0x6
	ds_store_2addr_b32 v55, v60, v61 offset1:144
	v_add_nc_u32_e32 v55, 0x3800, v54
	s_wait_loadcnt 0x4
	ds_store_2addr_b32 v55, v48, v49 offset0:32 offset1:176
	v_add_nc_u32_e32 v48, 0x3c00, v54
	s_wait_loadcnt 0x2
	ds_store_2addr_b32 v48, v50, v51 offset0:64 offset1:208
	;; [unrolled: 3-line block ×3, first 2 shown]
	v_add_co_u32 v48, vcc_lo, s78, v136
	s_wait_alu 0xfffd
	v_add_co_ci_u32_e64 v49, null, s79, v137, vcc_lo
	s_delay_alu instid0(VALU_DEP_2) | instskip(SKIP_1) | instid1(VALU_DEP_2)
	v_add_co_u32 v48, vcc_lo, v48, v194
	s_wait_alu 0xfffd
	v_add_co_ci_u32_e64 v49, null, 0, v49, vcc_lo
	v_add_co_u32 v50, vcc_lo, s78, v93
	s_wait_alu 0xfffd
	v_add_co_ci_u32_e64 v51, null, s79, v94, vcc_lo
	s_delay_alu instid0(VALU_DEP_2) | instskip(SKIP_1) | instid1(VALU_DEP_2)
	v_add_co_u32 v52, vcc_lo, v50, v194
	s_wait_alu 0xfffd
	v_add_co_ci_u32_e64 v53, null, 0, v51, vcc_lo
	s_clause 0x1
	global_load_b128 v[48:51], v[48:49], off offset:128
	global_load_b128 v[52:55], v[52:53], off offset:128
	s_wait_loadcnt 0x1
	ds_store_b128 v145, v[48:51]
	s_wait_loadcnt 0x0
	ds_store_b128 v146, v[52:55]
	v_add_co_u32 v48, vcc_lo, s78, v95
	s_wait_alu 0xfffd
	v_add_co_ci_u32_e64 v49, null, s79, v96, vcc_lo
	s_delay_alu instid0(VALU_DEP_2) | instskip(SKIP_1) | instid1(VALU_DEP_2)
	v_add_co_u32 v48, vcc_lo, v48, v195
	s_wait_alu 0xfffd
	v_add_co_ci_u32_e64 v49, null, 0, v49, vcc_lo
	v_add_co_u32 v50, vcc_lo, s78, v97
	s_wait_alu 0xfffd
	v_add_co_ci_u32_e64 v51, null, s79, v98, vcc_lo
	s_delay_alu instid0(VALU_DEP_2) | instskip(SKIP_1) | instid1(VALU_DEP_2)
	v_add_co_u32 v52, vcc_lo, v50, v195
	s_wait_alu 0xfffd
	v_add_co_ci_u32_e64 v53, null, 0, v51, vcc_lo
	s_clause 0x1
	global_load_b128 v[48:51], v[48:49], off
	global_load_b128 v[52:55], v[52:53], off
	s_wait_loadcnt 0x1
	ds_store_b128 v147, v[48:51]
	s_wait_loadcnt 0x0
	ds_store_b128 v203, v[52:55]
	v_add_co_u32 v48, vcc_lo, s78, v99
	s_wait_alu 0xfffd
	v_add_co_ci_u32_e64 v49, null, s79, v100, vcc_lo
	s_delay_alu instid0(VALU_DEP_2) | instskip(SKIP_1) | instid1(VALU_DEP_2)
	v_add_co_u32 v48, vcc_lo, v48, v195
	s_wait_alu 0xfffd
	v_add_co_ci_u32_e64 v49, null, 0, v49, vcc_lo
	v_add_co_u32 v50, vcc_lo, s78, v101
	s_wait_alu 0xfffd
	v_add_co_ci_u32_e64 v51, null, s79, v102, vcc_lo
	s_delay_alu instid0(VALU_DEP_2) | instskip(SKIP_1) | instid1(VALU_DEP_2)
	v_add_co_u32 v52, vcc_lo, v50, v195
	s_wait_alu 0xfffd
	v_add_co_ci_u32_e64 v53, null, 0, v51, vcc_lo
	s_clause 0x1
	global_load_b128 v[48:51], v[48:49], off
	global_load_b128 v[52:55], v[52:53], off
	v_cmp_lt_i32_e32 vcc_lo, v187, v81
	s_wait_loadcnt 0x1
	ds_store_b128 v178, v[48:51]
	s_wait_loadcnt 0x0
	ds_store_b128 v209, v[52:55]
	s_wait_dscnt 0x0
	s_barrier_signal -1
	s_barrier_wait -1
	global_inv scope:SCOPE_SE
	ds_load_b128 v[56:59], v142
	ds_load_b128 v[60:63], v142 offset:32
	s_wait_dscnt 0x1
	v_wmma_f32_16x16x16_f16 v[48:55], v[56:59], v[40:43], 0
	s_wait_dscnt 0x0
	s_delay_alu instid0(VALU_DEP_1)
	v_wmma_f32_16x16x16_f16 v[48:55], v[60:63], v[44:47], v[48:55]
	ds_load_b128 v[56:59], v142 offset:3328
	ds_load_b128 v[60:63], v142 offset:3360
	s_wait_dscnt 0x1
	v_wmma_f32_16x16x16_f16 v[64:71], v[56:59], v[40:43], 0
	s_wait_dscnt 0x0
	s_delay_alu instid0(VALU_DEP_1)
	v_wmma_f32_16x16x16_f16 v[64:71], v[60:63], v[44:47], v[64:71]
	ds_load_b128 v[56:59], v142 offset:6656
	;; [unrolled: 7-line block ×4, first 2 shown]
	ds_load_b128 v[44:47], v142 offset:96
	s_wait_dscnt 0x1
	v_wmma_f32_16x16x16_f16 v[48:55], v[40:43], v[36:39], v[48:55]
	ds_load_b128 v[40:43], v142 offset:3392
	ds_load_b128 v[56:59], v142 offset:3424
	s_wait_dscnt 0x2
	v_wmma_f32_16x16x16_f16 v[48:55], v[44:47], v[32:35], v[48:55]
	s_wait_dscnt 0x1
	v_wmma_f32_16x16x16_f16 v[64:71], v[40:43], v[36:39], v[64:71]
	ds_load_b128 v[40:43], v142 offset:6720
	ds_load_b128 v[60:63], v142 offset:6752
	s_wait_dscnt 0x2
	v_wmma_f32_16x16x16_f16 v[64:71], v[56:59], v[32:35], v[64:71]
	;; [unrolled: 6-line block ×3, first 2 shown]
	s_wait_dscnt 0x1
	v_wmma_f32_16x16x16_f16 v[114:121], v[40:43], v[36:39], v[114:121]
	s_wait_dscnt 0x0
	s_delay_alu instid0(VALU_DEP_1)
	v_wmma_f32_16x16x16_f16 v[114:121], v[77:80], v[32:35], v[114:121]
	ds_load_b128 v[32:35], v142 offset:128
	ds_load_b128 v[36:39], v142 offset:160
	s_wait_dscnt 0x1
	v_wmma_f32_16x16x16_f16 v[48:55], v[32:35], v[28:31], v[48:55]
	ds_load_b128 v[32:35], v142 offset:3456
	ds_load_b128 v[40:43], v142 offset:3488
	s_wait_dscnt 0x2
	v_wmma_f32_16x16x16_f16 v[48:55], v[36:39], v[24:27], v[48:55]
	s_wait_dscnt 0x1
	v_wmma_f32_16x16x16_f16 v[64:71], v[32:35], v[28:31], v[64:71]
	ds_load_b128 v[32:35], v142 offset:6784
	ds_load_b128 v[44:47], v142 offset:6816
	s_wait_dscnt 0x2
	v_wmma_f32_16x16x16_f16 v[64:71], v[40:43], v[24:27], v[64:71]
	s_wait_dscnt 0x1
	v_wmma_f32_16x16x16_f16 v[106:113], v[32:35], v[28:31], v[106:113]
	ds_load_b128 v[32:35], v142 offset:10112
	ds_load_b128 v[56:59], v142 offset:10144
	s_wait_loadcnt_dscnt 0x0
	s_barrier_signal -1
	s_barrier_wait -1
	v_wmma_f32_16x16x16_f16 v[106:113], v[44:47], v[24:27], v[106:113]
	global_inv scope:SCOPE_SE
	v_wmma_f32_16x16x16_f16 v[114:121], v[32:35], v[28:31], v[114:121]
	s_delay_alu instid0(VALU_DEP_1)
	v_wmma_f32_16x16x16_f16 v[114:121], v[56:59], v[24:27], v[114:121]
	v_add_nc_u32_e32 v24, 0x3400, v148
	v_add_nc_u32_e32 v26, 0x3400, v124
	ds_load_2addr_b32 v[24:25], v24 offset1:1
	ds_load_2addr_b32 v[26:27], v26 offset1:1
	ds_load_b32 v28, v149 offset:13312
	ds_load_b32 v30, v148 offset:13320
	s_wait_dscnt 0x3
	v_cvt_f32_f16_e32 v29, v24
	v_lshrrev_b32_e32 v24, 16, v24
	v_cvt_f32_f16_e32 v32, v25
	v_lshrrev_b32_e32 v25, 16, v25
	s_wait_dscnt 0x1
	v_lshrrev_b32_e32 v31, 16, v28
	v_cvt_f32_f16_e32 v28, v28
	v_cvt_f32_f16_e32 v24, v24
	;; [unrolled: 1-line block ×5, first 2 shown]
	v_lshrrev_b32_e32 v38, 16, v26
	v_dual_add_f32 v31, v49, v24 :: v_dual_add_nc_u32 v24, 0x3400, v103
	s_delay_alu instid0(VALU_DEP_4)
	v_add_f32_e32 v72, v51, v25
	v_add_nc_u32_e32 v26, 0x3400, v219
	v_cvt_f32_f16_e32 v39, v27
	v_lshrrev_b32_e32 v40, 16, v27
	ds_load_2addr_b32 v[24:25], v24 offset1:1
	s_wait_dscnt 0x1
	v_cvt_f32_f16_e32 v33, v30
	v_lshrrev_b32_e32 v30, 16, v30
	v_add_f32_e32 v61, v64, v37
	v_cvt_f32_f16_e32 v40, v40
	v_add_f32_e32 v63, v66, v39
	v_cvt_f32_f16_e32 v38, v38
	v_cvt_f32_f16_e32 v34, v30
	v_add_f32_e32 v30, v48, v29
	v_add_f32_e32 v64, v67, v40
	s_delay_alu instid0(VALU_DEP_3)
	v_dual_add_f32 v32, v50, v32 :: v_dual_add_f32 v73, v53, v34
	v_add_f32_e32 v34, v54, v28
	v_add_nc_u32_e32 v28, 0x3400, v223
	s_wait_dscnt 0x0
	v_cvt_f32_f16_e32 v41, v24
	v_lshrrev_b32_e32 v24, 16, v24
	v_lshrrev_b32_e32 v42, 16, v25
	v_cvt_f32_f16_e32 v25, v25
	s_delay_alu instid0(VALU_DEP_3)
	v_cvt_f32_f16_e32 v24, v24
	v_dual_add_f32 v74, v52, v33 :: v_dual_add_f32 v33, v55, v35
	v_add_nc_u32_e32 v35, 0x3400, v214
	ds_load_2addr_b32 v[26:27], v26 offset1:1
	ds_load_2addr_b32 v[28:29], v28 offset1:1
	;; [unrolled: 1-line block ×3, first 2 shown]
	v_dual_add_f32 v67, v69, v24 :: v_dual_add_f32 v66, v70, v25
	v_cvt_f32_f16_e32 v42, v42
	v_add_nc_u32_e32 v70, v141, v156
	s_wait_dscnt 0x2
	v_cvt_f32_f16_e32 v24, v26
	v_lshrrev_b32_e32 v25, 16, v26
	s_wait_dscnt 0x1
	v_cvt_f32_f16_e32 v37, v28
	v_lshrrev_b32_e32 v28, 16, v28
	v_cvt_f32_f16_e32 v26, v27
	v_add_f32_e32 v53, v106, v24
	v_cvt_f32_f16_e32 v25, v25
	v_add_nc_u32_e32 v24, 0x3400, v215
	v_lshrrev_b32_e32 v27, 16, v27
	v_cvt_f32_f16_e32 v28, v28
	s_delay_alu instid0(VALU_DEP_4)
	v_dual_add_f32 v55, v108, v26 :: v_dual_add_f32 v54, v107, v25
	ds_load_2addr_b32 v[24:25], v24 offset1:1
	v_cvt_f32_f16_e32 v27, v27
	v_add_f32_e32 v59, v111, v28
	s_wait_dscnt 0x1
	v_cvt_f32_f16_e32 v28, v36
	v_add_f32_e32 v62, v65, v38
	v_lshrrev_b32_e32 v38, 16, v29
	v_cvt_f32_f16_e32 v29, v29
	v_add_f32_e32 v56, v109, v27
	v_cvt_f32_f16_e32 v26, v35
	v_lshrrev_b32_e32 v27, 16, v35
	v_add_f32_e32 v60, v110, v37
	v_add_f32_e32 v58, v112, v29
	v_lshrrev_b32_e32 v29, 16, v36
	v_dual_add_f32 v45, v114, v26 :: v_dual_add_f32 v26, 0x40051340, v72
	v_cvt_f32_f16_e32 v27, v27
	v_add_f32_e32 v47, v116, v28
	s_delay_alu instid0(VALU_DEP_4)
	v_cvt_f32_f16_e32 v29, v29
	v_add_f32_e32 v65, v71, v42
	v_cvt_f32_f16_e32 v38, v38
	s_wait_dscnt 0x0
	v_cvt_f32_f16_e32 v35, v24
	v_lshrrev_b32_e32 v24, 16, v24
	v_lshrrev_b32_e32 v36, 16, v25
	v_cvt_f32_f16_e32 v25, v25
	v_add_f32_e32 v46, v115, v27
	v_add_f32_e32 v48, v117, v29
	v_cvt_f32_f16_e32 v24, v24
	v_cvt_f32_f16_e32 v36, v36
	v_dual_add_f32 v68, v68, v41 :: v_dual_add_f32 v57, v113, v38
	v_add_nc_u32_e32 v71, v141, v157
	s_delay_alu instid0(VALU_DEP_4) | instskip(NEXT) | instid1(VALU_DEP_4)
	v_add_f32_e32 v51, v119, v24
	v_dual_add_f32 v49, v121, v36 :: v_dual_add_f32 v50, v120, v25
	v_dual_add_f32 v24, 0x40051340, v30 :: v_dual_add_f32 v25, 0x40051340, v31
	v_add_f32_e32 v52, v118, v35
	s_delay_alu instid0(VALU_DEP_2) | instskip(SKIP_1) | instid1(VALU_DEP_1)
	v_max3_num_f32 v24, v186, v24, v25
	v_add_f32_e32 v25, 0x40051340, v32
	v_max3_num_f32 v24, v24, v25, v26
	v_dual_add_f32 v25, 0x40051340, v74 :: v_dual_add_f32 v26, 0x40051340, v73
	s_delay_alu instid0(VALU_DEP_1) | instskip(SKIP_1) | instid1(VALU_DEP_1)
	v_max3_num_f32 v24, v24, v25, v26
	v_dual_add_f32 v25, 0x40051340, v34 :: v_dual_add_f32 v26, 0x40051340, v33
	v_max3_num_f32 v24, v24, v25, v26
	v_dual_add_f32 v25, 0x40051340, v61 :: v_dual_add_f32 v26, 0x40051340, v62
	s_delay_alu instid0(VALU_DEP_1) | instskip(SKIP_1) | instid1(VALU_DEP_1)
	v_max3_num_f32 v24, v24, v25, v26
	v_dual_add_f32 v25, 0x40051340, v63 :: v_dual_add_f32 v26, 0x40051340, v64
	v_max3_num_f32 v24, v24, v25, v26
	v_dual_add_f32 v25, 0x40051340, v68 :: v_dual_add_f32 v26, 0x40051340, v67
	s_delay_alu instid0(VALU_DEP_1) | instskip(SKIP_1) | instid1(VALU_DEP_1)
	v_max3_num_f32 v24, v24, v25, v26
	v_dual_add_f32 v25, 0x40051340, v66 :: v_dual_add_f32 v26, 0x40051340, v65
	v_max3_num_f32 v24, v24, v25, v26
	v_dual_add_f32 v25, 0x40051340, v53 :: v_dual_add_f32 v26, 0x40051340, v54
	s_delay_alu instid0(VALU_DEP_1) | instskip(SKIP_1) | instid1(VALU_DEP_1)
	v_max3_num_f32 v24, v24, v25, v26
	v_dual_add_f32 v25, 0x40051340, v55 :: v_dual_add_f32 v26, 0x40051340, v56
	v_max3_num_f32 v24, v24, v25, v26
	v_dual_add_f32 v25, 0x40051340, v60 :: v_dual_add_f32 v26, 0x40051340, v59
	s_delay_alu instid0(VALU_DEP_1) | instskip(SKIP_1) | instid1(VALU_DEP_1)
	v_max3_num_f32 v24, v24, v25, v26
	v_dual_add_f32 v25, 0x40051340, v58 :: v_dual_add_f32 v26, 0x40051340, v57
	v_max3_num_f32 v24, v24, v25, v26
	v_dual_add_f32 v25, 0x40051340, v45 :: v_dual_add_f32 v26, 0x40051340, v46
	s_delay_alu instid0(VALU_DEP_1) | instskip(SKIP_1) | instid1(VALU_DEP_1)
	v_max3_num_f32 v24, v24, v25, v26
	v_dual_add_f32 v25, 0x40051340, v47 :: v_dual_add_f32 v26, 0x40051340, v48
	v_max3_num_f32 v24, v24, v25, v26
	v_dual_add_f32 v25, 0x40051340, v52 :: v_dual_add_f32 v26, 0x40051340, v51
	s_delay_alu instid0(VALU_DEP_1) | instskip(SKIP_1) | instid1(VALU_DEP_1)
	v_max3_num_f32 v24, v24, v25, v26
	v_dual_add_f32 v25, 0x40051340, v50 :: v_dual_add_f32 v26, 0x40051340, v49
	v_max3_num_f32 v24, v24, v25, v26
	s_wait_alu 0xfffd
	v_cndmask_b32_e32 v25, v234, v187, vcc_lo
	s_delay_alu instid0(VALU_DEP_1) | instskip(SKIP_3) | instid1(VALU_DEP_1)
	v_lshlrev_b32_e32 v44, 2, v25
	ds_bpermute_b32 v25, v44, v24
	s_wait_dscnt 0x0
	v_max_num_f32_e32 v25, v25, v25
	v_max_num_f32_e32 v43, v24, v25
	s_delay_alu instid0(VALU_DEP_1) | instskip(SKIP_3) | instid1(VALU_DEP_4)
	v_sub_f32_e32 v24, v186, v43
	v_sub_f32_e32 v73, v73, v43
	;; [unrolled: 1-line block ×4, first 2 shown]
	v_dual_sub_f32 v72, v72, v43 :: v_dual_mul_f32 v25, 0x3fb8aa3b, v24
	v_sub_f32_e32 v32, v32, v43
	v_sub_f32_e32 v30, v30, v43
	s_delay_alu instid0(VALU_DEP_4) | instskip(SKIP_3) | instid1(VALU_DEP_2)
	v_cmp_ngt_f32_e64 s3, 0xc2ce8ed0, v34
	v_sub_f32_e32 v74, v74, v43
	v_fma_f32 v26, 0x3fb8aa3b, v24, -v25
	v_rndne_f32_e32 v27, v25
	v_dual_sub_f32 v31, v31, v43 :: v_dual_fmac_f32 v26, 0x32a5705f, v24
	s_delay_alu instid0(VALU_DEP_2) | instskip(NEXT) | instid1(VALU_DEP_1)
	v_sub_f32_e32 v25, v25, v27
	v_add_f32_e32 v25, v25, v26
	v_cvt_i32_f32_e32 v26, v27
	v_cmp_ngt_f32_e32 vcc_lo, 0xc2ce8ed0, v24
	s_delay_alu instid0(VALU_DEP_3) | instskip(NEXT) | instid1(TRANS32_DEP_1)
	v_exp_f32_e32 v25, v25
	v_ldexp_f32 v25, v25, v26
	s_wait_alu 0xfffd
	s_delay_alu instid0(VALU_DEP_1) | instskip(SKIP_2) | instid1(VALU_DEP_2)
	v_cndmask_b32_e32 v25, 0, v25, vcc_lo
	v_cmp_nlt_f32_e32 vcc_lo, 0x42b17218, v24
	s_wait_alu 0xfffd
	v_cndmask_b32_e32 v25, 0x7f800000, v25, vcc_lo
	v_cmp_le_f32_e32 vcc_lo, 0xc1a00000, v24
	s_wait_alu 0xfffd
	s_delay_alu instid0(VALU_DEP_2) | instskip(NEXT) | instid1(VALU_DEP_1)
	v_cndmask_b32_e32 v69, 0, v25, vcc_lo
	v_cvt_f16_f32_e32 v24, v69
	s_delay_alu instid0(VALU_DEP_1) | instskip(NEXT) | instid1(VALU_DEP_1)
	v_and_b32_e32 v24, 0xffff, v24
	v_mul_u32_u24_e32 v24, 0x10001, v24
	s_delay_alu instid0(VALU_DEP_1)
	v_pk_mul_f16 v20, v20, v24
	v_pk_mul_f16 v21, v21, v24
	;; [unrolled: 1-line block ×24, first 2 shown]
	s_wait_alu 0xfffe
	v_add_co_u32 v24, vcc_lo, s4, v122
	s_wait_alu 0xfffd
	v_add_co_ci_u32_e64 v25, null, s5, v123, vcc_lo
	s_delay_alu instid0(VALU_DEP_2) | instskip(SKIP_1) | instid1(VALU_DEP_2)
	v_add_co_u32 v24, vcc_lo, v24, v194
	s_wait_alu 0xfffd
	v_add_co_ci_u32_e64 v25, null, 0, v25, vcc_lo
	v_add_co_u32 v26, vcc_lo, s4, v199
	s_wait_alu 0xfffd
	v_add_co_ci_u32_e64 v27, null, s5, v200, vcc_lo
	s_delay_alu instid0(VALU_DEP_2) | instskip(SKIP_1) | instid1(VALU_DEP_2)
	v_add_co_u32 v28, vcc_lo, v26, v194
	s_wait_alu 0xfffd
	v_add_co_ci_u32_e64 v29, null, 0, v27, vcc_lo
	s_clause 0x1
	global_load_b128 v[24:27], v[24:25], off offset:128
	global_load_b128 v[35:38], v[28:29], off offset:128
	s_wait_loadcnt 0x1
	ds_store_b128 v145, v[24:27]
	s_wait_loadcnt 0x0
	ds_store_b128 v146, v[35:38]
	v_add_co_u32 v24, vcc_lo, s4, v245
	s_wait_alu 0xfffd
	v_add_co_ci_u32_e64 v25, null, s5, v246, vcc_lo
	s_delay_alu instid0(VALU_DEP_2) | instskip(SKIP_1) | instid1(VALU_DEP_2)
	v_add_co_u32 v24, vcc_lo, v24, v195
	s_wait_alu 0xfffd
	v_add_co_ci_u32_e64 v25, null, 0, v25, vcc_lo
	v_add_co_u32 v26, vcc_lo, s4, v75
	s_wait_alu 0xfffd
	v_add_co_ci_u32_e64 v27, null, s5, v76, vcc_lo
	s_delay_alu instid0(VALU_DEP_2) | instskip(SKIP_1) | instid1(VALU_DEP_2)
	v_add_co_u32 v28, vcc_lo, v26, v195
	s_wait_alu 0xfffd
	v_add_co_ci_u32_e64 v29, null, 0, v27, vcc_lo
	s_clause 0x1
	global_load_b128 v[24:27], v[24:25], off
	global_load_b128 v[35:38], v[28:29], off
	s_wait_loadcnt 0x1
	ds_store_b128 v147, v[24:27]
	s_wait_loadcnt 0x0
	ds_store_b128 v203, v[35:38]
	v_add_co_u32 v24, vcc_lo, s4, v104
	s_wait_alu 0xfffd
	v_add_co_ci_u32_e64 v25, null, s5, v105, vcc_lo
	s_delay_alu instid0(VALU_DEP_2) | instskip(SKIP_1) | instid1(VALU_DEP_2)
	v_add_co_u32 v24, vcc_lo, v24, v195
	s_wait_alu 0xfffd
	v_add_co_ci_u32_e64 v25, null, 0, v25, vcc_lo
	v_add_co_u32 v26, vcc_lo, s4, v91
	s_wait_alu 0xfffd
	v_add_co_ci_u32_e64 v27, null, s5, v92, vcc_lo
	v_cmp_ngt_f32_e64 s4, 0xc2ce8ed0, v33
	s_delay_alu instid0(VALU_DEP_3) | instskip(SKIP_1) | instid1(VALU_DEP_3)
	v_add_co_u32 v28, vcc_lo, v26, v195
	s_wait_alu 0xfffd
	v_add_co_ci_u32_e64 v29, null, 0, v27, vcc_lo
	s_clause 0x1
	global_load_b128 v[24:27], v[24:25], off
	global_load_b128 v[35:38], v[28:29], off
	s_wait_loadcnt 0x1
	ds_store_b128 v178, v[24:27]
	s_wait_loadcnt 0x0
	ds_store_b128 v209, v[35:38]
	v_add_nc_u32_e32 v24, 0x200, v150
	s_wait_dscnt 0x0
	s_barrier_signal -1
	s_barrier_wait -1
	global_inv scope:SCOPE_SE
	ds_load_2addr_b32 v[24:25], v24 offset0:112 offset1:132
	ds_load_2addr_b32 v[26:27], v150 offset0:208 offset1:224
	ds_load_2addr_b32 v[28:29], v70 offset1:16
	ds_load_2addr_b32 v[35:36], v71 offset1:16
	v_cmp_ngt_f32_e32 vcc_lo, 0xc2ce8ed0, v73
	v_cmp_ngt_f32_e64 s5, 0xc2ce8ed0, v74
	s_wait_dscnt 0x2
	v_perm_b32 v37, v25, v26, 0x7060302
	v_perm_b32 v41, v25, v26, 0x5040100
	v_add_nc_u32_e32 v25, 0x400, v150
	s_wait_dscnt 0x0
	v_perm_b32 v38, v35, v28, 0x7060302
	v_perm_b32 v42, v35, v28, 0x5040100
	;; [unrolled: 1-line block ×4, first 2 shown]
	ds_load_2addr_b32 v[77:78], v25 offset0:20 offset1:36
	s_wait_dscnt 0x0
	v_perm_b32 v81, v77, v27, 0x7060302
	v_perm_b32 v85, v77, v27, 0x5040100
	ds_load_2addr_b32 v[25:26], v150 offset0:104 offset1:120
	ds_load_2addr_b32 v[27:28], v150 offset0:136 offset1:156
	ds_load_2addr_b32 v[87:88], v150 offset0:172 offset1:188
	v_perm_b32 v29, v78, v24, 0x5040100
	s_wait_dscnt 0x1
	v_perm_b32 v36, v28, v25, 0x7060302
	v_perm_b32 v40, v28, v25, 0x5040100
	s_wait_dscnt 0x0
	v_perm_b32 v80, v87, v26, 0x7060302
	v_perm_b32 v84, v87, v26, 0x5040100
	;; [unrolled: 1-line block ×5, first 2 shown]
	ds_load_2addr_b32 v[77:78], v150 offset1:16
	ds_load_2addr_b32 v[87:88], v150 offset0:32 offset1:52
	s_wait_dscnt 0x0
	v_perm_b32 v35, v88, v77, 0x7060302
	v_perm_b32 v39, v88, v77, 0x5040100
	ds_load_2addr_b32 v[88:89], v150 offset0:68 offset1:84
	v_mul_f32_e32 v77, 0x3fb8aa3b, v74
	s_wait_dscnt 0x0
	v_perm_b32 v79, v88, v78, 0x7060302
	v_perm_b32 v83, v88, v78, 0x5040100
	v_perm_b32 v24, v89, v87, 0x7060302
	v_perm_b32 v27, v89, v87, 0x5040100
	v_fma_f32 v78, 0x3fb8aa3b, v74, -v77
	v_rndne_f32_e32 v87, v77
	s_delay_alu instid0(VALU_DEP_1) | instskip(SKIP_1) | instid1(VALU_DEP_2)
	v_dual_fmac_f32 v78, 0x32a5705f, v74 :: v_dual_sub_f32 v77, v77, v87
	v_cvt_i32_f32_e32 v87, v87
	v_dual_add_f32 v77, v77, v78 :: v_dual_mul_f32 v78, 0x3fb8aa3b, v73
	s_delay_alu instid0(VALU_DEP_1) | instskip(NEXT) | instid1(VALU_DEP_1)
	v_exp_f32_e32 v77, v77
	v_fma_f32 v88, 0x3fb8aa3b, v73, -v78
	v_rndne_f32_e32 v89, v78
	s_delay_alu instid0(VALU_DEP_2) | instskip(NEXT) | instid1(VALU_DEP_2)
	v_fmac_f32_e32 v88, 0x32a5705f, v73
	v_sub_f32_e32 v78, v78, v89
	s_delay_alu instid0(TRANS32_DEP_1) | instskip(SKIP_1) | instid1(VALU_DEP_3)
	v_ldexp_f32 v77, v77, v87
	v_cvt_i32_f32_e32 v87, v89
	v_add_f32_e32 v78, v78, v88
	v_mul_f32_e32 v88, 0x3fb8aa3b, v34
	s_delay_alu instid0(VALU_DEP_2) | instskip(NEXT) | instid1(VALU_DEP_1)
	v_exp_f32_e32 v78, v78
	v_fma_f32 v90, 0x3fb8aa3b, v34, -v88
	v_rndne_f32_e32 v106, v88
	s_delay_alu instid0(VALU_DEP_2) | instskip(NEXT) | instid1(VALU_DEP_2)
	v_fmac_f32_e32 v90, 0x32a5705f, v34
	v_sub_f32_e32 v88, v88, v106
	s_delay_alu instid0(TRANS32_DEP_1) | instskip(NEXT) | instid1(VALU_DEP_2)
	v_ldexp_f32 v78, v78, v87
	v_add_f32_e32 v88, v88, v90
	v_mul_f32_e32 v90, 0x3fb8aa3b, v33
	s_wait_alu 0xfffd
	s_delay_alu instid0(VALU_DEP_3)
	v_cndmask_b32_e32 v78, 0, v78, vcc_lo
	v_cmp_nlt_f32_e32 vcc_lo, 0x42b17218, v73
	v_exp_f32_e32 v87, v88
	v_fma_f32 v107, 0x3fb8aa3b, v33, -v90
	v_rndne_f32_e32 v108, v90
	v_cvt_i32_f32_e32 v88, v106
	s_wait_alu 0xfffd
	v_cndmask_b32_e32 v78, 0x7f800000, v78, vcc_lo
	v_cmp_ngt_f32_e32 vcc_lo, 0xc2ce8ed0, v72
	v_dual_fmac_f32 v107, 0x32a5705f, v33 :: v_dual_sub_f32 v90, v90, v108
	v_cvt_i32_f32_e32 v89, v108
	s_delay_alu instid0(TRANS32_DEP_1) | instskip(NEXT) | instid1(VALU_DEP_3)
	v_ldexp_f32 v87, v87, v88
	v_add_f32_e32 v90, v90, v107
	s_wait_alu 0xf1ff
	s_delay_alu instid0(VALU_DEP_2) | instskip(SKIP_1) | instid1(VALU_DEP_3)
	v_cndmask_b32_e64 v73, 0, v87, s3
	v_cmp_nlt_f32_e64 s3, 0x42b17218, v34
	v_exp_f32_e32 v88, v90
	s_wait_alu 0xf1ff
	s_delay_alu instid0(VALU_DEP_1) | instskip(SKIP_1) | instid1(TRANS32_DEP_1)
	v_cndmask_b32_e64 v73, 0x7f800000, v73, s3
	v_cmp_ngt_f32_e64 s3, 0xc2ce8ed0, v32
	v_ldexp_f32 v88, v88, v89
	s_delay_alu instid0(VALU_DEP_1)
	v_cndmask_b32_e64 v34, 0, v88, s4
	v_cmp_nlt_f32_e64 s4, 0x42b17218, v33
	v_cndmask_b32_e64 v33, 0, v77, s5
	v_cmp_nlt_f32_e64 s5, 0x42b17218, v74
	v_cvt_f16_f32_e32 v88, v78
	s_wait_alu 0xf1ff
	v_cndmask_b32_e64 v74, 0x7f800000, v34, s4
	v_cvt_f16_f32_e32 v34, v73
	v_cndmask_b32_e64 v77, 0x7f800000, v33, s5
	s_delay_alu instid0(VALU_DEP_3) | instskip(NEXT) | instid1(VALU_DEP_2)
	v_cvt_f16_f32_e32 v87, v74
	v_cvt_f16_f32_e32 v33, v77
	s_delay_alu instid0(VALU_DEP_2) | instskip(SKIP_1) | instid1(VALU_DEP_3)
	v_pack_b32_f16 v34, v34, v87
	v_mul_f32_e32 v87, 0x3fb8aa3b, v72
	v_pack_b32_f16 v33, v33, v88
	s_delay_alu instid0(VALU_DEP_2) | instskip(SKIP_1) | instid1(VALU_DEP_1)
	v_fma_f32 v88, 0x3fb8aa3b, v72, -v87
	v_rndne_f32_e32 v89, v87
	v_dual_fmac_f32 v88, 0x32a5705f, v72 :: v_dual_sub_f32 v87, v87, v89
	v_cvt_i32_f32_e32 v89, v89
	s_delay_alu instid0(VALU_DEP_2) | instskip(SKIP_1) | instid1(VALU_DEP_2)
	v_add_f32_e32 v87, v87, v88
	v_mul_f32_e32 v88, 0x3fb8aa3b, v32
	v_exp_f32_e32 v87, v87
	s_delay_alu instid0(VALU_DEP_1) | instskip(SKIP_1) | instid1(VALU_DEP_2)
	v_fma_f32 v90, 0x3fb8aa3b, v32, -v88
	v_rndne_f32_e32 v106, v88
	v_fmac_f32_e32 v90, 0x32a5705f, v32
	s_delay_alu instid0(VALU_DEP_2) | instskip(NEXT) | instid1(TRANS32_DEP_1)
	v_sub_f32_e32 v88, v88, v106
	v_ldexp_f32 v87, v87, v89
	v_cvt_i32_f32_e32 v89, v106
	s_wait_alu 0xfffd
	s_delay_alu instid0(VALU_DEP_2) | instskip(SKIP_1) | instid1(VALU_DEP_2)
	v_dual_add_f32 v88, v88, v90 :: v_dual_cndmask_b32 v87, 0, v87
	v_cmp_nlt_f32_e32 vcc_lo, 0x42b17218, v72
	v_exp_f32_e32 v88, v88
	s_wait_alu 0xfffd
	s_delay_alu instid0(VALU_DEP_2) | instskip(SKIP_1) | instid1(VALU_DEP_2)
	v_cndmask_b32_e32 v106, 0x7f800000, v87, vcc_lo
	v_cmp_ngt_f32_e32 vcc_lo, 0xc2ce8ed0, v31
	v_cvt_f16_f32_e32 v87, v106
	s_delay_alu instid0(TRANS32_DEP_1) | instskip(NEXT) | instid1(VALU_DEP_1)
	v_ldexp_f32 v88, v88, v89
	v_cndmask_b32_e64 v72, 0, v88, s3
	v_cmp_nlt_f32_e64 s3, 0x42b17218, v32
	s_wait_alu 0xf1ff
	s_delay_alu instid0(VALU_DEP_1) | instskip(SKIP_1) | instid1(VALU_DEP_2)
	v_cndmask_b32_e64 v72, 0x7f800000, v72, s3
	v_cmp_ngt_f32_e64 s3, 0xc2ce8ed0, v30
	v_cvt_f16_f32_e32 v32, v72
	s_delay_alu instid0(VALU_DEP_1) | instskip(SKIP_1) | instid1(VALU_DEP_1)
	v_pack_b32_f16 v32, v32, v87
	v_mul_f32_e32 v87, 0x3fb8aa3b, v31
	v_fma_f32 v88, 0x3fb8aa3b, v31, -v87
	v_rndne_f32_e32 v89, v87
	s_delay_alu instid0(VALU_DEP_1) | instskip(SKIP_1) | instid1(VALU_DEP_2)
	v_dual_fmac_f32 v88, 0x32a5705f, v31 :: v_dual_sub_f32 v87, v87, v89
	v_cvt_i32_f32_e32 v89, v89
	v_dual_add_f32 v87, v87, v88 :: v_dual_mul_f32 v88, 0x3fb8aa3b, v30
	s_delay_alu instid0(VALU_DEP_1) | instskip(NEXT) | instid1(VALU_DEP_1)
	v_exp_f32_e32 v87, v87
	v_fma_f32 v90, 0x3fb8aa3b, v30, -v88
	v_rndne_f32_e32 v107, v88
	s_delay_alu instid0(VALU_DEP_2) | instskip(NEXT) | instid1(VALU_DEP_2)
	v_fmac_f32_e32 v90, 0x32a5705f, v30
	v_sub_f32_e32 v88, v88, v107
	s_delay_alu instid0(TRANS32_DEP_1) | instskip(SKIP_2) | instid1(VALU_DEP_2)
	v_ldexp_f32 v87, v87, v89
	v_cvt_i32_f32_e32 v89, v107
	s_wait_alu 0xfffd
	v_dual_add_f32 v88, v88, v90 :: v_dual_cndmask_b32 v87, 0, v87
	v_cmp_nlt_f32_e32 vcc_lo, 0x42b17218, v31
	s_delay_alu instid0(VALU_DEP_2) | instskip(SKIP_1) | instid1(VALU_DEP_2)
	v_exp_f32_e32 v88, v88
	s_wait_alu 0xfffd
	v_cndmask_b32_e32 v108, 0x7f800000, v87, vcc_lo
	s_delay_alu instid0(TRANS32_DEP_1) | instskip(SKIP_1) | instid1(VALU_DEP_1)
	v_ldexp_f32 v88, v88, v89
	s_wait_alu 0xf1ff
	v_cndmask_b32_e64 v31, 0, v88, s3
	v_cmp_nlt_f32_e64 s3, 0x42b17218, v30
	s_wait_alu 0xf1ff
	s_delay_alu instid0(VALU_DEP_1) | instskip(SKIP_1) | instid1(VALU_DEP_2)
	v_cndmask_b32_e64 v107, 0x7f800000, v31, s3
	v_cvt_f16_f32_e32 v31, v108
	v_cvt_f16_f32_e32 v30, v107
	s_delay_alu instid0(VALU_DEP_1) | instskip(NEXT) | instid1(VALU_DEP_1)
	v_pack_b32_f16 v31, v30, v31
	v_wmma_f16_16x16x16_f16 v[20:23], v[39:42], v[31:34], v[20:23]
	v_wmma_f16_16x16x16_f16 v[16:19], v[35:38], v[31:34], v[16:19]
	ds_load_b32 v35, v70 offset:128
	ds_load_b32 v36, v71 offset:128
	;; [unrolled: 1-line block ×8, first 2 shown]
	v_wmma_f16_16x16x16_f16 v[12:15], v[83:86], v[31:34], v[12:15]
	v_wmma_f16_16x16x16_f16 v[8:11], v[79:82], v[31:34], v[8:11]
	v_add_nc_u32_e32 v84, 0xc00, v150
	s_wait_dscnt 0x6
	v_perm_b32 v30, v36, v35, 0x5040100
	s_delay_alu instid0(VALU_DEP_1) | instskip(SKIP_1) | instid1(VALU_DEP_1)
	v_wmma_f16_16x16x16_f16 v[4:7], v[27:30], v[31:34], v[4:7]
	v_perm_b32 v27, v36, v35, 0x7060302
	v_wmma_f16_16x16x16_f16 v[0:3], v[24:27], v[31:34], v[0:3]
	v_sub_f32_e32 v24, v68, v43
	s_delay_alu instid0(VALU_DEP_1) | instskip(SKIP_1) | instid1(VALU_DEP_2)
	v_mul_f32_e32 v25, 0x3fb8aa3b, v24
	v_cmp_ngt_f32_e64 s5, 0xc2ce8ed0, v24
	v_fma_f32 v26, 0x3fb8aa3b, v24, -v25
	v_rndne_f32_e32 v27, v25
	s_delay_alu instid0(VALU_DEP_1) | instskip(SKIP_1) | instid1(VALU_DEP_2)
	v_dual_fmac_f32 v26, 0x32a5705f, v24 :: v_dual_sub_f32 v25, v25, v27
	v_cvt_i32_f32_e32 v27, v27
	v_dual_add_f32 v25, v25, v26 :: v_dual_sub_f32 v26, v67, v43
	s_delay_alu instid0(VALU_DEP_1) | instskip(NEXT) | instid1(VALU_DEP_1)
	v_exp_f32_e32 v25, v25
	v_mul_f32_e32 v28, 0x3fb8aa3b, v26
	v_cmp_ngt_f32_e32 vcc_lo, 0xc2ce8ed0, v26
	s_delay_alu instid0(VALU_DEP_2) | instskip(SKIP_1) | instid1(TRANS32_DEP_1)
	v_fma_f32 v29, 0x3fb8aa3b, v26, -v28
	v_rndne_f32_e32 v30, v28
	v_ldexp_f32 v25, v25, v27
	s_delay_alu instid0(VALU_DEP_3) | instskip(NEXT) | instid1(VALU_DEP_3)
	v_fmac_f32_e32 v29, 0x32a5705f, v26
	v_sub_f32_e32 v28, v28, v30
	s_wait_alu 0xf1ff
	s_delay_alu instid0(VALU_DEP_3) | instskip(SKIP_1) | instid1(VALU_DEP_3)
	v_cndmask_b32_e64 v25, 0, v25, s5
	v_cmp_nlt_f32_e64 s5, 0x42b17218, v24
	v_dual_add_f32 v28, v28, v29 :: v_dual_sub_f32 v29, v66, v43
	s_wait_alu 0xf1ff
	s_delay_alu instid0(VALU_DEP_2) | instskip(NEXT) | instid1(VALU_DEP_2)
	v_cndmask_b32_e64 v86, 0x7f800000, v25, s5
	v_exp_f32_e32 v27, v28
	s_delay_alu instid0(VALU_DEP_2) | instskip(SKIP_3) | instid1(VALU_DEP_4)
	v_mul_f32_e32 v31, 0x3fb8aa3b, v29
	v_cvt_i32_f32_e32 v28, v30
	v_cmp_ngt_f32_e64 s3, 0xc2ce8ed0, v29
	v_cvt_f16_f32_e32 v24, v86
	v_fma_f32 v32, 0x3fb8aa3b, v29, -v31
	v_rndne_f32_e32 v33, v31
	s_delay_alu instid0(TRANS32_DEP_1) | instskip(NEXT) | instid1(VALU_DEP_3)
	v_ldexp_f32 v27, v27, v28
	v_fmac_f32_e32 v32, 0x32a5705f, v29
	s_delay_alu instid0(VALU_DEP_3)
	v_sub_f32_e32 v31, v31, v33
	v_cvt_i32_f32_e32 v30, v33
	s_wait_alu 0xfffd
	v_cndmask_b32_e32 v27, 0, v27, vcc_lo
	v_cmp_nlt_f32_e32 vcc_lo, 0x42b17218, v26
	v_dual_add_f32 v31, v31, v32 :: v_dual_sub_f32 v32, v65, v43
	s_wait_alu 0xfffd
	s_delay_alu instid0(VALU_DEP_3) | instskip(NEXT) | instid1(VALU_DEP_2)
	v_cndmask_b32_e32 v89, 0x7f800000, v27, vcc_lo
	v_exp_f32_e32 v28, v31
	s_delay_alu instid0(VALU_DEP_2) | instskip(SKIP_1) | instid1(VALU_DEP_2)
	v_mul_f32_e32 v34, 0x3fb8aa3b, v32
	v_cmp_ngt_f32_e64 s4, 0xc2ce8ed0, v32
	v_fma_f32 v35, 0x3fb8aa3b, v32, -v34
	v_rndne_f32_e32 v36, v34
	s_delay_alu instid0(TRANS32_DEP_1) | instskip(NEXT) | instid1(VALU_DEP_3)
	v_ldexp_f32 v28, v28, v30
	v_fmac_f32_e32 v35, 0x32a5705f, v32
	s_delay_alu instid0(VALU_DEP_3)
	v_sub_f32_e32 v34, v34, v36
	v_cvt_i32_f32_e32 v31, v36
	v_add_nc_u32_e32 v36, 0x1000, v150
	s_wait_alu 0xf1ff
	v_cndmask_b32_e64 v26, 0, v28, s3
	v_cmp_nlt_f32_e64 s3, 0x42b17218, v29
	v_add_f32_e32 v34, v34, v35
	s_wait_alu 0xf1ff
	s_delay_alu instid0(VALU_DEP_2) | instskip(NEXT) | instid1(VALU_DEP_2)
	v_cndmask_b32_e64 v87, 0x7f800000, v26, s3
	v_exp_f32_e32 v30, v34
	s_delay_alu instid0(VALU_DEP_1) | instskip(NEXT) | instid1(TRANS32_DEP_1)
	v_cvt_f16_f32_e32 v25, v87
	v_ldexp_f32 v30, v30, v31
	s_delay_alu instid0(VALU_DEP_1) | instskip(SKIP_2) | instid1(VALU_DEP_1)
	v_cndmask_b32_e64 v28, 0, v30, s4
	v_cmp_nlt_f32_e64 s4, 0x42b17218, v32
	s_wait_alu 0xf1ff
	v_cndmask_b32_e64 v88, 0x7f800000, v28, s4
	v_cvt_f16_f32_e32 v28, v89
	s_delay_alu instid0(VALU_DEP_2) | instskip(NEXT) | instid1(VALU_DEP_1)
	v_cvt_f16_f32_e32 v26, v88
	v_pack_b32_f16 v27, v25, v26
	s_delay_alu instid0(VALU_DEP_3) | instskip(SKIP_1) | instid1(VALU_DEP_1)
	v_pack_b32_f16 v26, v24, v28
	v_sub_f32_e32 v24, v64, v43
	v_mul_f32_e32 v25, 0x3fb8aa3b, v24
	v_cmp_ngt_f32_e32 vcc_lo, 0xc2ce8ed0, v24
	s_delay_alu instid0(VALU_DEP_2) | instskip(SKIP_1) | instid1(VALU_DEP_1)
	v_fma_f32 v28, 0x3fb8aa3b, v24, -v25
	v_rndne_f32_e32 v29, v25
	v_dual_fmac_f32 v28, 0x32a5705f, v24 :: v_dual_sub_f32 v25, v25, v29
	v_cvt_i32_f32_e32 v29, v29
	s_delay_alu instid0(VALU_DEP_2) | instskip(NEXT) | instid1(VALU_DEP_1)
	v_dual_add_f32 v25, v25, v28 :: v_dual_sub_f32 v28, v63, v43
	v_exp_f32_e32 v25, v25
	s_delay_alu instid0(VALU_DEP_1) | instskip(SKIP_1) | instid1(VALU_DEP_2)
	v_mul_f32_e32 v30, 0x3fb8aa3b, v28
	v_cmp_ngt_f32_e64 s3, 0xc2ce8ed0, v28
	v_fma_f32 v31, 0x3fb8aa3b, v28, -v30
	v_rndne_f32_e32 v32, v30
	s_delay_alu instid0(TRANS32_DEP_1) | instskip(NEXT) | instid1(VALU_DEP_3)
	v_ldexp_f32 v25, v25, v29
	v_fmac_f32_e32 v31, 0x32a5705f, v28
	s_wait_alu 0xfffd
	s_delay_alu instid0(VALU_DEP_2) | instskip(SKIP_2) | instid1(VALU_DEP_2)
	v_dual_sub_f32 v30, v30, v32 :: v_dual_cndmask_b32 v25, 0, v25
	v_cmp_nlt_f32_e32 vcc_lo, 0x42b17218, v24
	s_wait_alu 0xfffd
	v_dual_add_f32 v30, v30, v31 :: v_dual_cndmask_b32 v109, 0x7f800000, v25
	s_delay_alu instid0(VALU_DEP_1) | instskip(SKIP_1) | instid1(VALU_DEP_2)
	v_exp_f32_e32 v29, v30
	v_cvt_i32_f32_e32 v30, v32
	v_cvt_f16_f32_e32 v25, v109
	s_delay_alu instid0(TRANS32_DEP_1) | instid1(VALU_DEP_2)
	v_ldexp_f32 v29, v29, v30
	s_wait_alu 0xf1ff
	s_delay_alu instid0(VALU_DEP_1) | instskip(SKIP_2) | instid1(VALU_DEP_1)
	v_cndmask_b32_e64 v24, 0, v29, s3
	v_cmp_nlt_f32_e64 s3, 0x42b17218, v28
	s_wait_alu 0xf1ff
	v_cndmask_b32_e64 v90, 0x7f800000, v24, s3
	s_delay_alu instid0(VALU_DEP_1) | instskip(NEXT) | instid1(VALU_DEP_1)
	v_cvt_f16_f32_e32 v24, v90
	v_pack_b32_f16 v25, v24, v25
	v_sub_f32_e32 v24, v62, v43
	s_delay_alu instid0(VALU_DEP_1) | instskip(SKIP_1) | instid1(VALU_DEP_2)
	v_mul_f32_e32 v28, 0x3fb8aa3b, v24
	v_cmp_ngt_f32_e32 vcc_lo, 0xc2ce8ed0, v24
	v_fma_f32 v29, 0x3fb8aa3b, v24, -v28
	v_rndne_f32_e32 v30, v28
	s_delay_alu instid0(VALU_DEP_1) | instskip(SKIP_1) | instid1(VALU_DEP_2)
	v_dual_fmac_f32 v29, 0x32a5705f, v24 :: v_dual_sub_f32 v28, v28, v30
	v_cvt_i32_f32_e32 v30, v30
	v_dual_add_f32 v28, v28, v29 :: v_dual_sub_f32 v29, v61, v43
	s_delay_alu instid0(VALU_DEP_1) | instskip(NEXT) | instid1(VALU_DEP_1)
	v_exp_f32_e32 v28, v28
	v_mul_f32_e32 v31, 0x3fb8aa3b, v29
	v_cmp_ngt_f32_e64 s3, 0xc2ce8ed0, v29
	s_delay_alu instid0(VALU_DEP_2) | instskip(SKIP_1) | instid1(TRANS32_DEP_1)
	v_fma_f32 v32, 0x3fb8aa3b, v29, -v31
	v_rndne_f32_e32 v33, v31
	v_ldexp_f32 v28, v28, v30
	s_delay_alu instid0(VALU_DEP_3) | instskip(SKIP_1) | instid1(VALU_DEP_2)
	v_fmac_f32_e32 v32, 0x32a5705f, v29
	s_wait_alu 0xfffd
	v_dual_sub_f32 v31, v31, v33 :: v_dual_cndmask_b32 v28, 0, v28
	v_cmp_nlt_f32_e32 vcc_lo, 0x42b17218, v24
	s_delay_alu instid0(VALU_DEP_2) | instskip(SKIP_1) | instid1(VALU_DEP_3)
	v_add_f32_e32 v31, v31, v32
	s_wait_alu 0xfffd
	v_cndmask_b32_e32 v111, 0x7f800000, v28, vcc_lo
	s_delay_alu instid0(VALU_DEP_2) | instskip(SKIP_1) | instid1(VALU_DEP_2)
	v_exp_f32_e32 v30, v31
	v_cvt_i32_f32_e32 v31, v33
	v_cvt_f16_f32_e32 v28, v111
	s_delay_alu instid0(TRANS32_DEP_1) | instid1(VALU_DEP_2)
	v_ldexp_f32 v30, v30, v31
	s_wait_alu 0xf1ff
	s_delay_alu instid0(VALU_DEP_1) | instskip(SKIP_3) | instid1(VALU_DEP_2)
	v_cndmask_b32_e64 v24, 0, v30, s3
	v_cmp_nlt_f32_e64 s3, 0x42b17218, v29
	v_add_nc_u32_e32 v29, 0xc00, v71
	s_wait_alu 0xf1ff
	v_cndmask_b32_e64 v110, 0x7f800000, v24, s3
	s_delay_alu instid0(VALU_DEP_1) | instskip(NEXT) | instid1(VALU_DEP_1)
	v_cvt_f16_f32_e32 v24, v110
	v_pack_b32_f16 v24, v24, v28
	v_add_nc_u32_e32 v28, 0xc00, v70
	ds_load_2addr_b32 v[32:33], v28 offset0:64 offset1:80
	ds_load_2addr_b32 v[34:35], v29 offset0:64 offset1:80
	;; [unrolled: 1-line block ×8, first 2 shown]
	s_wait_dscnt 0x6
	v_perm_b32 v31, v34, v32, 0x5040100
	s_wait_dscnt 0x4
	v_perm_b32 v30, v64, v61, 0x5040100
	;; [unrolled: 2-line block ×4, first 2 shown]
	s_delay_alu instid0(VALU_DEP_1)
	v_wmma_f16_16x16x16_f16 v[20:23], v[28:31], v[24:27], v[20:23]
	v_perm_b32 v28, v82, v79, 0x7060302
	v_perm_b32 v29, v68, v65, 0x7060302
	;; [unrolled: 1-line block ×3, first 2 shown]
	ds_load_2addr_b32 v[64:65], v36 offset0:84 offset1:100
	ds_load_2addr_b32 v[82:83], v84 offset0:236 offset1:252
	;; [unrolled: 1-line block ×3, first 2 shown]
	v_perm_b32 v31, v34, v32, 0x7060302
	v_perm_b32 v34, v38, v37, 0x5040100
	s_delay_alu instid0(VALU_DEP_2)
	v_wmma_f16_16x16x16_f16 v[16:19], v[28:31], v[24:27], v[16:19]
	v_perm_b32 v31, v35, v33, 0x5040100
	s_wait_dscnt 0x2
	v_perm_b32 v30, v64, v62, 0x5040100
	s_wait_dscnt 0x1
	;; [unrolled: 2-line block ×3, first 2 shown]
	v_perm_b32 v28, v84, v80, 0x5040100
	v_perm_b32 v32, v83, v67, 0x5040100
	s_delay_alu instid0(VALU_DEP_2)
	v_wmma_f16_16x16x16_f16 v[12:15], v[28:31], v[24:27], v[12:15]
	v_perm_b32 v31, v35, v33, 0x7060302
	v_perm_b32 v28, v84, v80, 0x7060302
	;; [unrolled: 1-line block ×5, first 2 shown]
	s_delay_alu instid0(VALU_DEP_2)
	v_wmma_f16_16x16x16_f16 v[8:11], v[28:31], v[24:27], v[8:11]
	v_perm_b32 v31, v85, v81, 0x5040100
	v_perm_b32 v29, v83, v67, 0x7060302
	v_perm_b32 v30, v65, v63, 0x7060302
	v_perm_b32 v28, v85, v81, 0x7060302
	v_add_nc_u32_e32 v63, 0x1800, v150
	v_wmma_f16_16x16x16_f16 v[4:7], v[31:34], v[24:27], v[4:7]
	v_perm_b32 v31, v38, v37, 0x7060302
	v_add_nc_u32_e32 v38, 0x1c00, v150
	s_delay_alu instid0(VALU_DEP_2) | instskip(SKIP_1) | instid1(VALU_DEP_1)
	v_wmma_f16_16x16x16_f16 v[0:3], v[28:31], v[24:27], v[0:3]
	v_sub_f32_e32 v24, v60, v43
	v_mul_f32_e32 v25, 0x3fb8aa3b, v24
	v_cmp_ngt_f32_e64 s5, 0xc2ce8ed0, v24
	s_delay_alu instid0(VALU_DEP_2) | instskip(SKIP_1) | instid1(VALU_DEP_1)
	v_fma_f32 v26, 0x3fb8aa3b, v24, -v25
	v_rndne_f32_e32 v27, v25
	v_dual_fmac_f32 v26, 0x32a5705f, v24 :: v_dual_sub_f32 v25, v25, v27
	v_cvt_i32_f32_e32 v27, v27
	s_delay_alu instid0(VALU_DEP_2) | instskip(NEXT) | instid1(VALU_DEP_1)
	v_dual_add_f32 v25, v25, v26 :: v_dual_sub_f32 v26, v59, v43
	v_exp_f32_e32 v25, v25
	s_delay_alu instid0(VALU_DEP_1) | instskip(SKIP_1) | instid1(VALU_DEP_2)
	v_mul_f32_e32 v28, 0x3fb8aa3b, v26
	v_cmp_ngt_f32_e32 vcc_lo, 0xc2ce8ed0, v26
	v_fma_f32 v29, 0x3fb8aa3b, v26, -v28
	v_rndne_f32_e32 v30, v28
	s_delay_alu instid0(TRANS32_DEP_1) | instskip(NEXT) | instid1(VALU_DEP_3)
	v_ldexp_f32 v25, v25, v27
	v_fmac_f32_e32 v29, 0x32a5705f, v26
	s_delay_alu instid0(VALU_DEP_3) | instskip(SKIP_1) | instid1(VALU_DEP_3)
	v_sub_f32_e32 v28, v28, v30
	s_wait_alu 0xf1ff
	v_cndmask_b32_e64 v25, 0, v25, s5
	v_cmp_nlt_f32_e64 s5, 0x42b17218, v24
	s_delay_alu instid0(VALU_DEP_3) | instskip(SKIP_1) | instid1(VALU_DEP_2)
	v_add_f32_e32 v28, v28, v29
	s_wait_alu 0xf1ff
	v_cndmask_b32_e64 v64, 0x7f800000, v25, s5
	s_delay_alu instid0(VALU_DEP_2) | instskip(SKIP_1) | instid1(VALU_DEP_2)
	v_exp_f32_e32 v27, v28
	v_cvt_i32_f32_e32 v28, v30
	v_cvt_f16_f32_e32 v24, v64
	s_delay_alu instid0(TRANS32_DEP_1) | instid1(VALU_DEP_2)
	v_ldexp_f32 v27, v27, v28
	v_sub_f32_e32 v28, v58, v43
	s_wait_alu 0xfffd
	s_delay_alu instid0(VALU_DEP_2) | instskip(NEXT) | instid1(VALU_DEP_2)
	v_cndmask_b32_e32 v27, 0, v27, vcc_lo
	v_mul_f32_e32 v29, 0x3fb8aa3b, v28
	v_cmp_nlt_f32_e32 vcc_lo, 0x42b17218, v26
	v_sub_f32_e32 v26, v57, v43
	v_cmp_ngt_f32_e64 s3, 0xc2ce8ed0, v28
	s_delay_alu instid0(VALU_DEP_4) | instskip(SKIP_1) | instid1(VALU_DEP_4)
	v_fma_f32 v30, 0x3fb8aa3b, v28, -v29
	v_rndne_f32_e32 v31, v29
	v_cmp_ngt_f32_e64 s4, 0xc2ce8ed0, v26
	s_wait_alu 0xfffd
	v_cndmask_b32_e32 v67, 0x7f800000, v27, vcc_lo
	s_delay_alu instid0(VALU_DEP_3) | instskip(SKIP_1) | instid1(VALU_DEP_2)
	v_dual_fmac_f32 v30, 0x32a5705f, v28 :: v_dual_sub_f32 v29, v29, v31
	v_cvt_i32_f32_e32 v31, v31
	v_add_f32_e32 v29, v29, v30
	v_mul_f32_e32 v30, 0x3fb8aa3b, v26
	s_delay_alu instid0(VALU_DEP_2) | instskip(NEXT) | instid1(VALU_DEP_1)
	v_exp_f32_e32 v29, v29
	v_fma_f32 v32, 0x3fb8aa3b, v26, -v30
	v_rndne_f32_e32 v33, v30
	s_delay_alu instid0(VALU_DEP_2) | instskip(NEXT) | instid1(VALU_DEP_2)
	v_fmac_f32_e32 v32, 0x32a5705f, v26
	v_sub_f32_e32 v30, v30, v33
	s_delay_alu instid0(TRANS32_DEP_1) | instskip(SKIP_1) | instid1(VALU_DEP_3)
	v_ldexp_f32 v29, v29, v31
	v_cvt_i32_f32_e32 v31, v33
	v_add_f32_e32 v30, v30, v32
	s_wait_alu 0xf1ff
	s_delay_alu instid0(VALU_DEP_3) | instskip(SKIP_1) | instid1(VALU_DEP_3)
	v_cndmask_b32_e64 v29, 0, v29, s3
	v_cmp_nlt_f32_e64 s3, 0x42b17218, v28
	v_exp_f32_e32 v30, v30
	s_wait_alu 0xf1ff
	s_delay_alu instid0(VALU_DEP_1) | instskip(NEXT) | instid1(VALU_DEP_1)
	v_cndmask_b32_e64 v65, 0x7f800000, v29, s3
	v_cvt_f16_f32_e32 v25, v65
	s_delay_alu instid0(TRANS32_DEP_1) | instskip(NEXT) | instid1(VALU_DEP_1)
	v_ldexp_f32 v30, v30, v31
	v_cndmask_b32_e64 v28, 0, v30, s4
	v_cmp_nlt_f32_e64 s4, 0x42b17218, v26
	s_wait_alu 0xf1ff
	s_delay_alu instid0(VALU_DEP_1) | instskip(SKIP_1) | instid1(VALU_DEP_2)
	v_cndmask_b32_e64 v66, 0x7f800000, v28, s4
	v_cvt_f16_f32_e32 v28, v67
	v_cvt_f16_f32_e32 v26, v66
	s_delay_alu instid0(VALU_DEP_1) | instskip(NEXT) | instid1(VALU_DEP_3)
	v_pack_b32_f16 v27, v25, v26
	v_pack_b32_f16 v26, v24, v28
	v_sub_f32_e32 v24, v56, v43
	s_delay_alu instid0(VALU_DEP_1) | instskip(SKIP_1) | instid1(VALU_DEP_2)
	v_mul_f32_e32 v25, 0x3fb8aa3b, v24
	v_cmp_ngt_f32_e32 vcc_lo, 0xc2ce8ed0, v24
	v_fma_f32 v28, 0x3fb8aa3b, v24, -v25
	v_rndne_f32_e32 v29, v25
	s_delay_alu instid0(VALU_DEP_1) | instskip(SKIP_1) | instid1(VALU_DEP_2)
	v_dual_fmac_f32 v28, 0x32a5705f, v24 :: v_dual_sub_f32 v25, v25, v29
	v_cvt_i32_f32_e32 v29, v29
	v_dual_add_f32 v25, v25, v28 :: v_dual_sub_f32 v28, v55, v43
	s_delay_alu instid0(VALU_DEP_1) | instskip(NEXT) | instid1(VALU_DEP_1)
	v_exp_f32_e32 v25, v25
	v_mul_f32_e32 v30, 0x3fb8aa3b, v28
	v_cmp_ngt_f32_e64 s3, 0xc2ce8ed0, v28
	s_delay_alu instid0(VALU_DEP_2) | instskip(SKIP_1) | instid1(TRANS32_DEP_1)
	v_fma_f32 v31, 0x3fb8aa3b, v28, -v30
	v_rndne_f32_e32 v32, v30
	v_ldexp_f32 v25, v25, v29
	s_delay_alu instid0(VALU_DEP_3) | instskip(SKIP_1) | instid1(VALU_DEP_2)
	v_fmac_f32_e32 v31, 0x32a5705f, v28
	s_wait_alu 0xfffd
	v_dual_sub_f32 v30, v30, v32 :: v_dual_cndmask_b32 v25, 0, v25
	v_cmp_nlt_f32_e32 vcc_lo, 0x42b17218, v24
	s_wait_alu 0xfffd
	s_delay_alu instid0(VALU_DEP_2) | instskip(NEXT) | instid1(VALU_DEP_1)
	v_dual_add_f32 v30, v30, v31 :: v_dual_cndmask_b32 v79, 0x7f800000, v25
	v_exp_f32_e32 v29, v30
	v_cvt_i32_f32_e32 v30, v32
	s_delay_alu instid0(VALU_DEP_2)
	v_cvt_f16_f32_e32 v25, v79
	s_delay_alu instid0(TRANS32_DEP_1) | instid1(VALU_DEP_2)
	v_ldexp_f32 v29, v29, v30
	s_wait_alu 0xf1ff
	s_delay_alu instid0(VALU_DEP_1) | instskip(SKIP_2) | instid1(VALU_DEP_1)
	v_cndmask_b32_e64 v24, 0, v29, s3
	v_cmp_nlt_f32_e64 s3, 0x42b17218, v28
	s_wait_alu 0xf1ff
	v_cndmask_b32_e64 v68, 0x7f800000, v24, s3
	s_delay_alu instid0(VALU_DEP_1) | instskip(NEXT) | instid1(VALU_DEP_1)
	v_cvt_f16_f32_e32 v24, v68
	v_pack_b32_f16 v25, v24, v25
	v_sub_f32_e32 v24, v54, v43
	s_delay_alu instid0(VALU_DEP_1) | instskip(SKIP_1) | instid1(VALU_DEP_2)
	v_mul_f32_e32 v28, 0x3fb8aa3b, v24
	v_cmp_ngt_f32_e32 vcc_lo, 0xc2ce8ed0, v24
	v_fma_f32 v29, 0x3fb8aa3b, v24, -v28
	v_rndne_f32_e32 v30, v28
	s_delay_alu instid0(VALU_DEP_1) | instskip(SKIP_1) | instid1(VALU_DEP_2)
	v_dual_fmac_f32 v29, 0x32a5705f, v24 :: v_dual_sub_f32 v28, v28, v30
	v_cvt_i32_f32_e32 v30, v30
	v_dual_add_f32 v28, v28, v29 :: v_dual_sub_f32 v29, v53, v43
	s_delay_alu instid0(VALU_DEP_1) | instskip(NEXT) | instid1(VALU_DEP_1)
	v_exp_f32_e32 v28, v28
	v_mul_f32_e32 v31, 0x3fb8aa3b, v29
	v_cmp_ngt_f32_e64 s3, 0xc2ce8ed0, v29
	s_delay_alu instid0(VALU_DEP_2) | instskip(SKIP_1) | instid1(TRANS32_DEP_1)
	v_fma_f32 v32, 0x3fb8aa3b, v29, -v31
	v_rndne_f32_e32 v33, v31
	v_ldexp_f32 v28, v28, v30
	s_delay_alu instid0(VALU_DEP_3) | instskip(SKIP_1) | instid1(VALU_DEP_2)
	v_fmac_f32_e32 v32, 0x32a5705f, v29
	s_wait_alu 0xfffd
	v_dual_sub_f32 v31, v31, v33 :: v_dual_cndmask_b32 v28, 0, v28
	v_cmp_nlt_f32_e32 vcc_lo, 0x42b17218, v24
	s_delay_alu instid0(VALU_DEP_2) | instskip(SKIP_1) | instid1(VALU_DEP_3)
	v_add_f32_e32 v31, v31, v32
	s_wait_alu 0xfffd
	v_cndmask_b32_e32 v81, 0x7f800000, v28, vcc_lo
	s_delay_alu instid0(VALU_DEP_2) | instskip(SKIP_1) | instid1(VALU_DEP_2)
	v_exp_f32_e32 v30, v31
	v_cvt_i32_f32_e32 v31, v33
	v_cvt_f16_f32_e32 v28, v81
	s_delay_alu instid0(TRANS32_DEP_1) | instid1(VALU_DEP_2)
	v_ldexp_f32 v30, v30, v31
	s_wait_alu 0xf1ff
	s_delay_alu instid0(VALU_DEP_1) | instskip(SKIP_3) | instid1(VALU_DEP_2)
	v_cndmask_b32_e64 v24, 0, v30, s3
	v_cmp_nlt_f32_e64 s3, 0x42b17218, v29
	v_add_nc_u32_e32 v29, 0x1800, v71
	s_wait_alu 0xf1ff
	v_cndmask_b32_e64 v80, 0x7f800000, v24, s3
	s_delay_alu instid0(VALU_DEP_1) | instskip(NEXT) | instid1(VALU_DEP_1)
	v_cvt_f16_f32_e32 v24, v80
	v_pack_b32_f16 v24, v24, v28
	v_add_nc_u32_e32 v28, 0x1800, v70
	ds_load_2addr_b32 v[32:33], v28 offset0:128 offset1:144
	ds_load_2addr_b32 v[34:35], v29 offset0:128 offset1:144
	;; [unrolled: 1-line block ×8, first 2 shown]
	s_wait_dscnt 0x6
	v_perm_b32 v31, v34, v32, 0x5040100
	s_wait_dscnt 0x4
	v_perm_b32 v30, v54, v36, 0x5040100
	;; [unrolled: 2-line block ×4, first 2 shown]
	s_delay_alu instid0(VALU_DEP_1)
	v_wmma_f16_16x16x16_f16 v[20:23], v[28:31], v[24:27], v[20:23]
	v_perm_b32 v28, v62, v59, 0x7060302
	v_perm_b32 v29, v58, v55, 0x7060302
	;; [unrolled: 1-line block ×3, first 2 shown]
	ds_load_2addr_b32 v[54:55], v38 offset0:148 offset1:164
	ds_load_2addr_b32 v[58:59], v38 offset0:44 offset1:60
	;; [unrolled: 1-line block ×3, first 2 shown]
	v_perm_b32 v31, v34, v32, 0x7060302
	v_perm_b32 v34, v40, v39, 0x5040100
	s_delay_alu instid0(VALU_DEP_2)
	v_wmma_f16_16x16x16_f16 v[16:19], v[28:31], v[24:27], v[16:19]
	v_perm_b32 v31, v35, v33, 0x5040100
	s_wait_dscnt 0x2
	v_perm_b32 v30, v54, v37, 0x5040100
	s_wait_dscnt 0x1
	;; [unrolled: 2-line block ×3, first 2 shown]
	v_perm_b32 v28, v62, v60, 0x5040100
	v_perm_b32 v32, v59, v57, 0x5040100
	s_delay_alu instid0(VALU_DEP_2)
	v_wmma_f16_16x16x16_f16 v[12:15], v[28:31], v[24:27], v[12:15]
	v_perm_b32 v31, v35, v33, 0x7060302
	v_perm_b32 v28, v62, v60, 0x7060302
	;; [unrolled: 1-line block ×5, first 2 shown]
	s_delay_alu instid0(VALU_DEP_2) | instskip(SKIP_4) | instid1(VALU_DEP_4)
	v_wmma_f16_16x16x16_f16 v[8:11], v[28:31], v[24:27], v[8:11]
	v_perm_b32 v31, v63, v61, 0x5040100
	v_perm_b32 v29, v59, v57, 0x7060302
	;; [unrolled: 1-line block ×4, first 2 shown]
	v_wmma_f16_16x16x16_f16 v[4:7], v[31:34], v[24:27], v[4:7]
	v_perm_b32 v31, v40, v39, 0x7060302
	s_delay_alu instid0(VALU_DEP_1) | instskip(SKIP_1) | instid1(VALU_DEP_1)
	v_wmma_f16_16x16x16_f16 v[0:3], v[28:31], v[24:27], v[0:3]
	v_sub_f32_e32 v24, v52, v43
	v_mul_f32_e32 v25, 0x3fb8aa3b, v24
	v_cmp_ngt_f32_e64 s5, 0xc2ce8ed0, v24
	s_delay_alu instid0(VALU_DEP_2) | instskip(SKIP_1) | instid1(VALU_DEP_1)
	v_fma_f32 v26, 0x3fb8aa3b, v24, -v25
	v_rndne_f32_e32 v27, v25
	v_dual_fmac_f32 v26, 0x32a5705f, v24 :: v_dual_sub_f32 v25, v25, v27
	v_cvt_i32_f32_e32 v27, v27
	s_delay_alu instid0(VALU_DEP_2) | instskip(NEXT) | instid1(VALU_DEP_1)
	v_dual_add_f32 v25, v25, v26 :: v_dual_sub_f32 v26, v51, v43
	v_exp_f32_e32 v25, v25
	s_delay_alu instid0(VALU_DEP_1) | instskip(SKIP_1) | instid1(VALU_DEP_2)
	v_mul_f32_e32 v28, 0x3fb8aa3b, v26
	v_cmp_ngt_f32_e32 vcc_lo, 0xc2ce8ed0, v26
	v_fma_f32 v29, 0x3fb8aa3b, v26, -v28
	v_rndne_f32_e32 v30, v28
	s_delay_alu instid0(TRANS32_DEP_1) | instskip(NEXT) | instid1(VALU_DEP_3)
	v_ldexp_f32 v25, v25, v27
	v_fmac_f32_e32 v29, 0x32a5705f, v26
	s_delay_alu instid0(VALU_DEP_3) | instskip(SKIP_1) | instid1(VALU_DEP_3)
	v_sub_f32_e32 v28, v28, v30
	s_wait_alu 0xf1ff
	v_cndmask_b32_e64 v25, 0, v25, s5
	v_cmp_nlt_f32_e64 s5, 0x42b17218, v24
	s_delay_alu instid0(VALU_DEP_3) | instskip(SKIP_1) | instid1(VALU_DEP_2)
	v_add_f32_e32 v28, v28, v29
	s_wait_alu 0xf1ff
	v_cndmask_b32_e64 v40, 0x7f800000, v25, s5
	s_delay_alu instid0(VALU_DEP_2) | instskip(SKIP_1) | instid1(VALU_DEP_2)
	v_exp_f32_e32 v27, v28
	v_cvt_i32_f32_e32 v28, v30
	v_cvt_f16_f32_e32 v24, v40
	s_delay_alu instid0(TRANS32_DEP_1) | instid1(VALU_DEP_2)
	v_ldexp_f32 v27, v27, v28
	v_sub_f32_e32 v28, v50, v43
	s_wait_alu 0xfffd
	s_delay_alu instid0(VALU_DEP_2) | instskip(NEXT) | instid1(VALU_DEP_2)
	v_cndmask_b32_e32 v27, 0, v27, vcc_lo
	v_mul_f32_e32 v29, 0x3fb8aa3b, v28
	v_cmp_nlt_f32_e32 vcc_lo, 0x42b17218, v26
	v_cmp_ngt_f32_e64 s3, 0xc2ce8ed0, v28
	s_delay_alu instid0(VALU_DEP_3) | instskip(SKIP_3) | instid1(VALU_DEP_2)
	v_fma_f32 v30, 0x3fb8aa3b, v28, -v29
	v_rndne_f32_e32 v31, v29
	s_wait_alu 0xfffd
	v_cndmask_b32_e32 v61, 0x7f800000, v27, vcc_lo
	v_dual_fmac_f32 v30, 0x32a5705f, v28 :: v_dual_sub_f32 v29, v29, v31
	s_delay_alu instid0(VALU_DEP_1) | instskip(SKIP_1) | instid1(VALU_DEP_2)
	v_add_f32_e32 v29, v29, v30
	v_sub_f32_e32 v30, v49, v43
	v_exp_f32_e32 v26, v29
	s_delay_alu instid0(VALU_DEP_1) | instskip(SKIP_2) | instid1(VALU_DEP_3)
	v_mul_f32_e32 v32, 0x3fb8aa3b, v30
	v_cvt_i32_f32_e32 v29, v31
	v_cmp_ngt_f32_e64 s4, 0xc2ce8ed0, v30
	v_fma_f32 v33, 0x3fb8aa3b, v30, -v32
	v_rndne_f32_e32 v34, v32
	s_delay_alu instid0(TRANS32_DEP_1) | instid1(VALU_DEP_4)
	v_ldexp_f32 v26, v26, v29
	s_delay_alu instid0(VALU_DEP_3) | instskip(NEXT) | instid1(VALU_DEP_3)
	v_fmac_f32_e32 v33, 0x32a5705f, v30
	v_sub_f32_e32 v32, v32, v34
	v_cvt_i32_f32_e32 v31, v34
	s_wait_alu 0xf1ff
	v_cndmask_b32_e64 v26, 0, v26, s3
	v_cmp_nlt_f32_e64 s3, 0x42b17218, v28
	v_add_f32_e32 v32, v32, v33
	s_wait_alu 0xf1ff
	s_delay_alu instid0(VALU_DEP_2) | instskip(NEXT) | instid1(VALU_DEP_2)
	v_cndmask_b32_e64 v59, 0x7f800000, v26, s3
	v_exp_f32_e32 v29, v32
	s_delay_alu instid0(VALU_DEP_1) | instskip(NEXT) | instid1(TRANS32_DEP_1)
	v_cvt_f16_f32_e32 v25, v59
	v_ldexp_f32 v29, v29, v31
	s_delay_alu instid0(VALU_DEP_1) | instskip(SKIP_2) | instid1(VALU_DEP_1)
	v_cndmask_b32_e64 v28, 0, v29, s4
	v_cmp_nlt_f32_e64 s4, 0x42b17218, v30
	s_wait_alu 0xf1ff
	v_cndmask_b32_e64 v60, 0x7f800000, v28, s4
	v_cvt_f16_f32_e32 v28, v61
	s_delay_alu instid0(VALU_DEP_2) | instskip(NEXT) | instid1(VALU_DEP_1)
	v_cvt_f16_f32_e32 v26, v60
	v_pack_b32_f16 v27, v25, v26
	s_delay_alu instid0(VALU_DEP_3) | instskip(SKIP_1) | instid1(VALU_DEP_1)
	v_pack_b32_f16 v26, v24, v28
	v_sub_f32_e32 v24, v48, v43
	v_mul_f32_e32 v25, 0x3fb8aa3b, v24
	v_cmp_ngt_f32_e32 vcc_lo, 0xc2ce8ed0, v24
	s_delay_alu instid0(VALU_DEP_2) | instskip(SKIP_1) | instid1(VALU_DEP_1)
	v_fma_f32 v28, 0x3fb8aa3b, v24, -v25
	v_rndne_f32_e32 v29, v25
	v_dual_fmac_f32 v28, 0x32a5705f, v24 :: v_dual_sub_f32 v25, v25, v29
	v_cvt_i32_f32_e32 v29, v29
	s_delay_alu instid0(VALU_DEP_2) | instskip(NEXT) | instid1(VALU_DEP_1)
	v_dual_add_f32 v25, v25, v28 :: v_dual_sub_f32 v28, v47, v43
	v_exp_f32_e32 v25, v25
	s_delay_alu instid0(VALU_DEP_1) | instskip(SKIP_1) | instid1(VALU_DEP_2)
	v_mul_f32_e32 v30, 0x3fb8aa3b, v28
	v_cmp_ngt_f32_e64 s3, 0xc2ce8ed0, v28
	v_fma_f32 v31, 0x3fb8aa3b, v28, -v30
	v_rndne_f32_e32 v32, v30
	s_delay_alu instid0(TRANS32_DEP_1) | instskip(NEXT) | instid1(VALU_DEP_3)
	v_ldexp_f32 v25, v25, v29
	v_fmac_f32_e32 v31, 0x32a5705f, v28
	s_wait_alu 0xfffd
	s_delay_alu instid0(VALU_DEP_2) | instskip(SKIP_2) | instid1(VALU_DEP_2)
	v_dual_sub_f32 v30, v30, v32 :: v_dual_cndmask_b32 v25, 0, v25
	v_cmp_nlt_f32_e32 vcc_lo, 0x42b17218, v24
	s_wait_alu 0xfffd
	v_dual_add_f32 v30, v30, v31 :: v_dual_cndmask_b32 v63, 0x7f800000, v25
	s_delay_alu instid0(VALU_DEP_1) | instskip(SKIP_1) | instid1(VALU_DEP_2)
	v_exp_f32_e32 v29, v30
	v_cvt_i32_f32_e32 v30, v32
	v_cvt_f16_f32_e32 v25, v63
	s_delay_alu instid0(TRANS32_DEP_1) | instid1(VALU_DEP_2)
	v_ldexp_f32 v29, v29, v30
	s_wait_alu 0xf1ff
	s_delay_alu instid0(VALU_DEP_1) | instskip(SKIP_2) | instid1(VALU_DEP_1)
	v_cndmask_b32_e64 v24, 0, v29, s3
	v_cmp_nlt_f32_e64 s3, 0x42b17218, v28
	s_wait_alu 0xf1ff
	v_cndmask_b32_e64 v62, 0x7f800000, v24, s3
	s_delay_alu instid0(VALU_DEP_1) | instskip(NEXT) | instid1(VALU_DEP_1)
	v_cvt_f16_f32_e32 v24, v62
	v_pack_b32_f16 v25, v24, v25
	v_sub_f32_e32 v24, v46, v43
	s_delay_alu instid0(VALU_DEP_1) | instskip(SKIP_1) | instid1(VALU_DEP_2)
	v_mul_f32_e32 v28, 0x3fb8aa3b, v24
	v_cmp_ngt_f32_e32 vcc_lo, 0xc2ce8ed0, v24
	v_fma_f32 v29, 0x3fb8aa3b, v24, -v28
	v_rndne_f32_e32 v30, v28
	s_delay_alu instid0(VALU_DEP_1) | instskip(SKIP_1) | instid1(VALU_DEP_2)
	v_dual_fmac_f32 v29, 0x32a5705f, v24 :: v_dual_sub_f32 v28, v28, v30
	v_cvt_i32_f32_e32 v30, v30
	v_dual_add_f32 v28, v28, v29 :: v_dual_sub_f32 v29, v45, v43
	s_delay_alu instid0(VALU_DEP_1) | instskip(NEXT) | instid1(VALU_DEP_1)
	v_exp_f32_e32 v28, v28
	v_mul_f32_e32 v31, 0x3fb8aa3b, v29
	v_cmp_ngt_f32_e64 s3, 0xc2ce8ed0, v29
	s_delay_alu instid0(VALU_DEP_2) | instskip(SKIP_1) | instid1(TRANS32_DEP_1)
	v_fma_f32 v32, 0x3fb8aa3b, v29, -v31
	v_rndne_f32_e32 v33, v31
	v_ldexp_f32 v28, v28, v30
	s_delay_alu instid0(VALU_DEP_3) | instskip(SKIP_1) | instid1(VALU_DEP_2)
	v_fmac_f32_e32 v32, 0x32a5705f, v29
	s_wait_alu 0xfffd
	v_dual_sub_f32 v31, v31, v33 :: v_dual_cndmask_b32 v28, 0, v28
	v_cmp_nlt_f32_e32 vcc_lo, 0x42b17218, v24
	s_delay_alu instid0(VALU_DEP_2) | instskip(SKIP_1) | instid1(VALU_DEP_3)
	v_add_f32_e32 v31, v31, v32
	s_wait_alu 0xfffd
	v_cndmask_b32_e32 v83, 0x7f800000, v28, vcc_lo
	s_delay_alu instid0(VALU_DEP_2) | instskip(SKIP_1) | instid1(VALU_DEP_2)
	v_exp_f32_e32 v30, v31
	v_cvt_i32_f32_e32 v31, v33
	v_cvt_f16_f32_e32 v28, v83
	s_delay_alu instid0(TRANS32_DEP_1) | instid1(VALU_DEP_2)
	v_ldexp_f32 v30, v30, v31
	s_wait_alu 0xf1ff
	s_delay_alu instid0(VALU_DEP_1) | instskip(SKIP_3) | instid1(VALU_DEP_2)
	v_cndmask_b32_e64 v24, 0, v30, s3
	v_cmp_nlt_f32_e64 s3, 0x42b17218, v29
	v_add_nc_u32_e32 v29, 0x2400, v71
	s_wait_alu 0xf1ff
	v_cndmask_b32_e64 v82, 0x7f800000, v24, s3
	s_delay_alu instid0(VALU_DEP_1) | instskip(NEXT) | instid1(VALU_DEP_1)
	v_cvt_f16_f32_e32 v24, v82
	v_pack_b32_f16 v24, v24, v28
	v_add_nc_u32_e32 v28, 0x2400, v70
	v_add_nc_u32_e32 v70, 0x2800, v150
	ds_load_2addr_b32 v[32:33], v28 offset0:192 offset1:208
	ds_load_2addr_b32 v[35:36], v29 offset0:192 offset1:208
	;; [unrolled: 1-line block ×4, first 2 shown]
	v_add_nc_u32_e32 v28, 0x2400, v150
	ds_load_2addr_b32 v[47:48], v70 offset0:40 offset1:56
	ds_load_2addr_b32 v[49:50], v70 offset0:72 offset1:92
	;; [unrolled: 1-line block ×6, first 2 shown]
	s_wait_dscnt 0x8
	v_perm_b32 v31, v35, v32, 0x5040100
	v_perm_b32 v39, v36, v33, 0x5040100
	s_wait_dscnt 0x6
	v_perm_b32 v30, v46, v37, 0x5040100
	s_wait_dscnt 0x4
	;; [unrolled: 2-line block ×4, first 2 shown]
	v_perm_b32 v34, v55, v38, 0x7060302
	v_perm_b32 v38, v55, v38, 0x5040100
	s_delay_alu instid0(VALU_DEP_3)
	v_wmma_f16_16x16x16_f16 v[20:23], v[28:31], v[24:27], v[20:23]
	v_perm_b32 v28, v54, v51, 0x7060302
	ds_load_2addr_b32 v[54:55], v70 offset0:4 offset1:20
	v_perm_b32 v30, v46, v37, 0x7060302
	v_perm_b32 v31, v35, v32, 0x7060302
	;; [unrolled: 1-line block ×4, first 2 shown]
	s_wait_dscnt 0x1
	v_perm_b32 v33, v57, v48, 0x7060302
	v_perm_b32 v37, v57, v48, 0x5040100
	;; [unrolled: 1-line block ×7, first 2 shown]
	v_wmma_f16_16x16x16_f16 v[16:19], v[28:31], v[24:27], v[16:19]
	s_wait_loadcnt_dscnt 0x0
	s_barrier_signal -1
	s_barrier_wait -1
	global_inv scope:SCOPE_SE
	v_perm_b32 v48, v55, v53, 0x5040100
	v_perm_b32 v36, v54, v52, 0x5040100
	v_perm_b32 v32, v54, v52, 0x7060302
	v_perm_b32 v45, v55, v53, 0x7060302
	s_delay_alu instid0(VALU_DEP_4) | instskip(SKIP_3) | instid1(VALU_DEP_3)
	v_wmma_f16_16x16x16_f16 v[4:7], v[48:51], v[24:27], v[4:7]
	v_perm_b32 v48, v41, v42, 0x7060302
	v_wmma_f16_16x16x16_f16 v[12:15], v[36:39], v[24:27], v[12:15]
	v_wmma_f16_16x16x16_f16 v[8:11], v[32:35], v[24:27], v[8:11]
	;; [unrolled: 1-line block ×3, first 2 shown]
	v_add_f32_e32 v24, v107, v108
	s_delay_alu instid0(VALU_DEP_1) | instskip(NEXT) | instid1(VALU_DEP_1)
	v_add_f32_e32 v24, v72, v24
	v_add_f32_e32 v24, v106, v24
	s_delay_alu instid0(VALU_DEP_1) | instskip(NEXT) | instid1(VALU_DEP_1)
	v_add_f32_e32 v24, v77, v24
	;; [unrolled: 3-line block ×15, first 2 shown]
	v_add_f32_e32 v24, v60, v24
	s_delay_alu instid0(VALU_DEP_1)
	v_fmac_f32_e32 v24, v184, v69
	ds_bpermute_b32 v25, v44, v24
	s_wait_dscnt 0x0
	v_add_f32_e32 v36, v24, v25
	s_cbranch_scc0 .LBB14_476
; %bb.347:                              ;   in Loop: Header=BB14_9 Depth=1
	scratch_load_b32 v24, off, off offset:12 ; 4-byte Folded Reload
	s_wait_loadcnt 0x0
	v_dual_max_num_f32 v25, v43, v43 :: v_dual_lshlrev_b32 v24, 2, v24
	global_load_b32 v24, v24, s[74:75]
	s_wait_loadcnt 0x0
	v_max_num_f32_e32 v26, v24, v24
	s_delay_alu instid0(VALU_DEP_1) | instskip(NEXT) | instid1(VALU_DEP_1)
	v_max_num_f32_e32 v37, v25, v26
	v_sub_f32_e32 v25, v43, v37
	s_delay_alu instid0(VALU_DEP_1) | instskip(SKIP_2) | instid1(VALU_DEP_3)
	v_mul_f32_e32 v26, 0x3fb8aa3b, v25
	v_sub_f32_e32 v24, v24, v37
	v_cmp_ngt_f32_e32 vcc_lo, 0xc2ce8ed0, v25
	v_fma_f32 v27, 0x3fb8aa3b, v25, -v26
	v_rndne_f32_e32 v28, v26
	s_delay_alu instid0(VALU_DEP_1) | instskip(SKIP_1) | instid1(VALU_DEP_2)
	v_dual_fmac_f32 v27, 0x32a5705f, v25 :: v_dual_sub_f32 v26, v26, v28
	v_cvt_i32_f32_e32 v28, v28
	v_dual_add_f32 v26, v26, v27 :: v_dual_mul_f32 v27, 0x3fb8aa3b, v24
	s_delay_alu instid0(VALU_DEP_1) | instskip(NEXT) | instid1(VALU_DEP_1)
	v_exp_f32_e32 v26, v26
	v_fma_f32 v29, 0x3fb8aa3b, v24, -v27
	v_rndne_f32_e32 v30, v27
	s_delay_alu instid0(VALU_DEP_1) | instskip(NEXT) | instid1(TRANS32_DEP_1)
	v_sub_f32_e32 v27, v27, v30
	v_ldexp_f32 v26, v26, v28
	s_wait_alu 0xfffd
	s_delay_alu instid0(VALU_DEP_1) | instskip(SKIP_2) | instid1(VALU_DEP_2)
	v_dual_fmac_f32 v29, 0x32a5705f, v24 :: v_dual_cndmask_b32 v26, 0, v26
	v_cmp_nlt_f32_e32 vcc_lo, 0x42b17218, v25
	s_wait_alu 0xfffd
	v_dual_add_f32 v27, v27, v29 :: v_dual_cndmask_b32 v26, 0x7f800000, v26
	s_delay_alu instid0(VALU_DEP_1)
	v_exp_f32_e32 v27, v27
	v_cmp_le_f32_e32 vcc_lo, 0xc1a00000, v25
	v_cvt_i32_f32_e32 v25, v30
	s_delay_alu instid0(TRANS32_DEP_1) | instid1(VALU_DEP_1)
	v_ldexp_f32 v25, v27, v25
	s_wait_alu 0xfffd
	v_cndmask_b32_e32 v52, 0, v26, vcc_lo
	v_cmp_ngt_f32_e32 vcc_lo, 0xc2ce8ed0, v24
	s_wait_alu 0xfffd
	v_cndmask_b32_e32 v25, 0, v25, vcc_lo
	s_delay_alu instid0(VALU_DEP_3) | instskip(SKIP_2) | instid1(VALU_DEP_3)
	v_cvt_f16_f32_e32 v26, v52
	v_cmp_nlt_f32_e32 vcc_lo, 0x42b17218, v24
	s_wait_alu 0xfffd
	v_cndmask_b32_e32 v51, 0x7f800000, v25, vcc_lo
	s_delay_alu instid0(VALU_DEP_1) | instskip(NEXT) | instid1(VALU_DEP_1)
	v_dual_fmac_f32 v51, v36, v52 :: v_dual_and_b32 v26, 0xffff, v26
	v_mul_u32_u24_e32 v27, 0x10001, v26
	s_delay_alu instid0(VALU_DEP_1)
	v_pk_mul_f16 v50, v20, v27
	v_pk_mul_f16 v49, v21, v27
	;; [unrolled: 1-line block ×24, first 2 shown]
	s_cbranch_execnz .LBB14_349
.LBB14_348:                             ;   in Loop: Header=BB14_9 Depth=1
	v_dual_mov_b32 v31, v11 :: v_dual_mov_b32 v30, v10
	v_dual_mov_b32 v35, v19 :: v_dual_mov_b32 v34, v18
	;; [unrolled: 1-line block ×13, first 2 shown]
.LBB14_349:                             ;   in Loop: Header=BB14_9 Depth=1
	s_and_saveexec_b32 s3, s2
	s_cbranch_execz .LBB14_351
; %bb.350:                              ;   in Loop: Header=BB14_9 Depth=1
	scratch_load_b32 v0, off, off offset:424 ; 4-byte Folded Reload
	s_wait_loadcnt 0x0
	ds_store_2addr_b32 v0, v37, v51 offset0:48 offset1:49
.LBB14_351:                             ;   in Loop: Header=BB14_9 Depth=1
	s_wait_alu 0xfffe
	s_or_b32 exec_lo, exec_lo, s3
	v_perm_b32 v0, v32, v50, 0x5040100
	v_perm_b32 v1, v32, v50, 0x7060302
	;; [unrolled: 1-line block ×8, first 2 shown]
	s_wait_loadcnt_dscnt 0x0
	s_barrier_signal -1
	s_barrier_wait -1
	global_inv scope:SCOPE_SE
	ds_store_2addr_b32 v221, v0, v1 offset1:1
	ds_store_2addr_b32 v221, v2, v3 offset0:2 offset1:3
	ds_store_2addr_b32 v221, v4, v5 offset0:4 offset1:5
	;; [unrolled: 1-line block ×3, first 2 shown]
	v_perm_b32 v0, v28, v46, 0x5040100
	v_perm_b32 v1, v28, v46, 0x7060302
	;; [unrolled: 1-line block ×16, first 2 shown]
	ds_store_2addr_b32 v221, v0, v1 offset0:16 offset1:17
	ds_store_2addr_b32 v221, v2, v3 offset0:18 offset1:19
	ds_store_2addr_b32 v221, v4, v5 offset0:20 offset1:21
	ds_store_2addr_b32 v221, v6, v7 offset0:22 offset1:23
	ds_store_2addr_b32 v221, v8, v9 offset0:32 offset1:33
	ds_store_2addr_b32 v221, v10, v11 offset0:34 offset1:35
	ds_store_2addr_b32 v221, v12, v13 offset0:36 offset1:37
	ds_store_2addr_b32 v221, v14, v15 offset0:38 offset1:39
	v_mov_b32_e32 v0, 50
	s_wait_loadcnt_dscnt 0x0
	s_barrier_signal -1
	s_barrier_wait -1
	global_inv scope:SCOPE_SE
	s_and_saveexec_b32 s4, s63
	s_cbranch_execz .LBB14_353
; %bb.352:                              ;   in Loop: Header=BB14_9 Depth=1
	scratch_load_b32 v1, off, off offset:428 ; 4-byte Folded Reload
	s_wait_loadcnt 0x0
	v_add_nc_u32_e32 v0, v1, v139
	ds_load_b32 v0, v0
	ds_load_b32 v3, v1 offset:196
	s_wait_dscnt 0x1
	v_lshrrev_b32_e32 v1, 16, v0
	v_cvt_f32_f16_e32 v0, v0
	s_delay_alu instid0(VALU_DEP_2) | instskip(NEXT) | instid1(VALU_DEP_2)
	v_cvt_f32_f16_e32 v1, v1
	v_add_f32_e32 v2, 0, v0
	s_wait_dscnt 0x0
	s_delay_alu instid0(VALU_DEP_1) | instskip(NEXT) | instid1(VALU_DEP_1)
	v_div_scale_f32 v5, null, v3, v3, v2
	v_rcp_f32_e32 v7, v5
	s_delay_alu instid0(TRANS32_DEP_1) | instskip(NEXT) | instid1(VALU_DEP_1)
	v_fma_f32 v0, -v5, v7, 1.0
	v_fmac_f32_e32 v7, v0, v7
	v_div_scale_f32 v9, vcc_lo, v2, v3, v2
	s_delay_alu instid0(VALU_DEP_1) | instskip(NEXT) | instid1(VALU_DEP_1)
	v_dual_add_f32 v4, 0, v1 :: v_dual_mul_f32 v11, v9, v7
	v_div_scale_f32 v6, null, v3, v3, v4
	v_div_scale_f32 v10, s3, v4, v3, v4
	s_delay_alu instid0(VALU_DEP_3) | instskip(NEXT) | instid1(VALU_DEP_3)
	v_fma_f32 v13, -v5, v11, v9
	v_rcp_f32_e32 v8, v6
	s_delay_alu instid0(VALU_DEP_1) | instskip(NEXT) | instid1(VALU_DEP_1)
	v_fmac_f32_e32 v11, v13, v7
	v_fma_f32 v5, -v5, v11, v9
	s_delay_alu instid0(TRANS32_DEP_1) | instskip(SKIP_1) | instid1(VALU_DEP_2)
	v_fma_f32 v1, -v6, v8, 1.0
	s_wait_alu 0xfffd
	v_div_fmas_f32 v5, v5, v7, v11
	s_delay_alu instid0(VALU_DEP_2)
	v_fmac_f32_e32 v8, v1, v8
	v_mad_co_u64_u32 v[0:1], null, v242, s25, v[131:132]
	s_mov_b32 vcc_lo, s3
	v_div_fixup_f32 v2, v5, v3, v2
	v_mul_f32_e32 v12, v10, v8
	v_mad_co_u64_u32 v[0:1], null, v0, 48, v[232:233]
	s_delay_alu instid0(VALU_DEP_2) | instskip(NEXT) | instid1(VALU_DEP_1)
	v_fma_f32 v14, -v6, v12, v10
	v_fmac_f32_e32 v12, v14, v8
	s_delay_alu instid0(VALU_DEP_3) | instskip(NEXT) | instid1(VALU_DEP_2)
	v_ashrrev_i32_e32 v1, 31, v0
	v_fma_f32 v6, -v6, v12, v10
	s_delay_alu instid0(VALU_DEP_2) | instskip(SKIP_1) | instid1(VALU_DEP_2)
	v_lshlrev_b64_e32 v[0:1], 3, v[0:1]
	s_wait_alu 0xfffe
	v_div_fmas_f32 v6, v6, v8, v12
	s_delay_alu instid0(VALU_DEP_1) | instskip(NEXT) | instid1(VALU_DEP_3)
	v_div_fixup_f32 v3, v6, v3, v4
	v_add_co_u32 v4, vcc_lo, s72, v0
	s_wait_alu 0xfffd
	v_add_co_ci_u32_e64 v5, null, s73, v1, vcc_lo
	v_mov_b32_e32 v0, 0
	global_store_b64 v[4:5], v[2:3], off
.LBB14_353:                             ;   in Loop: Header=BB14_9 Depth=1
	s_wait_alu 0xfffe
	s_or_b32 exec_lo, exec_lo, s4
	s_mov_b32 s3, -1
	s_mov_b32 s4, exec_lo
	v_cmpx_gt_i32_e32 50, v0
; %bb.354:                              ;   in Loop: Header=BB14_9 Depth=1
	v_cmp_eq_u32_e32 vcc_lo, 0, v0
	s_or_not1_b32 s3, vcc_lo, exec_lo
; %bb.355:                              ;   in Loop: Header=BB14_9 Depth=1
	s_wait_alu 0xfffe
	s_or_b32 exec_lo, exec_lo, s4
	s_and_saveexec_b32 s4, s3
	s_cbranch_execz .LBB14_428
; %bb.356:                              ;   in Loop: Header=BB14_9 Depth=1
	v_mov_b32_e32 v0, 50
	s_and_saveexec_b32 s5, s62
	s_cbranch_execz .LBB14_358
; %bb.357:                              ;   in Loop: Header=BB14_9 Depth=1
	scratch_load_b32 v1, off, off offset:500 ; 4-byte Folded Reload
	s_wait_loadcnt 0x0
	v_add_nc_u32_e32 v0, v1, v139
	ds_load_b32 v0, v0
	ds_load_b32 v3, v1 offset:196
	s_wait_dscnt 0x1
	v_lshrrev_b32_e32 v1, 16, v0
	v_cvt_f32_f16_e32 v0, v0
	s_delay_alu instid0(VALU_DEP_2) | instskip(NEXT) | instid1(VALU_DEP_2)
	v_cvt_f32_f16_e32 v1, v1
	v_add_f32_e32 v2, 0, v0
	s_wait_dscnt 0x0
	s_delay_alu instid0(VALU_DEP_1) | instskip(NEXT) | instid1(VALU_DEP_1)
	v_div_scale_f32 v5, null, v3, v3, v2
	v_rcp_f32_e32 v7, v5
	s_delay_alu instid0(TRANS32_DEP_1) | instskip(NEXT) | instid1(VALU_DEP_1)
	v_fma_f32 v0, -v5, v7, 1.0
	v_fmac_f32_e32 v7, v0, v7
	v_div_scale_f32 v9, vcc_lo, v2, v3, v2
	s_delay_alu instid0(VALU_DEP_1) | instskip(NEXT) | instid1(VALU_DEP_1)
	v_dual_add_f32 v4, 0, v1 :: v_dual_mul_f32 v11, v9, v7
	v_div_scale_f32 v6, null, v3, v3, v4
	v_div_scale_f32 v10, s3, v4, v3, v4
	s_delay_alu instid0(VALU_DEP_3) | instskip(NEXT) | instid1(VALU_DEP_3)
	v_fma_f32 v13, -v5, v11, v9
	v_rcp_f32_e32 v8, v6
	s_delay_alu instid0(VALU_DEP_1) | instskip(NEXT) | instid1(VALU_DEP_1)
	v_fmac_f32_e32 v11, v13, v7
	v_fma_f32 v5, -v5, v11, v9
	s_delay_alu instid0(TRANS32_DEP_1) | instskip(SKIP_1) | instid1(VALU_DEP_2)
	v_fma_f32 v1, -v6, v8, 1.0
	s_wait_alu 0xfffd
	v_div_fmas_f32 v5, v5, v7, v11
	s_delay_alu instid0(VALU_DEP_2)
	v_fmac_f32_e32 v8, v1, v8
	v_mad_co_u64_u32 v[0:1], null, v241, s25, v[131:132]
	s_mov_b32 vcc_lo, s3
	v_div_fixup_f32 v2, v5, v3, v2
	v_mul_f32_e32 v12, v10, v8
	v_mad_co_u64_u32 v[0:1], null, v0, 48, v[232:233]
	s_delay_alu instid0(VALU_DEP_2) | instskip(NEXT) | instid1(VALU_DEP_1)
	v_fma_f32 v14, -v6, v12, v10
	v_fmac_f32_e32 v12, v14, v8
	s_delay_alu instid0(VALU_DEP_3) | instskip(NEXT) | instid1(VALU_DEP_2)
	v_ashrrev_i32_e32 v1, 31, v0
	v_fma_f32 v6, -v6, v12, v10
	s_delay_alu instid0(VALU_DEP_2) | instskip(SKIP_1) | instid1(VALU_DEP_2)
	v_lshlrev_b64_e32 v[0:1], 3, v[0:1]
	s_wait_alu 0xfffe
	v_div_fmas_f32 v6, v6, v8, v12
	s_delay_alu instid0(VALU_DEP_1) | instskip(NEXT) | instid1(VALU_DEP_3)
	v_div_fixup_f32 v3, v6, v3, v4
	v_add_co_u32 v4, vcc_lo, s72, v0
	s_wait_alu 0xfffd
	v_add_co_ci_u32_e64 v5, null, s73, v1, vcc_lo
	v_mov_b32_e32 v0, 0
	global_store_b64 v[4:5], v[2:3], off
.LBB14_358:                             ;   in Loop: Header=BB14_9 Depth=1
	s_wait_alu 0xfffe
	s_or_b32 exec_lo, exec_lo, s5
	s_mov_b32 s3, -1
	s_mov_b32 s5, exec_lo
	v_cmpx_gt_i32_e32 50, v0
; %bb.359:                              ;   in Loop: Header=BB14_9 Depth=1
	v_cmp_eq_u32_e32 vcc_lo, 0, v0
	s_or_not1_b32 s3, vcc_lo, exec_lo
; %bb.360:                              ;   in Loop: Header=BB14_9 Depth=1
	s_wait_alu 0xfffe
	s_or_b32 exec_lo, exec_lo, s5
	s_delay_alu instid0(SALU_CYCLE_1)
	s_and_b32 exec_lo, exec_lo, s3
	s_cbranch_execz .LBB14_428
; %bb.361:                              ;   in Loop: Header=BB14_9 Depth=1
	v_mov_b32_e32 v0, 50
	s_and_saveexec_b32 s5, s61
	s_cbranch_execz .LBB14_363
; %bb.362:                              ;   in Loop: Header=BB14_9 Depth=1
	scratch_load_b32 v1, off, off offset:516 ; 4-byte Folded Reload
	s_wait_loadcnt 0x0
	v_add_nc_u32_e32 v0, v1, v139
	ds_load_b32 v0, v0
	ds_load_b32 v3, v1 offset:196
	s_wait_dscnt 0x1
	v_lshrrev_b32_e32 v1, 16, v0
	v_cvt_f32_f16_e32 v0, v0
	s_delay_alu instid0(VALU_DEP_2) | instskip(NEXT) | instid1(VALU_DEP_2)
	v_cvt_f32_f16_e32 v1, v1
	v_add_f32_e32 v2, 0, v0
	s_wait_dscnt 0x0
	s_delay_alu instid0(VALU_DEP_1) | instskip(NEXT) | instid1(VALU_DEP_1)
	v_div_scale_f32 v5, null, v3, v3, v2
	v_rcp_f32_e32 v7, v5
	s_delay_alu instid0(TRANS32_DEP_1) | instskip(NEXT) | instid1(VALU_DEP_1)
	v_fma_f32 v0, -v5, v7, 1.0
	v_fmac_f32_e32 v7, v0, v7
	v_div_scale_f32 v9, vcc_lo, v2, v3, v2
	s_delay_alu instid0(VALU_DEP_1) | instskip(NEXT) | instid1(VALU_DEP_1)
	v_dual_add_f32 v4, 0, v1 :: v_dual_mul_f32 v11, v9, v7
	v_div_scale_f32 v6, null, v3, v3, v4
	v_div_scale_f32 v10, s3, v4, v3, v4
	s_delay_alu instid0(VALU_DEP_3) | instskip(NEXT) | instid1(VALU_DEP_3)
	v_fma_f32 v13, -v5, v11, v9
	v_rcp_f32_e32 v8, v6
	s_delay_alu instid0(VALU_DEP_1) | instskip(NEXT) | instid1(VALU_DEP_1)
	v_fmac_f32_e32 v11, v13, v7
	v_fma_f32 v5, -v5, v11, v9
	s_delay_alu instid0(TRANS32_DEP_1) | instskip(SKIP_1) | instid1(VALU_DEP_2)
	v_fma_f32 v1, -v6, v8, 1.0
	s_wait_alu 0xfffd
	v_div_fmas_f32 v5, v5, v7, v11
	s_delay_alu instid0(VALU_DEP_2)
	v_fmac_f32_e32 v8, v1, v8
	v_mad_co_u64_u32 v[0:1], null, v240, s25, v[131:132]
	s_mov_b32 vcc_lo, s3
	v_div_fixup_f32 v2, v5, v3, v2
	v_mul_f32_e32 v12, v10, v8
	v_mad_co_u64_u32 v[0:1], null, v0, 48, v[232:233]
	s_delay_alu instid0(VALU_DEP_2) | instskip(NEXT) | instid1(VALU_DEP_1)
	v_fma_f32 v14, -v6, v12, v10
	v_fmac_f32_e32 v12, v14, v8
	s_delay_alu instid0(VALU_DEP_3) | instskip(NEXT) | instid1(VALU_DEP_2)
	v_ashrrev_i32_e32 v1, 31, v0
	v_fma_f32 v6, -v6, v12, v10
	s_delay_alu instid0(VALU_DEP_2) | instskip(SKIP_1) | instid1(VALU_DEP_2)
	v_lshlrev_b64_e32 v[0:1], 3, v[0:1]
	s_wait_alu 0xfffe
	v_div_fmas_f32 v6, v6, v8, v12
	s_delay_alu instid0(VALU_DEP_1) | instskip(NEXT) | instid1(VALU_DEP_3)
	v_div_fixup_f32 v3, v6, v3, v4
	v_add_co_u32 v4, vcc_lo, s72, v0
	s_wait_alu 0xfffd
	v_add_co_ci_u32_e64 v5, null, s73, v1, vcc_lo
	v_mov_b32_e32 v0, 0
	global_store_b64 v[4:5], v[2:3], off
.LBB14_363:                             ;   in Loop: Header=BB14_9 Depth=1
	s_wait_alu 0xfffe
	s_or_b32 exec_lo, exec_lo, s5
	s_mov_b32 s3, -1
	s_mov_b32 s5, exec_lo
	v_cmpx_gt_i32_e32 50, v0
; %bb.364:                              ;   in Loop: Header=BB14_9 Depth=1
	v_cmp_eq_u32_e32 vcc_lo, 0, v0
	s_or_not1_b32 s3, vcc_lo, exec_lo
; %bb.365:                              ;   in Loop: Header=BB14_9 Depth=1
	s_wait_alu 0xfffe
	s_or_b32 exec_lo, exec_lo, s5
	s_delay_alu instid0(SALU_CYCLE_1)
	s_and_b32 exec_lo, exec_lo, s3
	s_cbranch_execz .LBB14_428
; %bb.366:                              ;   in Loop: Header=BB14_9 Depth=1
	v_mov_b32_e32 v0, 50
	s_and_saveexec_b32 s5, s60
	s_cbranch_execz .LBB14_368
; %bb.367:                              ;   in Loop: Header=BB14_9 Depth=1
	scratch_load_b32 v1, off, off offset:528 ; 4-byte Folded Reload
	s_wait_loadcnt 0x0
	v_add_nc_u32_e32 v0, v1, v139
	ds_load_b32 v0, v0
	ds_load_b32 v3, v1 offset:196
	s_wait_dscnt 0x1
	v_lshrrev_b32_e32 v1, 16, v0
	v_cvt_f32_f16_e32 v0, v0
	s_delay_alu instid0(VALU_DEP_2) | instskip(NEXT) | instid1(VALU_DEP_2)
	v_cvt_f32_f16_e32 v1, v1
	v_add_f32_e32 v2, 0, v0
	s_wait_dscnt 0x0
	s_delay_alu instid0(VALU_DEP_1) | instskip(NEXT) | instid1(VALU_DEP_1)
	v_div_scale_f32 v5, null, v3, v3, v2
	v_rcp_f32_e32 v7, v5
	s_delay_alu instid0(TRANS32_DEP_1) | instskip(NEXT) | instid1(VALU_DEP_1)
	v_fma_f32 v0, -v5, v7, 1.0
	v_fmac_f32_e32 v7, v0, v7
	v_div_scale_f32 v9, vcc_lo, v2, v3, v2
	s_delay_alu instid0(VALU_DEP_1) | instskip(NEXT) | instid1(VALU_DEP_1)
	v_dual_add_f32 v4, 0, v1 :: v_dual_mul_f32 v11, v9, v7
	v_div_scale_f32 v6, null, v3, v3, v4
	v_div_scale_f32 v10, s3, v4, v3, v4
	s_delay_alu instid0(VALU_DEP_3) | instskip(NEXT) | instid1(VALU_DEP_3)
	v_fma_f32 v13, -v5, v11, v9
	v_rcp_f32_e32 v8, v6
	s_delay_alu instid0(VALU_DEP_1) | instskip(NEXT) | instid1(VALU_DEP_1)
	v_fmac_f32_e32 v11, v13, v7
	v_fma_f32 v5, -v5, v11, v9
	s_delay_alu instid0(TRANS32_DEP_1) | instskip(SKIP_1) | instid1(VALU_DEP_2)
	v_fma_f32 v1, -v6, v8, 1.0
	s_wait_alu 0xfffd
	v_div_fmas_f32 v5, v5, v7, v11
	s_delay_alu instid0(VALU_DEP_2)
	v_fmac_f32_e32 v8, v1, v8
	v_mad_co_u64_u32 v[0:1], null, v239, s25, v[131:132]
	s_mov_b32 vcc_lo, s3
	v_div_fixup_f32 v2, v5, v3, v2
	v_mul_f32_e32 v12, v10, v8
	v_mad_co_u64_u32 v[0:1], null, v0, 48, v[232:233]
	s_delay_alu instid0(VALU_DEP_2) | instskip(NEXT) | instid1(VALU_DEP_1)
	v_fma_f32 v14, -v6, v12, v10
	v_fmac_f32_e32 v12, v14, v8
	s_delay_alu instid0(VALU_DEP_3) | instskip(NEXT) | instid1(VALU_DEP_2)
	v_ashrrev_i32_e32 v1, 31, v0
	v_fma_f32 v6, -v6, v12, v10
	s_delay_alu instid0(VALU_DEP_2) | instskip(SKIP_1) | instid1(VALU_DEP_2)
	v_lshlrev_b64_e32 v[0:1], 3, v[0:1]
	s_wait_alu 0xfffe
	v_div_fmas_f32 v6, v6, v8, v12
	s_delay_alu instid0(VALU_DEP_1) | instskip(NEXT) | instid1(VALU_DEP_3)
	v_div_fixup_f32 v3, v6, v3, v4
	v_add_co_u32 v4, vcc_lo, s72, v0
	s_wait_alu 0xfffd
	v_add_co_ci_u32_e64 v5, null, s73, v1, vcc_lo
	v_mov_b32_e32 v0, 0
	global_store_b64 v[4:5], v[2:3], off
.LBB14_368:                             ;   in Loop: Header=BB14_9 Depth=1
	s_wait_alu 0xfffe
	s_or_b32 exec_lo, exec_lo, s5
	s_mov_b32 s3, -1
	s_mov_b32 s5, exec_lo
	v_cmpx_gt_i32_e32 50, v0
; %bb.369:                              ;   in Loop: Header=BB14_9 Depth=1
	v_cmp_eq_u32_e32 vcc_lo, 0, v0
	s_or_not1_b32 s3, vcc_lo, exec_lo
; %bb.370:                              ;   in Loop: Header=BB14_9 Depth=1
	s_wait_alu 0xfffe
	s_or_b32 exec_lo, exec_lo, s5
	s_delay_alu instid0(SALU_CYCLE_1)
	s_and_b32 exec_lo, exec_lo, s3
	s_cbranch_execz .LBB14_428
; %bb.371:                              ;   in Loop: Header=BB14_9 Depth=1
	v_mov_b32_e32 v0, 50
	s_and_saveexec_b32 s5, s59
	s_cbranch_execz .LBB14_373
; %bb.372:                              ;   in Loop: Header=BB14_9 Depth=1
	scratch_load_b32 v1, off, off offset:540 ; 4-byte Folded Reload
	s_wait_loadcnt 0x0
	v_add_nc_u32_e32 v0, v1, v139
	ds_load_b32 v0, v0
	ds_load_b32 v3, v1 offset:196
	s_wait_dscnt 0x1
	v_lshrrev_b32_e32 v1, 16, v0
	v_cvt_f32_f16_e32 v0, v0
	s_delay_alu instid0(VALU_DEP_2) | instskip(NEXT) | instid1(VALU_DEP_2)
	v_cvt_f32_f16_e32 v1, v1
	v_add_f32_e32 v2, 0, v0
	s_wait_dscnt 0x0
	s_delay_alu instid0(VALU_DEP_1) | instskip(NEXT) | instid1(VALU_DEP_1)
	v_div_scale_f32 v5, null, v3, v3, v2
	v_rcp_f32_e32 v7, v5
	s_delay_alu instid0(TRANS32_DEP_1) | instskip(NEXT) | instid1(VALU_DEP_1)
	v_fma_f32 v0, -v5, v7, 1.0
	v_fmac_f32_e32 v7, v0, v7
	v_div_scale_f32 v9, vcc_lo, v2, v3, v2
	s_delay_alu instid0(VALU_DEP_1) | instskip(NEXT) | instid1(VALU_DEP_1)
	v_dual_add_f32 v4, 0, v1 :: v_dual_mul_f32 v11, v9, v7
	v_div_scale_f32 v6, null, v3, v3, v4
	v_div_scale_f32 v10, s3, v4, v3, v4
	s_delay_alu instid0(VALU_DEP_3) | instskip(NEXT) | instid1(VALU_DEP_3)
	v_fma_f32 v13, -v5, v11, v9
	v_rcp_f32_e32 v8, v6
	s_delay_alu instid0(VALU_DEP_1) | instskip(NEXT) | instid1(VALU_DEP_1)
	v_fmac_f32_e32 v11, v13, v7
	v_fma_f32 v5, -v5, v11, v9
	s_delay_alu instid0(TRANS32_DEP_1) | instskip(SKIP_1) | instid1(VALU_DEP_2)
	v_fma_f32 v1, -v6, v8, 1.0
	s_wait_alu 0xfffd
	v_div_fmas_f32 v5, v5, v7, v11
	s_delay_alu instid0(VALU_DEP_2)
	v_fmac_f32_e32 v8, v1, v8
	v_mad_co_u64_u32 v[0:1], null, v238, s25, v[131:132]
	s_mov_b32 vcc_lo, s3
	v_div_fixup_f32 v2, v5, v3, v2
	v_mul_f32_e32 v12, v10, v8
	v_mad_co_u64_u32 v[0:1], null, v0, 48, v[232:233]
	s_delay_alu instid0(VALU_DEP_2) | instskip(NEXT) | instid1(VALU_DEP_1)
	v_fma_f32 v14, -v6, v12, v10
	v_fmac_f32_e32 v12, v14, v8
	s_delay_alu instid0(VALU_DEP_3) | instskip(NEXT) | instid1(VALU_DEP_2)
	v_ashrrev_i32_e32 v1, 31, v0
	v_fma_f32 v6, -v6, v12, v10
	s_delay_alu instid0(VALU_DEP_2) | instskip(SKIP_1) | instid1(VALU_DEP_2)
	v_lshlrev_b64_e32 v[0:1], 3, v[0:1]
	s_wait_alu 0xfffe
	v_div_fmas_f32 v6, v6, v8, v12
	s_delay_alu instid0(VALU_DEP_1) | instskip(NEXT) | instid1(VALU_DEP_3)
	v_div_fixup_f32 v3, v6, v3, v4
	v_add_co_u32 v4, vcc_lo, s72, v0
	s_wait_alu 0xfffd
	v_add_co_ci_u32_e64 v5, null, s73, v1, vcc_lo
	v_mov_b32_e32 v0, 0
	global_store_b64 v[4:5], v[2:3], off
.LBB14_373:                             ;   in Loop: Header=BB14_9 Depth=1
	s_wait_alu 0xfffe
	s_or_b32 exec_lo, exec_lo, s5
	s_mov_b32 s3, -1
	s_mov_b32 s5, exec_lo
	v_cmpx_gt_i32_e32 50, v0
; %bb.374:                              ;   in Loop: Header=BB14_9 Depth=1
	v_cmp_eq_u32_e32 vcc_lo, 0, v0
	s_or_not1_b32 s3, vcc_lo, exec_lo
; %bb.375:                              ;   in Loop: Header=BB14_9 Depth=1
	s_wait_alu 0xfffe
	s_or_b32 exec_lo, exec_lo, s5
	s_delay_alu instid0(SALU_CYCLE_1)
	s_and_b32 exec_lo, exec_lo, s3
	s_cbranch_execz .LBB14_428
; %bb.376:                              ;   in Loop: Header=BB14_9 Depth=1
	v_mov_b32_e32 v0, 50
	s_and_saveexec_b32 s5, s58
	s_cbranch_execz .LBB14_378
; %bb.377:                              ;   in Loop: Header=BB14_9 Depth=1
	scratch_load_b32 v1, off, off offset:560 ; 4-byte Folded Reload
	s_wait_loadcnt 0x0
	v_add_nc_u32_e32 v0, v1, v139
	ds_load_b32 v0, v0
	ds_load_b32 v3, v1 offset:196
	s_wait_dscnt 0x1
	v_lshrrev_b32_e32 v1, 16, v0
	v_cvt_f32_f16_e32 v0, v0
	s_delay_alu instid0(VALU_DEP_2) | instskip(NEXT) | instid1(VALU_DEP_2)
	v_cvt_f32_f16_e32 v1, v1
	v_add_f32_e32 v2, 0, v0
	s_wait_dscnt 0x0
	s_delay_alu instid0(VALU_DEP_1) | instskip(NEXT) | instid1(VALU_DEP_1)
	v_div_scale_f32 v5, null, v3, v3, v2
	v_rcp_f32_e32 v7, v5
	s_delay_alu instid0(TRANS32_DEP_1) | instskip(NEXT) | instid1(VALU_DEP_1)
	v_fma_f32 v0, -v5, v7, 1.0
	v_fmac_f32_e32 v7, v0, v7
	v_div_scale_f32 v9, vcc_lo, v2, v3, v2
	s_delay_alu instid0(VALU_DEP_1) | instskip(NEXT) | instid1(VALU_DEP_1)
	v_dual_add_f32 v4, 0, v1 :: v_dual_mul_f32 v11, v9, v7
	v_div_scale_f32 v6, null, v3, v3, v4
	v_div_scale_f32 v10, s3, v4, v3, v4
	s_delay_alu instid0(VALU_DEP_3) | instskip(NEXT) | instid1(VALU_DEP_3)
	v_fma_f32 v13, -v5, v11, v9
	v_rcp_f32_e32 v8, v6
	s_delay_alu instid0(VALU_DEP_1) | instskip(NEXT) | instid1(VALU_DEP_1)
	v_fmac_f32_e32 v11, v13, v7
	v_fma_f32 v5, -v5, v11, v9
	s_delay_alu instid0(TRANS32_DEP_1) | instskip(SKIP_1) | instid1(VALU_DEP_2)
	v_fma_f32 v1, -v6, v8, 1.0
	s_wait_alu 0xfffd
	v_div_fmas_f32 v5, v5, v7, v11
	s_delay_alu instid0(VALU_DEP_2)
	v_fmac_f32_e32 v8, v1, v8
	v_mad_co_u64_u32 v[0:1], null, v237, s25, v[131:132]
	s_mov_b32 vcc_lo, s3
	v_div_fixup_f32 v2, v5, v3, v2
	v_mul_f32_e32 v12, v10, v8
	v_mad_co_u64_u32 v[0:1], null, v0, 48, v[232:233]
	s_delay_alu instid0(VALU_DEP_2) | instskip(NEXT) | instid1(VALU_DEP_1)
	v_fma_f32 v14, -v6, v12, v10
	v_fmac_f32_e32 v12, v14, v8
	s_delay_alu instid0(VALU_DEP_3) | instskip(NEXT) | instid1(VALU_DEP_2)
	v_ashrrev_i32_e32 v1, 31, v0
	v_fma_f32 v6, -v6, v12, v10
	s_delay_alu instid0(VALU_DEP_2) | instskip(SKIP_1) | instid1(VALU_DEP_2)
	v_lshlrev_b64_e32 v[0:1], 3, v[0:1]
	s_wait_alu 0xfffe
	v_div_fmas_f32 v6, v6, v8, v12
	s_delay_alu instid0(VALU_DEP_1) | instskip(NEXT) | instid1(VALU_DEP_3)
	v_div_fixup_f32 v3, v6, v3, v4
	v_add_co_u32 v4, vcc_lo, s72, v0
	s_wait_alu 0xfffd
	v_add_co_ci_u32_e64 v5, null, s73, v1, vcc_lo
	v_mov_b32_e32 v0, 0
	global_store_b64 v[4:5], v[2:3], off
.LBB14_378:                             ;   in Loop: Header=BB14_9 Depth=1
	s_wait_alu 0xfffe
	s_or_b32 exec_lo, exec_lo, s5
	s_mov_b32 s3, -1
	s_mov_b32 s5, exec_lo
	v_cmpx_gt_i32_e32 50, v0
; %bb.379:                              ;   in Loop: Header=BB14_9 Depth=1
	v_cmp_eq_u32_e32 vcc_lo, 0, v0
	s_or_not1_b32 s3, vcc_lo, exec_lo
; %bb.380:                              ;   in Loop: Header=BB14_9 Depth=1
	s_wait_alu 0xfffe
	s_or_b32 exec_lo, exec_lo, s5
	s_delay_alu instid0(SALU_CYCLE_1)
	s_and_b32 exec_lo, exec_lo, s3
	s_cbranch_execz .LBB14_428
; %bb.381:                              ;   in Loop: Header=BB14_9 Depth=1
	v_mov_b32_e32 v0, 50
	s_and_saveexec_b32 s5, s45
	s_cbranch_execz .LBB14_383
; %bb.382:                              ;   in Loop: Header=BB14_9 Depth=1
	scratch_load_b32 v1, off, off offset:576 ; 4-byte Folded Reload
	s_wait_loadcnt 0x0
	v_add_nc_u32_e32 v0, v1, v139
	ds_load_b32 v0, v0
	ds_load_b32 v3, v1 offset:196
	s_wait_dscnt 0x1
	v_lshrrev_b32_e32 v1, 16, v0
	v_cvt_f32_f16_e32 v0, v0
	s_delay_alu instid0(VALU_DEP_2) | instskip(NEXT) | instid1(VALU_DEP_2)
	v_cvt_f32_f16_e32 v1, v1
	v_add_f32_e32 v2, 0, v0
	s_wait_dscnt 0x0
	s_delay_alu instid0(VALU_DEP_1) | instskip(NEXT) | instid1(VALU_DEP_1)
	v_div_scale_f32 v5, null, v3, v3, v2
	v_rcp_f32_e32 v7, v5
	s_delay_alu instid0(TRANS32_DEP_1) | instskip(NEXT) | instid1(VALU_DEP_1)
	v_fma_f32 v0, -v5, v7, 1.0
	v_fmac_f32_e32 v7, v0, v7
	v_div_scale_f32 v9, vcc_lo, v2, v3, v2
	s_delay_alu instid0(VALU_DEP_1) | instskip(NEXT) | instid1(VALU_DEP_1)
	v_dual_add_f32 v4, 0, v1 :: v_dual_mul_f32 v11, v9, v7
	v_div_scale_f32 v6, null, v3, v3, v4
	v_div_scale_f32 v10, s3, v4, v3, v4
	s_delay_alu instid0(VALU_DEP_3) | instskip(NEXT) | instid1(VALU_DEP_3)
	v_fma_f32 v13, -v5, v11, v9
	v_rcp_f32_e32 v8, v6
	s_delay_alu instid0(VALU_DEP_1) | instskip(NEXT) | instid1(VALU_DEP_1)
	v_fmac_f32_e32 v11, v13, v7
	v_fma_f32 v5, -v5, v11, v9
	s_delay_alu instid0(TRANS32_DEP_1) | instskip(SKIP_1) | instid1(VALU_DEP_2)
	v_fma_f32 v1, -v6, v8, 1.0
	s_wait_alu 0xfffd
	v_div_fmas_f32 v5, v5, v7, v11
	s_delay_alu instid0(VALU_DEP_2)
	v_fmac_f32_e32 v8, v1, v8
	v_mad_co_u64_u32 v[0:1], null, v236, s25, v[131:132]
	s_mov_b32 vcc_lo, s3
	v_div_fixup_f32 v2, v5, v3, v2
	v_mul_f32_e32 v12, v10, v8
	v_mad_co_u64_u32 v[0:1], null, v0, 48, v[232:233]
	s_delay_alu instid0(VALU_DEP_2) | instskip(NEXT) | instid1(VALU_DEP_1)
	v_fma_f32 v14, -v6, v12, v10
	v_fmac_f32_e32 v12, v14, v8
	s_delay_alu instid0(VALU_DEP_3) | instskip(NEXT) | instid1(VALU_DEP_2)
	v_ashrrev_i32_e32 v1, 31, v0
	v_fma_f32 v6, -v6, v12, v10
	s_delay_alu instid0(VALU_DEP_2) | instskip(SKIP_1) | instid1(VALU_DEP_2)
	v_lshlrev_b64_e32 v[0:1], 3, v[0:1]
	s_wait_alu 0xfffe
	v_div_fmas_f32 v6, v6, v8, v12
	s_delay_alu instid0(VALU_DEP_1) | instskip(NEXT) | instid1(VALU_DEP_3)
	v_div_fixup_f32 v3, v6, v3, v4
	v_add_co_u32 v4, vcc_lo, s72, v0
	s_wait_alu 0xfffd
	v_add_co_ci_u32_e64 v5, null, s73, v1, vcc_lo
	v_mov_b32_e32 v0, 0
	global_store_b64 v[4:5], v[2:3], off
.LBB14_383:                             ;   in Loop: Header=BB14_9 Depth=1
	s_wait_alu 0xfffe
	s_or_b32 exec_lo, exec_lo, s5
	s_mov_b32 s3, -1
	s_mov_b32 s5, exec_lo
	v_cmpx_gt_i32_e32 50, v0
; %bb.384:                              ;   in Loop: Header=BB14_9 Depth=1
	v_cmp_eq_u32_e32 vcc_lo, 0, v0
	s_or_not1_b32 s3, vcc_lo, exec_lo
; %bb.385:                              ;   in Loop: Header=BB14_9 Depth=1
	s_wait_alu 0xfffe
	s_or_b32 exec_lo, exec_lo, s5
	s_delay_alu instid0(SALU_CYCLE_1)
	s_and_b32 exec_lo, exec_lo, s3
	s_cbranch_execz .LBB14_428
; %bb.386:                              ;   in Loop: Header=BB14_9 Depth=1
	v_mov_b32_e32 v0, 50
	s_and_saveexec_b32 s5, s99
	s_cbranch_execz .LBB14_388
; %bb.387:                              ;   in Loop: Header=BB14_9 Depth=1
	scratch_load_b32 v1, off, off offset:588 ; 4-byte Folded Reload
	s_wait_loadcnt 0x0
	v_add_nc_u32_e32 v0, v1, v139
	ds_load_b32 v0, v0
	ds_load_b32 v3, v1 offset:196
	s_wait_dscnt 0x1
	v_lshrrev_b32_e32 v1, 16, v0
	v_cvt_f32_f16_e32 v0, v0
	s_delay_alu instid0(VALU_DEP_2) | instskip(NEXT) | instid1(VALU_DEP_2)
	v_cvt_f32_f16_e32 v1, v1
	v_add_f32_e32 v2, 0, v0
	s_wait_dscnt 0x0
	s_delay_alu instid0(VALU_DEP_1) | instskip(NEXT) | instid1(VALU_DEP_1)
	v_div_scale_f32 v5, null, v3, v3, v2
	v_rcp_f32_e32 v7, v5
	s_delay_alu instid0(TRANS32_DEP_1) | instskip(NEXT) | instid1(VALU_DEP_1)
	v_fma_f32 v0, -v5, v7, 1.0
	v_fmac_f32_e32 v7, v0, v7
	v_div_scale_f32 v9, vcc_lo, v2, v3, v2
	s_delay_alu instid0(VALU_DEP_1) | instskip(NEXT) | instid1(VALU_DEP_1)
	v_dual_add_f32 v4, 0, v1 :: v_dual_mul_f32 v11, v9, v7
	v_div_scale_f32 v6, null, v3, v3, v4
	v_div_scale_f32 v10, s3, v4, v3, v4
	s_delay_alu instid0(VALU_DEP_3) | instskip(NEXT) | instid1(VALU_DEP_3)
	v_fma_f32 v13, -v5, v11, v9
	v_rcp_f32_e32 v8, v6
	s_delay_alu instid0(VALU_DEP_1) | instskip(NEXT) | instid1(VALU_DEP_1)
	v_fmac_f32_e32 v11, v13, v7
	v_fma_f32 v5, -v5, v11, v9
	s_delay_alu instid0(TRANS32_DEP_1) | instskip(SKIP_1) | instid1(VALU_DEP_2)
	v_fma_f32 v1, -v6, v8, 1.0
	s_wait_alu 0xfffd
	v_div_fmas_f32 v5, v5, v7, v11
	s_delay_alu instid0(VALU_DEP_2)
	v_fmac_f32_e32 v8, v1, v8
	v_mad_co_u64_u32 v[0:1], null, v228, s25, v[131:132]
	s_mov_b32 vcc_lo, s3
	v_div_fixup_f32 v2, v5, v3, v2
	v_mul_f32_e32 v12, v10, v8
	v_mad_co_u64_u32 v[0:1], null, v0, 48, v[232:233]
	s_delay_alu instid0(VALU_DEP_2) | instskip(NEXT) | instid1(VALU_DEP_1)
	v_fma_f32 v14, -v6, v12, v10
	v_fmac_f32_e32 v12, v14, v8
	s_delay_alu instid0(VALU_DEP_3) | instskip(NEXT) | instid1(VALU_DEP_2)
	v_ashrrev_i32_e32 v1, 31, v0
	v_fma_f32 v6, -v6, v12, v10
	s_delay_alu instid0(VALU_DEP_2) | instskip(SKIP_1) | instid1(VALU_DEP_2)
	v_lshlrev_b64_e32 v[0:1], 3, v[0:1]
	s_wait_alu 0xfffe
	v_div_fmas_f32 v6, v6, v8, v12
	s_delay_alu instid0(VALU_DEP_1) | instskip(NEXT) | instid1(VALU_DEP_3)
	v_div_fixup_f32 v3, v6, v3, v4
	v_add_co_u32 v4, vcc_lo, s72, v0
	s_wait_alu 0xfffd
	v_add_co_ci_u32_e64 v5, null, s73, v1, vcc_lo
	v_mov_b32_e32 v0, 0
	global_store_b64 v[4:5], v[2:3], off
.LBB14_388:                             ;   in Loop: Header=BB14_9 Depth=1
	s_wait_alu 0xfffe
	s_or_b32 exec_lo, exec_lo, s5
	s_mov_b32 s3, -1
	s_mov_b32 s5, exec_lo
	v_cmpx_gt_i32_e32 50, v0
; %bb.389:                              ;   in Loop: Header=BB14_9 Depth=1
	v_cmp_eq_u32_e32 vcc_lo, 0, v0
	s_or_not1_b32 s3, vcc_lo, exec_lo
; %bb.390:                              ;   in Loop: Header=BB14_9 Depth=1
	s_wait_alu 0xfffe
	s_or_b32 exec_lo, exec_lo, s5
	s_delay_alu instid0(SALU_CYCLE_1)
	s_and_b32 exec_lo, exec_lo, s3
	s_cbranch_execz .LBB14_428
; %bb.391:                              ;   in Loop: Header=BB14_9 Depth=1
	v_mov_b32_e32 v0, 50
	s_and_saveexec_b32 s5, s50
	s_cbranch_execz .LBB14_393
; %bb.392:                              ;   in Loop: Header=BB14_9 Depth=1
	scratch_load_b32 v1, off, off offset:596 ; 4-byte Folded Reload
	s_wait_loadcnt 0x0
	v_add_nc_u32_e32 v0, v1, v139
	ds_load_b32 v0, v0
	ds_load_b32 v3, v1 offset:196
	s_wait_dscnt 0x1
	v_lshrrev_b32_e32 v1, 16, v0
	v_cvt_f32_f16_e32 v0, v0
	s_delay_alu instid0(VALU_DEP_2) | instskip(NEXT) | instid1(VALU_DEP_2)
	v_cvt_f32_f16_e32 v1, v1
	v_add_f32_e32 v2, 0, v0
	s_wait_dscnt 0x0
	s_delay_alu instid0(VALU_DEP_1) | instskip(NEXT) | instid1(VALU_DEP_1)
	v_div_scale_f32 v5, null, v3, v3, v2
	v_rcp_f32_e32 v7, v5
	s_delay_alu instid0(TRANS32_DEP_1) | instskip(NEXT) | instid1(VALU_DEP_1)
	v_fma_f32 v0, -v5, v7, 1.0
	v_fmac_f32_e32 v7, v0, v7
	v_div_scale_f32 v9, vcc_lo, v2, v3, v2
	s_delay_alu instid0(VALU_DEP_1) | instskip(NEXT) | instid1(VALU_DEP_1)
	v_dual_add_f32 v4, 0, v1 :: v_dual_mul_f32 v11, v9, v7
	v_div_scale_f32 v6, null, v3, v3, v4
	v_div_scale_f32 v10, s3, v4, v3, v4
	s_delay_alu instid0(VALU_DEP_3) | instskip(NEXT) | instid1(VALU_DEP_3)
	v_fma_f32 v13, -v5, v11, v9
	v_rcp_f32_e32 v8, v6
	s_delay_alu instid0(VALU_DEP_1) | instskip(NEXT) | instid1(VALU_DEP_1)
	v_fmac_f32_e32 v11, v13, v7
	v_fma_f32 v5, -v5, v11, v9
	s_delay_alu instid0(TRANS32_DEP_1) | instskip(SKIP_1) | instid1(VALU_DEP_2)
	v_fma_f32 v1, -v6, v8, 1.0
	s_wait_alu 0xfffd
	v_div_fmas_f32 v5, v5, v7, v11
	s_delay_alu instid0(VALU_DEP_2)
	v_fmac_f32_e32 v8, v1, v8
	v_mad_co_u64_u32 v[0:1], null, v222, s25, v[131:132]
	s_mov_b32 vcc_lo, s3
	v_div_fixup_f32 v2, v5, v3, v2
	v_mul_f32_e32 v12, v10, v8
	v_mad_co_u64_u32 v[0:1], null, v0, 48, v[232:233]
	s_delay_alu instid0(VALU_DEP_2) | instskip(NEXT) | instid1(VALU_DEP_1)
	v_fma_f32 v14, -v6, v12, v10
	v_fmac_f32_e32 v12, v14, v8
	s_delay_alu instid0(VALU_DEP_3) | instskip(NEXT) | instid1(VALU_DEP_2)
	v_ashrrev_i32_e32 v1, 31, v0
	v_fma_f32 v6, -v6, v12, v10
	s_delay_alu instid0(VALU_DEP_2) | instskip(SKIP_1) | instid1(VALU_DEP_2)
	v_lshlrev_b64_e32 v[0:1], 3, v[0:1]
	s_wait_alu 0xfffe
	v_div_fmas_f32 v6, v6, v8, v12
	s_delay_alu instid0(VALU_DEP_1) | instskip(NEXT) | instid1(VALU_DEP_3)
	v_div_fixup_f32 v3, v6, v3, v4
	v_add_co_u32 v4, vcc_lo, s72, v0
	s_wait_alu 0xfffd
	v_add_co_ci_u32_e64 v5, null, s73, v1, vcc_lo
	v_mov_b32_e32 v0, 0
	global_store_b64 v[4:5], v[2:3], off
.LBB14_393:                             ;   in Loop: Header=BB14_9 Depth=1
	s_wait_alu 0xfffe
	s_or_b32 exec_lo, exec_lo, s5
	s_mov_b32 s3, -1
	s_mov_b32 s5, exec_lo
	v_cmpx_gt_i32_e32 50, v0
; %bb.394:                              ;   in Loop: Header=BB14_9 Depth=1
	v_cmp_eq_u32_e32 vcc_lo, 0, v0
	s_or_not1_b32 s3, vcc_lo, exec_lo
; %bb.395:                              ;   in Loop: Header=BB14_9 Depth=1
	s_wait_alu 0xfffe
	s_or_b32 exec_lo, exec_lo, s5
	s_delay_alu instid0(SALU_CYCLE_1)
	s_and_b32 exec_lo, exec_lo, s3
	s_cbranch_execz .LBB14_428
; %bb.396:                              ;   in Loop: Header=BB14_9 Depth=1
	v_mov_b32_e32 v0, 50
	s_and_saveexec_b32 s5, s30
	s_cbranch_execz .LBB14_398
; %bb.397:                              ;   in Loop: Header=BB14_9 Depth=1
	scratch_load_b32 v1, off, off offset:600 ; 4-byte Folded Reload
	s_wait_loadcnt 0x0
	v_add_nc_u32_e32 v0, v1, v139
	ds_load_b32 v0, v0
	ds_load_b32 v3, v1 offset:196
	s_wait_dscnt 0x1
	v_lshrrev_b32_e32 v1, 16, v0
	v_cvt_f32_f16_e32 v0, v0
	s_delay_alu instid0(VALU_DEP_2) | instskip(NEXT) | instid1(VALU_DEP_2)
	v_cvt_f32_f16_e32 v1, v1
	v_add_f32_e32 v2, 0, v0
	s_wait_dscnt 0x0
	s_delay_alu instid0(VALU_DEP_1) | instskip(NEXT) | instid1(VALU_DEP_1)
	v_div_scale_f32 v5, null, v3, v3, v2
	v_rcp_f32_e32 v7, v5
	s_delay_alu instid0(TRANS32_DEP_1) | instskip(NEXT) | instid1(VALU_DEP_1)
	v_fma_f32 v0, -v5, v7, 1.0
	v_fmac_f32_e32 v7, v0, v7
	v_div_scale_f32 v9, vcc_lo, v2, v3, v2
	s_delay_alu instid0(VALU_DEP_1) | instskip(NEXT) | instid1(VALU_DEP_1)
	v_dual_add_f32 v4, 0, v1 :: v_dual_mul_f32 v11, v9, v7
	v_div_scale_f32 v6, null, v3, v3, v4
	v_div_scale_f32 v10, s3, v4, v3, v4
	s_delay_alu instid0(VALU_DEP_3) | instskip(NEXT) | instid1(VALU_DEP_3)
	v_fma_f32 v13, -v5, v11, v9
	v_rcp_f32_e32 v8, v6
	s_delay_alu instid0(VALU_DEP_1) | instskip(NEXT) | instid1(VALU_DEP_1)
	v_fmac_f32_e32 v11, v13, v7
	v_fma_f32 v5, -v5, v11, v9
	s_delay_alu instid0(TRANS32_DEP_1) | instskip(SKIP_1) | instid1(VALU_DEP_2)
	v_fma_f32 v1, -v6, v8, 1.0
	s_wait_alu 0xfffd
	v_div_fmas_f32 v5, v5, v7, v11
	s_delay_alu instid0(VALU_DEP_2)
	v_fmac_f32_e32 v8, v1, v8
	v_mad_co_u64_u32 v[0:1], null, v220, s25, v[131:132]
	s_mov_b32 vcc_lo, s3
	v_div_fixup_f32 v2, v5, v3, v2
	v_mul_f32_e32 v12, v10, v8
	v_mad_co_u64_u32 v[0:1], null, v0, 48, v[232:233]
	s_delay_alu instid0(VALU_DEP_2) | instskip(NEXT) | instid1(VALU_DEP_1)
	v_fma_f32 v14, -v6, v12, v10
	v_fmac_f32_e32 v12, v14, v8
	s_delay_alu instid0(VALU_DEP_3) | instskip(NEXT) | instid1(VALU_DEP_2)
	v_ashrrev_i32_e32 v1, 31, v0
	v_fma_f32 v6, -v6, v12, v10
	s_delay_alu instid0(VALU_DEP_2) | instskip(SKIP_1) | instid1(VALU_DEP_2)
	v_lshlrev_b64_e32 v[0:1], 3, v[0:1]
	s_wait_alu 0xfffe
	v_div_fmas_f32 v6, v6, v8, v12
	s_delay_alu instid0(VALU_DEP_1) | instskip(NEXT) | instid1(VALU_DEP_3)
	v_div_fixup_f32 v3, v6, v3, v4
	v_add_co_u32 v4, vcc_lo, s72, v0
	s_wait_alu 0xfffd
	v_add_co_ci_u32_e64 v5, null, s73, v1, vcc_lo
	v_mov_b32_e32 v0, 0
	global_store_b64 v[4:5], v[2:3], off
.LBB14_398:                             ;   in Loop: Header=BB14_9 Depth=1
	s_wait_alu 0xfffe
	s_or_b32 exec_lo, exec_lo, s5
	s_mov_b32 s3, -1
	s_mov_b32 s5, exec_lo
	v_cmpx_gt_i32_e32 50, v0
; %bb.399:                              ;   in Loop: Header=BB14_9 Depth=1
	v_cmp_eq_u32_e32 vcc_lo, 0, v0
	s_or_not1_b32 s3, vcc_lo, exec_lo
; %bb.400:                              ;   in Loop: Header=BB14_9 Depth=1
	s_wait_alu 0xfffe
	s_or_b32 exec_lo, exec_lo, s5
	s_delay_alu instid0(SALU_CYCLE_1)
	s_and_b32 exec_lo, exec_lo, s3
	s_cbranch_execz .LBB14_428
; %bb.401:                              ;   in Loop: Header=BB14_9 Depth=1
	v_mov_b32_e32 v0, 50
	s_and_saveexec_b32 s5, vcc_hi
	s_cbranch_execz .LBB14_403
; %bb.402:                              ;   in Loop: Header=BB14_9 Depth=1
	scratch_load_b32 v1, off, off offset:604 ; 4-byte Folded Reload
	s_wait_loadcnt 0x0
	v_add_nc_u32_e32 v0, v1, v139
	ds_load_b32 v0, v0
	ds_load_b32 v3, v1 offset:196
	s_wait_dscnt 0x1
	v_lshrrev_b32_e32 v1, 16, v0
	v_cvt_f32_f16_e32 v0, v0
	s_delay_alu instid0(VALU_DEP_2) | instskip(NEXT) | instid1(VALU_DEP_2)
	v_cvt_f32_f16_e32 v1, v1
	v_add_f32_e32 v2, 0, v0
	s_wait_dscnt 0x0
	s_delay_alu instid0(VALU_DEP_1) | instskip(NEXT) | instid1(VALU_DEP_1)
	v_div_scale_f32 v5, null, v3, v3, v2
	v_rcp_f32_e32 v7, v5
	s_delay_alu instid0(TRANS32_DEP_1) | instskip(NEXT) | instid1(VALU_DEP_1)
	v_fma_f32 v0, -v5, v7, 1.0
	v_fmac_f32_e32 v7, v0, v7
	v_div_scale_f32 v9, vcc_lo, v2, v3, v2
	s_delay_alu instid0(VALU_DEP_1) | instskip(NEXT) | instid1(VALU_DEP_1)
	v_dual_add_f32 v4, 0, v1 :: v_dual_mul_f32 v11, v9, v7
	v_div_scale_f32 v6, null, v3, v3, v4
	v_div_scale_f32 v10, s3, v4, v3, v4
	s_delay_alu instid0(VALU_DEP_3) | instskip(NEXT) | instid1(VALU_DEP_3)
	v_fma_f32 v13, -v5, v11, v9
	v_rcp_f32_e32 v8, v6
	s_delay_alu instid0(VALU_DEP_1) | instskip(NEXT) | instid1(VALU_DEP_1)
	v_fmac_f32_e32 v11, v13, v7
	v_fma_f32 v5, -v5, v11, v9
	s_delay_alu instid0(TRANS32_DEP_1) | instskip(SKIP_1) | instid1(VALU_DEP_2)
	v_fma_f32 v1, -v6, v8, 1.0
	s_wait_alu 0xfffd
	v_div_fmas_f32 v5, v5, v7, v11
	s_delay_alu instid0(VALU_DEP_2)
	v_fmac_f32_e32 v8, v1, v8
	v_mad_co_u64_u32 v[0:1], null, v218, s25, v[131:132]
	s_mov_b32 vcc_lo, s3
	v_div_fixup_f32 v2, v5, v3, v2
	v_mul_f32_e32 v12, v10, v8
	v_mad_co_u64_u32 v[0:1], null, v0, 48, v[232:233]
	s_delay_alu instid0(VALU_DEP_2) | instskip(NEXT) | instid1(VALU_DEP_1)
	v_fma_f32 v14, -v6, v12, v10
	v_fmac_f32_e32 v12, v14, v8
	s_delay_alu instid0(VALU_DEP_3) | instskip(NEXT) | instid1(VALU_DEP_2)
	v_ashrrev_i32_e32 v1, 31, v0
	v_fma_f32 v6, -v6, v12, v10
	s_delay_alu instid0(VALU_DEP_2) | instskip(SKIP_1) | instid1(VALU_DEP_2)
	v_lshlrev_b64_e32 v[0:1], 3, v[0:1]
	s_wait_alu 0xfffe
	v_div_fmas_f32 v6, v6, v8, v12
	s_delay_alu instid0(VALU_DEP_1) | instskip(NEXT) | instid1(VALU_DEP_3)
	v_div_fixup_f32 v3, v6, v3, v4
	v_add_co_u32 v4, vcc_lo, s72, v0
	s_wait_alu 0xfffd
	v_add_co_ci_u32_e64 v5, null, s73, v1, vcc_lo
	v_mov_b32_e32 v0, 0
	global_store_b64 v[4:5], v[2:3], off
.LBB14_403:                             ;   in Loop: Header=BB14_9 Depth=1
	s_wait_alu 0xfffe
	s_or_b32 exec_lo, exec_lo, s5
	s_mov_b32 s3, -1
	s_mov_b32 s5, exec_lo
	v_cmpx_gt_i32_e32 50, v0
; %bb.404:                              ;   in Loop: Header=BB14_9 Depth=1
	v_cmp_eq_u32_e32 vcc_lo, 0, v0
	s_or_not1_b32 s3, vcc_lo, exec_lo
; %bb.405:                              ;   in Loop: Header=BB14_9 Depth=1
	s_wait_alu 0xfffe
	s_or_b32 exec_lo, exec_lo, s5
	s_delay_alu instid0(SALU_CYCLE_1)
	s_and_b32 exec_lo, exec_lo, s3
	s_cbranch_execz .LBB14_428
; %bb.406:                              ;   in Loop: Header=BB14_9 Depth=1
	v_mov_b32_e32 v0, 50
	s_and_saveexec_b32 s5, s51
	s_cbranch_execz .LBB14_408
; %bb.407:                              ;   in Loop: Header=BB14_9 Depth=1
	scratch_load_b32 v1, off, off offset:608 ; 4-byte Folded Reload
	s_wait_loadcnt 0x0
	v_add_nc_u32_e32 v0, v1, v139
	ds_load_b32 v0, v0
	ds_load_b32 v3, v1 offset:196
	s_wait_dscnt 0x1
	v_lshrrev_b32_e32 v1, 16, v0
	v_cvt_f32_f16_e32 v0, v0
	s_delay_alu instid0(VALU_DEP_2) | instskip(NEXT) | instid1(VALU_DEP_2)
	v_cvt_f32_f16_e32 v1, v1
	v_add_f32_e32 v2, 0, v0
	s_wait_dscnt 0x0
	s_delay_alu instid0(VALU_DEP_1) | instskip(NEXT) | instid1(VALU_DEP_1)
	v_div_scale_f32 v5, null, v3, v3, v2
	v_rcp_f32_e32 v7, v5
	s_delay_alu instid0(TRANS32_DEP_1) | instskip(NEXT) | instid1(VALU_DEP_1)
	v_fma_f32 v0, -v5, v7, 1.0
	v_fmac_f32_e32 v7, v0, v7
	v_div_scale_f32 v9, vcc_lo, v2, v3, v2
	s_delay_alu instid0(VALU_DEP_1) | instskip(NEXT) | instid1(VALU_DEP_1)
	v_dual_add_f32 v4, 0, v1 :: v_dual_mul_f32 v11, v9, v7
	v_div_scale_f32 v6, null, v3, v3, v4
	v_div_scale_f32 v10, s3, v4, v3, v4
	s_delay_alu instid0(VALU_DEP_3) | instskip(NEXT) | instid1(VALU_DEP_3)
	v_fma_f32 v13, -v5, v11, v9
	v_rcp_f32_e32 v8, v6
	s_delay_alu instid0(VALU_DEP_1) | instskip(NEXT) | instid1(VALU_DEP_1)
	v_fmac_f32_e32 v11, v13, v7
	v_fma_f32 v5, -v5, v11, v9
	s_delay_alu instid0(TRANS32_DEP_1) | instskip(SKIP_1) | instid1(VALU_DEP_2)
	v_fma_f32 v1, -v6, v8, 1.0
	s_wait_alu 0xfffd
	v_div_fmas_f32 v5, v5, v7, v11
	s_delay_alu instid0(VALU_DEP_2)
	v_fmac_f32_e32 v8, v1, v8
	v_mad_co_u64_u32 v[0:1], null, v208, s25, v[131:132]
	s_mov_b32 vcc_lo, s3
	v_div_fixup_f32 v2, v5, v3, v2
	v_mul_f32_e32 v12, v10, v8
	v_mad_co_u64_u32 v[0:1], null, v0, 48, v[232:233]
	s_delay_alu instid0(VALU_DEP_2) | instskip(NEXT) | instid1(VALU_DEP_1)
	v_fma_f32 v14, -v6, v12, v10
	v_fmac_f32_e32 v12, v14, v8
	s_delay_alu instid0(VALU_DEP_3) | instskip(NEXT) | instid1(VALU_DEP_2)
	v_ashrrev_i32_e32 v1, 31, v0
	v_fma_f32 v6, -v6, v12, v10
	s_delay_alu instid0(VALU_DEP_2) | instskip(SKIP_1) | instid1(VALU_DEP_2)
	v_lshlrev_b64_e32 v[0:1], 3, v[0:1]
	s_wait_alu 0xfffe
	v_div_fmas_f32 v6, v6, v8, v12
	s_delay_alu instid0(VALU_DEP_1) | instskip(NEXT) | instid1(VALU_DEP_3)
	v_div_fixup_f32 v3, v6, v3, v4
	v_add_co_u32 v4, vcc_lo, s72, v0
	s_wait_alu 0xfffd
	v_add_co_ci_u32_e64 v5, null, s73, v1, vcc_lo
	v_mov_b32_e32 v0, 0
	global_store_b64 v[4:5], v[2:3], off
.LBB14_408:                             ;   in Loop: Header=BB14_9 Depth=1
	s_wait_alu 0xfffe
	s_or_b32 exec_lo, exec_lo, s5
	s_mov_b32 s3, -1
	s_mov_b32 s5, exec_lo
	v_cmpx_gt_i32_e32 50, v0
; %bb.409:                              ;   in Loop: Header=BB14_9 Depth=1
	v_cmp_eq_u32_e32 vcc_lo, 0, v0
	s_or_not1_b32 s3, vcc_lo, exec_lo
; %bb.410:                              ;   in Loop: Header=BB14_9 Depth=1
	s_wait_alu 0xfffe
	s_or_b32 exec_lo, exec_lo, s5
	s_delay_alu instid0(SALU_CYCLE_1)
	s_and_b32 exec_lo, exec_lo, s3
	s_cbranch_execz .LBB14_428
; %bb.411:                              ;   in Loop: Header=BB14_9 Depth=1
	v_mov_b32_e32 v0, 50
	s_and_saveexec_b32 s5, s43
	s_cbranch_execz .LBB14_413
; %bb.412:                              ;   in Loop: Header=BB14_9 Depth=1
	scratch_load_b32 v1, off, off offset:616 ; 4-byte Folded Reload
	s_wait_loadcnt 0x0
	v_add_nc_u32_e32 v0, v1, v139
	ds_load_b32 v0, v0
	ds_load_b32 v3, v1 offset:196
	s_wait_dscnt 0x1
	v_lshrrev_b32_e32 v1, 16, v0
	v_cvt_f32_f16_e32 v0, v0
	s_delay_alu instid0(VALU_DEP_2) | instskip(NEXT) | instid1(VALU_DEP_2)
	v_cvt_f32_f16_e32 v1, v1
	v_add_f32_e32 v2, 0, v0
	s_wait_dscnt 0x0
	s_delay_alu instid0(VALU_DEP_1) | instskip(NEXT) | instid1(VALU_DEP_1)
	v_div_scale_f32 v5, null, v3, v3, v2
	v_rcp_f32_e32 v7, v5
	s_delay_alu instid0(TRANS32_DEP_1) | instskip(NEXT) | instid1(VALU_DEP_1)
	v_fma_f32 v0, -v5, v7, 1.0
	v_fmac_f32_e32 v7, v0, v7
	v_div_scale_f32 v9, vcc_lo, v2, v3, v2
	s_delay_alu instid0(VALU_DEP_1) | instskip(NEXT) | instid1(VALU_DEP_1)
	v_dual_add_f32 v4, 0, v1 :: v_dual_mul_f32 v11, v9, v7
	v_div_scale_f32 v6, null, v3, v3, v4
	v_div_scale_f32 v10, s3, v4, v3, v4
	s_delay_alu instid0(VALU_DEP_3) | instskip(NEXT) | instid1(VALU_DEP_3)
	v_fma_f32 v13, -v5, v11, v9
	v_rcp_f32_e32 v8, v6
	s_delay_alu instid0(VALU_DEP_1) | instskip(NEXT) | instid1(VALU_DEP_1)
	v_fmac_f32_e32 v11, v13, v7
	v_fma_f32 v5, -v5, v11, v9
	s_delay_alu instid0(TRANS32_DEP_1) | instskip(SKIP_1) | instid1(VALU_DEP_2)
	v_fma_f32 v1, -v6, v8, 1.0
	s_wait_alu 0xfffd
	v_div_fmas_f32 v5, v5, v7, v11
	s_delay_alu instid0(VALU_DEP_2)
	v_fmac_f32_e32 v8, v1, v8
	v_mad_co_u64_u32 v[0:1], null, v191, s25, v[131:132]
	s_mov_b32 vcc_lo, s3
	v_div_fixup_f32 v2, v5, v3, v2
	v_mul_f32_e32 v12, v10, v8
	v_mad_co_u64_u32 v[0:1], null, v0, 48, v[232:233]
	s_delay_alu instid0(VALU_DEP_2) | instskip(NEXT) | instid1(VALU_DEP_1)
	v_fma_f32 v14, -v6, v12, v10
	v_fmac_f32_e32 v12, v14, v8
	s_delay_alu instid0(VALU_DEP_3) | instskip(NEXT) | instid1(VALU_DEP_2)
	v_ashrrev_i32_e32 v1, 31, v0
	v_fma_f32 v6, -v6, v12, v10
	s_delay_alu instid0(VALU_DEP_2) | instskip(SKIP_1) | instid1(VALU_DEP_2)
	v_lshlrev_b64_e32 v[0:1], 3, v[0:1]
	s_wait_alu 0xfffe
	v_div_fmas_f32 v6, v6, v8, v12
	s_delay_alu instid0(VALU_DEP_1) | instskip(NEXT) | instid1(VALU_DEP_3)
	v_div_fixup_f32 v3, v6, v3, v4
	v_add_co_u32 v4, vcc_lo, s72, v0
	s_wait_alu 0xfffd
	v_add_co_ci_u32_e64 v5, null, s73, v1, vcc_lo
	v_mov_b32_e32 v0, 0
	global_store_b64 v[4:5], v[2:3], off
.LBB14_413:                             ;   in Loop: Header=BB14_9 Depth=1
	s_wait_alu 0xfffe
	s_or_b32 exec_lo, exec_lo, s5
	s_mov_b32 s3, -1
	s_mov_b32 s5, exec_lo
	v_cmpx_gt_i32_e32 50, v0
; %bb.414:                              ;   in Loop: Header=BB14_9 Depth=1
	v_cmp_eq_u32_e32 vcc_lo, 0, v0
	s_or_not1_b32 s3, vcc_lo, exec_lo
; %bb.415:                              ;   in Loop: Header=BB14_9 Depth=1
	s_wait_alu 0xfffe
	s_or_b32 exec_lo, exec_lo, s5
	s_delay_alu instid0(SALU_CYCLE_1)
	s_and_b32 exec_lo, exec_lo, s3
	s_cbranch_execz .LBB14_428
; %bb.416:                              ;   in Loop: Header=BB14_9 Depth=1
	v_mov_b32_e32 v0, 50
	s_and_saveexec_b32 s5, s42
	s_cbranch_execz .LBB14_418
; %bb.417:                              ;   in Loop: Header=BB14_9 Depth=1
	scratch_load_b32 v1, off, off offset:620 ; 4-byte Folded Reload
	s_wait_loadcnt 0x0
	v_add_nc_u32_e32 v0, v1, v139
	ds_load_b32 v0, v0
	ds_load_b32 v3, v1 offset:196
	s_wait_dscnt 0x1
	v_lshrrev_b32_e32 v1, 16, v0
	v_cvt_f32_f16_e32 v0, v0
	s_delay_alu instid0(VALU_DEP_2) | instskip(NEXT) | instid1(VALU_DEP_2)
	v_cvt_f32_f16_e32 v1, v1
	v_add_f32_e32 v2, 0, v0
	s_wait_dscnt 0x0
	s_delay_alu instid0(VALU_DEP_1) | instskip(NEXT) | instid1(VALU_DEP_1)
	v_div_scale_f32 v5, null, v3, v3, v2
	v_rcp_f32_e32 v7, v5
	s_delay_alu instid0(TRANS32_DEP_1) | instskip(NEXT) | instid1(VALU_DEP_1)
	v_fma_f32 v0, -v5, v7, 1.0
	v_fmac_f32_e32 v7, v0, v7
	v_div_scale_f32 v9, vcc_lo, v2, v3, v2
	s_delay_alu instid0(VALU_DEP_1) | instskip(NEXT) | instid1(VALU_DEP_1)
	v_dual_add_f32 v4, 0, v1 :: v_dual_mul_f32 v11, v9, v7
	v_div_scale_f32 v6, null, v3, v3, v4
	v_div_scale_f32 v10, s3, v4, v3, v4
	s_delay_alu instid0(VALU_DEP_3) | instskip(NEXT) | instid1(VALU_DEP_3)
	v_fma_f32 v13, -v5, v11, v9
	v_rcp_f32_e32 v8, v6
	s_delay_alu instid0(VALU_DEP_1) | instskip(NEXT) | instid1(VALU_DEP_1)
	v_fmac_f32_e32 v11, v13, v7
	v_fma_f32 v5, -v5, v11, v9
	s_delay_alu instid0(TRANS32_DEP_1) | instskip(SKIP_1) | instid1(VALU_DEP_2)
	v_fma_f32 v1, -v6, v8, 1.0
	s_wait_alu 0xfffd
	v_div_fmas_f32 v5, v5, v7, v11
	s_delay_alu instid0(VALU_DEP_2)
	v_fmac_f32_e32 v8, v1, v8
	v_mad_co_u64_u32 v[0:1], null, v190, s25, v[131:132]
	s_mov_b32 vcc_lo, s3
	v_div_fixup_f32 v2, v5, v3, v2
	v_mul_f32_e32 v12, v10, v8
	v_mad_co_u64_u32 v[0:1], null, v0, 48, v[232:233]
	s_delay_alu instid0(VALU_DEP_2) | instskip(NEXT) | instid1(VALU_DEP_1)
	v_fma_f32 v14, -v6, v12, v10
	v_fmac_f32_e32 v12, v14, v8
	s_delay_alu instid0(VALU_DEP_3) | instskip(NEXT) | instid1(VALU_DEP_2)
	v_ashrrev_i32_e32 v1, 31, v0
	v_fma_f32 v6, -v6, v12, v10
	s_delay_alu instid0(VALU_DEP_2) | instskip(SKIP_1) | instid1(VALU_DEP_2)
	v_lshlrev_b64_e32 v[0:1], 3, v[0:1]
	s_wait_alu 0xfffe
	v_div_fmas_f32 v6, v6, v8, v12
	s_delay_alu instid0(VALU_DEP_1) | instskip(NEXT) | instid1(VALU_DEP_3)
	v_div_fixup_f32 v3, v6, v3, v4
	v_add_co_u32 v4, vcc_lo, s72, v0
	s_wait_alu 0xfffd
	v_add_co_ci_u32_e64 v5, null, s73, v1, vcc_lo
	v_mov_b32_e32 v0, 0
	global_store_b64 v[4:5], v[2:3], off
.LBB14_418:                             ;   in Loop: Header=BB14_9 Depth=1
	s_wait_alu 0xfffe
	s_or_b32 exec_lo, exec_lo, s5
	s_mov_b32 s3, -1
	s_mov_b32 s5, exec_lo
	v_cmpx_gt_i32_e32 50, v0
; %bb.419:                              ;   in Loop: Header=BB14_9 Depth=1
	v_cmp_eq_u32_e32 vcc_lo, 0, v0
	s_or_not1_b32 s3, vcc_lo, exec_lo
; %bb.420:                              ;   in Loop: Header=BB14_9 Depth=1
	s_wait_alu 0xfffe
	s_or_b32 exec_lo, exec_lo, s5
	s_delay_alu instid0(SALU_CYCLE_1)
	s_and_b32 exec_lo, exec_lo, s3
	s_cbranch_execz .LBB14_428
; %bb.421:                              ;   in Loop: Header=BB14_9 Depth=1
	v_mov_b32_e32 v0, 50
	s_and_saveexec_b32 s5, s0
	s_cbranch_execz .LBB14_423
; %bb.422:                              ;   in Loop: Header=BB14_9 Depth=1
	scratch_load_b32 v1, off, off offset:624 ; 4-byte Folded Reload
	s_wait_loadcnt 0x0
	v_add_nc_u32_e32 v0, v1, v139
	ds_load_b32 v0, v0
	ds_load_b32 v3, v1 offset:196
	s_wait_dscnt 0x1
	v_lshrrev_b32_e32 v1, 16, v0
	v_cvt_f32_f16_e32 v0, v0
	s_delay_alu instid0(VALU_DEP_2) | instskip(NEXT) | instid1(VALU_DEP_2)
	v_cvt_f32_f16_e32 v1, v1
	v_add_f32_e32 v2, 0, v0
	s_wait_dscnt 0x0
	s_delay_alu instid0(VALU_DEP_1) | instskip(NEXT) | instid1(VALU_DEP_1)
	v_div_scale_f32 v5, null, v3, v3, v2
	v_rcp_f32_e32 v7, v5
	s_delay_alu instid0(TRANS32_DEP_1) | instskip(NEXT) | instid1(VALU_DEP_1)
	v_fma_f32 v0, -v5, v7, 1.0
	v_fmac_f32_e32 v7, v0, v7
	v_div_scale_f32 v9, vcc_lo, v2, v3, v2
	s_delay_alu instid0(VALU_DEP_1) | instskip(NEXT) | instid1(VALU_DEP_1)
	v_dual_add_f32 v4, 0, v1 :: v_dual_mul_f32 v11, v9, v7
	v_div_scale_f32 v6, null, v3, v3, v4
	v_div_scale_f32 v10, s3, v4, v3, v4
	s_delay_alu instid0(VALU_DEP_3) | instskip(NEXT) | instid1(VALU_DEP_3)
	v_fma_f32 v13, -v5, v11, v9
	v_rcp_f32_e32 v8, v6
	s_delay_alu instid0(VALU_DEP_1) | instskip(NEXT) | instid1(VALU_DEP_1)
	v_fmac_f32_e32 v11, v13, v7
	v_fma_f32 v5, -v5, v11, v9
	s_delay_alu instid0(TRANS32_DEP_1) | instskip(SKIP_1) | instid1(VALU_DEP_2)
	v_fma_f32 v1, -v6, v8, 1.0
	s_wait_alu 0xfffd
	v_div_fmas_f32 v5, v5, v7, v11
	s_delay_alu instid0(VALU_DEP_2)
	v_fmac_f32_e32 v8, v1, v8
	v_mad_co_u64_u32 v[0:1], null, v189, s25, v[131:132]
	s_mov_b32 vcc_lo, s3
	v_div_fixup_f32 v2, v5, v3, v2
	v_mul_f32_e32 v12, v10, v8
	v_mad_co_u64_u32 v[0:1], null, v0, 48, v[232:233]
	s_delay_alu instid0(VALU_DEP_2) | instskip(NEXT) | instid1(VALU_DEP_1)
	v_fma_f32 v14, -v6, v12, v10
	v_fmac_f32_e32 v12, v14, v8
	s_delay_alu instid0(VALU_DEP_3) | instskip(NEXT) | instid1(VALU_DEP_2)
	v_ashrrev_i32_e32 v1, 31, v0
	v_fma_f32 v6, -v6, v12, v10
	s_delay_alu instid0(VALU_DEP_2) | instskip(SKIP_1) | instid1(VALU_DEP_2)
	v_lshlrev_b64_e32 v[0:1], 3, v[0:1]
	s_wait_alu 0xfffe
	v_div_fmas_f32 v6, v6, v8, v12
	s_delay_alu instid0(VALU_DEP_1) | instskip(NEXT) | instid1(VALU_DEP_3)
	v_div_fixup_f32 v3, v6, v3, v4
	v_add_co_u32 v4, vcc_lo, s72, v0
	s_wait_alu 0xfffd
	v_add_co_ci_u32_e64 v5, null, s73, v1, vcc_lo
	v_mov_b32_e32 v0, 0
	global_store_b64 v[4:5], v[2:3], off
.LBB14_423:                             ;   in Loop: Header=BB14_9 Depth=1
	s_wait_alu 0xfffe
	s_or_b32 exec_lo, exec_lo, s5
	s_mov_b32 s0, -1
	s_mov_b32 s3, exec_lo
	v_cmpx_gt_i32_e32 50, v0
; %bb.424:                              ;   in Loop: Header=BB14_9 Depth=1
	v_cmp_eq_u32_e32 vcc_lo, 0, v0
	s_or_not1_b32 s0, vcc_lo, exec_lo
; %bb.425:                              ;   in Loop: Header=BB14_9 Depth=1
	s_wait_alu 0xfffe
	s_or_b32 exec_lo, exec_lo, s3
	s_delay_alu instid0(SALU_CYCLE_1)
	s_and_b32 exec_lo, exec_lo, s0
	s_cbranch_execz .LBB14_428
; %bb.426:                              ;   in Loop: Header=BB14_9 Depth=1
	s_and_b32 exec_lo, exec_lo, s1
	s_cbranch_execz .LBB14_428
; %bb.427:                              ;   in Loop: Header=BB14_9 Depth=1
	scratch_load_b32 v1, off, off offset:628 ; 4-byte Folded Reload
	s_wait_loadcnt 0x0
	v_add_nc_u32_e32 v0, v1, v139
	ds_load_b32 v0, v0
	ds_load_b32 v3, v1 offset:196
	s_wait_dscnt 0x1
	v_lshrrev_b32_e32 v1, 16, v0
	v_cvt_f32_f16_e32 v0, v0
	s_delay_alu instid0(VALU_DEP_2) | instskip(NEXT) | instid1(VALU_DEP_2)
	v_cvt_f32_f16_e32 v1, v1
	v_add_f32_e32 v2, 0, v0
	s_wait_dscnt 0x0
	s_delay_alu instid0(VALU_DEP_1) | instskip(NEXT) | instid1(VALU_DEP_1)
	v_div_scale_f32 v5, null, v3, v3, v2
	v_rcp_f32_e32 v7, v5
	s_delay_alu instid0(TRANS32_DEP_1) | instskip(NEXT) | instid1(VALU_DEP_1)
	v_fma_f32 v0, -v5, v7, 1.0
	v_fmac_f32_e32 v7, v0, v7
	v_div_scale_f32 v9, vcc_lo, v2, v3, v2
	s_delay_alu instid0(VALU_DEP_1) | instskip(NEXT) | instid1(VALU_DEP_1)
	v_dual_add_f32 v4, 0, v1 :: v_dual_mul_f32 v11, v9, v7
	v_div_scale_f32 v6, null, v3, v3, v4
	v_div_scale_f32 v10, s3, v4, v3, v4
	s_delay_alu instid0(VALU_DEP_3) | instskip(NEXT) | instid1(VALU_DEP_3)
	v_fma_f32 v13, -v5, v11, v9
	v_rcp_f32_e32 v8, v6
	s_delay_alu instid0(VALU_DEP_1) | instskip(NEXT) | instid1(VALU_DEP_1)
	v_fmac_f32_e32 v11, v13, v7
	v_fma_f32 v5, -v5, v11, v9
	s_delay_alu instid0(TRANS32_DEP_1) | instskip(SKIP_1) | instid1(VALU_DEP_2)
	v_fma_f32 v1, -v6, v8, 1.0
	s_wait_alu 0xfffd
	v_div_fmas_f32 v5, v5, v7, v11
	s_delay_alu instid0(VALU_DEP_2)
	v_fmac_f32_e32 v8, v1, v8
	v_mad_co_u64_u32 v[0:1], null, v183, s25, v[131:132]
	s_mov_b32 vcc_lo, s3
	v_div_fixup_f32 v2, v5, v3, v2
	v_mul_f32_e32 v12, v10, v8
	v_mad_co_u64_u32 v[0:1], null, v0, 48, v[232:233]
	s_delay_alu instid0(VALU_DEP_2) | instskip(NEXT) | instid1(VALU_DEP_1)
	v_fma_f32 v14, -v6, v12, v10
	v_fmac_f32_e32 v12, v14, v8
	s_delay_alu instid0(VALU_DEP_3) | instskip(NEXT) | instid1(VALU_DEP_2)
	v_ashrrev_i32_e32 v1, 31, v0
	v_fma_f32 v6, -v6, v12, v10
	s_delay_alu instid0(VALU_DEP_2) | instskip(SKIP_1) | instid1(VALU_DEP_2)
	v_lshlrev_b64_e32 v[0:1], 3, v[0:1]
	s_wait_alu 0xfffe
	v_div_fmas_f32 v6, v6, v8, v12
	s_delay_alu instid0(VALU_DEP_2) | instskip(SKIP_1) | instid1(VALU_DEP_3)
	v_add_co_u32 v0, vcc_lo, s72, v0
	s_wait_alu 0xfffd
	v_add_co_ci_u32_e64 v1, null, s73, v1, vcc_lo
	s_delay_alu instid0(VALU_DEP_3)
	v_div_fixup_f32 v3, v6, v3, v4
	global_store_b64 v[0:1], v[2:3], off
.LBB14_428:                             ;   in Loop: Header=BB14_9 Depth=1
	s_wait_alu 0xfffe
	s_or_b32 exec_lo, exec_lo, s4
	v_mov_b32_e32 v0, 50
	s_and_saveexec_b32 s0, s44
	s_cbranch_execz .LBB14_430
; %bb.429:                              ;   in Loop: Header=BB14_9 Depth=1
	s_clause 0x1
	scratch_load_b32 v0, off, off offset:8
	scratch_load_b32 v1, off, off offset:388
	s_wait_loadcnt 0x1
	ds_load_b32 v0, v0 offset:128
	s_wait_loadcnt 0x0
	ds_load_b32 v3, v1 offset:196
	s_wait_dscnt 0x1
	v_lshrrev_b32_e32 v1, 16, v0
	v_cvt_f32_f16_e32 v0, v0
	s_delay_alu instid0(VALU_DEP_2) | instskip(NEXT) | instid1(VALU_DEP_2)
	v_cvt_f32_f16_e32 v1, v1
	v_add_f32_e32 v2, 0, v0
	s_wait_dscnt 0x0
	s_delay_alu instid0(VALU_DEP_1) | instskip(NEXT) | instid1(VALU_DEP_1)
	v_div_scale_f32 v5, null, v3, v3, v2
	v_rcp_f32_e32 v7, v5
	s_delay_alu instid0(TRANS32_DEP_1) | instskip(NEXT) | instid1(VALU_DEP_1)
	v_fma_f32 v0, -v5, v7, 1.0
	v_fmac_f32_e32 v7, v0, v7
	v_div_scale_f32 v9, vcc_lo, v2, v3, v2
	s_delay_alu instid0(VALU_DEP_1) | instskip(NEXT) | instid1(VALU_DEP_1)
	v_dual_add_f32 v4, 0, v1 :: v_dual_mul_f32 v11, v9, v7
	v_div_scale_f32 v6, null, v3, v3, v4
	v_div_scale_f32 v10, s3, v4, v3, v4
	s_delay_alu instid0(VALU_DEP_2) | instskip(NEXT) | instid1(TRANS32_DEP_1)
	v_rcp_f32_e32 v8, v6
	v_fma_f32 v1, -v6, v8, 1.0
	s_delay_alu instid0(VALU_DEP_1) | instskip(SKIP_2) | instid1(VALU_DEP_1)
	v_fmac_f32_e32 v8, v1, v8
	v_mad_co_u64_u32 v[0:1], null, v172, s25, v[202:203]
	v_fma_f32 v1, -v5, v11, v9
	v_dual_mul_f32 v12, v10, v8 :: v_dual_fmac_f32 v11, v1, v7
	s_delay_alu instid0(VALU_DEP_3) | instskip(NEXT) | instid1(VALU_DEP_2)
	v_mul_lo_u32 v0, v0, 48
	v_fma_f32 v13, -v6, v12, v10
	s_delay_alu instid0(VALU_DEP_3) | instskip(NEXT) | instid1(VALU_DEP_2)
	v_fma_f32 v5, -v5, v11, v9
	v_fmac_f32_e32 v12, v13, v8
	s_delay_alu instid0(VALU_DEP_4)
	v_ashrrev_i32_e32 v1, 31, v0
	v_or_b32_e32 v0, v0, v154
	s_wait_alu 0xfffd
	v_div_fmas_f32 v5, v5, v7, v11
	v_fma_f32 v6, -v6, v12, v10
	s_mov_b32 vcc_lo, s3
	v_lshlrev_b64_e32 v[0:1], 3, v[0:1]
	s_delay_alu instid0(VALU_DEP_3) | instskip(SKIP_2) | instid1(VALU_DEP_1)
	v_div_fixup_f32 v2, v5, v3, v2
	s_wait_alu 0xfffe
	v_div_fmas_f32 v6, v6, v8, v12
	v_div_fixup_f32 v3, v6, v3, v4
	s_delay_alu instid0(VALU_DEP_4)
	v_add_co_u32 v4, vcc_lo, s72, v0
	s_wait_alu 0xfffd
	v_add_co_ci_u32_e64 v5, null, s73, v1, vcc_lo
	v_mov_b32_e32 v0, 0
	global_store_b64 v[4:5], v[2:3], off offset:256
.LBB14_430:                             ;   in Loop: Header=BB14_9 Depth=1
	s_wait_alu 0xfffe
	s_or_b32 exec_lo, exec_lo, s0
	s_mov_b32 s1, -1
	s_mov_b32 s0, exec_lo
	v_cmpx_gt_i32_e32 50, v0
; %bb.431:                              ;   in Loop: Header=BB14_9 Depth=1
	v_cmp_eq_u32_e32 vcc_lo, 0, v0
	s_or_not1_b32 s1, vcc_lo, exec_lo
; %bb.432:                              ;   in Loop: Header=BB14_9 Depth=1
	s_wait_alu 0xfffe
	s_or_b32 exec_lo, exec_lo, s0
                                        ; implicit-def: $vgpr1
	s_and_saveexec_b32 s0, s1
	s_cbranch_execz .LBB14_472
; %bb.433:                              ;   in Loop: Header=BB14_9 Depth=1
	v_mov_b32_e32 v0, 50
	s_and_saveexec_b32 s1, s41
	s_cbranch_execz .LBB14_435
; %bb.434:                              ;   in Loop: Header=BB14_9 Depth=1
	s_clause 0x1
	scratch_load_b32 v0, off, off offset:16
	scratch_load_b32 v1, off, off offset:496
	s_wait_loadcnt 0x1
	ds_load_b32 v0, v0 offset:128
	s_wait_loadcnt 0x0
	ds_load_b32 v3, v1 offset:196
	s_wait_dscnt 0x1
	v_lshrrev_b32_e32 v1, 16, v0
	v_cvt_f32_f16_e32 v0, v0
	s_delay_alu instid0(VALU_DEP_2) | instskip(NEXT) | instid1(VALU_DEP_2)
	v_cvt_f32_f16_e32 v1, v1
	v_add_f32_e32 v2, 0, v0
	s_wait_dscnt 0x0
	s_delay_alu instid0(VALU_DEP_1) | instskip(NEXT) | instid1(VALU_DEP_1)
	v_div_scale_f32 v5, null, v3, v3, v2
	v_rcp_f32_e32 v7, v5
	s_delay_alu instid0(TRANS32_DEP_1) | instskip(NEXT) | instid1(VALU_DEP_1)
	v_fma_f32 v0, -v5, v7, 1.0
	v_fmac_f32_e32 v7, v0, v7
	v_div_scale_f32 v9, vcc_lo, v2, v3, v2
	s_delay_alu instid0(VALU_DEP_1) | instskip(NEXT) | instid1(VALU_DEP_1)
	v_dual_add_f32 v4, 0, v1 :: v_dual_mul_f32 v11, v9, v7
	v_div_scale_f32 v6, null, v3, v3, v4
	v_div_scale_f32 v10, s3, v4, v3, v4
	s_delay_alu instid0(VALU_DEP_2) | instskip(NEXT) | instid1(TRANS32_DEP_1)
	v_rcp_f32_e32 v8, v6
	v_fma_f32 v1, -v6, v8, 1.0
	s_delay_alu instid0(VALU_DEP_1) | instskip(SKIP_2) | instid1(VALU_DEP_1)
	v_fmac_f32_e32 v8, v1, v8
	v_mad_co_u64_u32 v[0:1], null, v171, s25, v[202:203]
	v_fma_f32 v1, -v5, v11, v9
	v_dual_mul_f32 v12, v10, v8 :: v_dual_fmac_f32 v11, v1, v7
	s_delay_alu instid0(VALU_DEP_3) | instskip(NEXT) | instid1(VALU_DEP_2)
	v_mul_lo_u32 v0, v0, 48
	v_fma_f32 v13, -v6, v12, v10
	s_delay_alu instid0(VALU_DEP_3) | instskip(NEXT) | instid1(VALU_DEP_2)
	v_fma_f32 v5, -v5, v11, v9
	v_fmac_f32_e32 v12, v13, v8
	s_delay_alu instid0(VALU_DEP_4)
	v_ashrrev_i32_e32 v1, 31, v0
	v_or_b32_e32 v0, v0, v154
	s_wait_alu 0xfffd
	v_div_fmas_f32 v5, v5, v7, v11
	v_fma_f32 v6, -v6, v12, v10
	s_mov_b32 vcc_lo, s3
	v_lshlrev_b64_e32 v[0:1], 3, v[0:1]
	s_delay_alu instid0(VALU_DEP_3) | instskip(SKIP_2) | instid1(VALU_DEP_1)
	v_div_fixup_f32 v2, v5, v3, v2
	s_wait_alu 0xfffe
	v_div_fmas_f32 v6, v6, v8, v12
	v_div_fixup_f32 v3, v6, v3, v4
	s_delay_alu instid0(VALU_DEP_4)
	v_add_co_u32 v4, vcc_lo, s72, v0
	s_wait_alu 0xfffd
	v_add_co_ci_u32_e64 v5, null, s73, v1, vcc_lo
	v_mov_b32_e32 v0, 0
	global_store_b64 v[4:5], v[2:3], off offset:256
.LBB14_435:                             ;   in Loop: Header=BB14_9 Depth=1
	s_wait_alu 0xfffe
	s_or_b32 exec_lo, exec_lo, s1
	s_mov_b32 s4, -1
	s_mov_b32 s1, exec_lo
	v_cmpx_gt_i32_e32 50, v0
; %bb.436:                              ;   in Loop: Header=BB14_9 Depth=1
	v_cmp_eq_u32_e32 vcc_lo, 0, v0
	s_or_not1_b32 s4, vcc_lo, exec_lo
; %bb.437:                              ;   in Loop: Header=BB14_9 Depth=1
	s_wait_alu 0xfffe
	s_or_b32 exec_lo, exec_lo, s1
	s_mov_b32 s3, s39
                                        ; implicit-def: $vgpr1
	s_and_saveexec_b32 s1, s4
	s_cbranch_execz .LBB14_471
; %bb.438:                              ;   in Loop: Header=BB14_9 Depth=1
	v_mov_b32_e32 v0, 50
	s_and_saveexec_b32 s4, s40
	s_cbranch_execz .LBB14_440
; %bb.439:                              ;   in Loop: Header=BB14_9 Depth=1
	s_clause 0x1
	scratch_load_b32 v0, off, off offset:512
	scratch_load_b32 v1, off, off offset:508
	s_wait_loadcnt 0x1
	ds_load_b32 v0, v0 offset:128
	s_wait_loadcnt 0x0
	ds_load_b32 v3, v1 offset:196
	s_wait_dscnt 0x1
	v_lshrrev_b32_e32 v1, 16, v0
	v_cvt_f32_f16_e32 v0, v0
	s_delay_alu instid0(VALU_DEP_2) | instskip(NEXT) | instid1(VALU_DEP_2)
	v_cvt_f32_f16_e32 v1, v1
	v_add_f32_e32 v2, 0, v0
	s_wait_dscnt 0x0
	s_delay_alu instid0(VALU_DEP_1) | instskip(NEXT) | instid1(VALU_DEP_1)
	v_div_scale_f32 v5, null, v3, v3, v2
	v_rcp_f32_e32 v7, v5
	s_delay_alu instid0(TRANS32_DEP_1) | instskip(NEXT) | instid1(VALU_DEP_1)
	v_fma_f32 v0, -v5, v7, 1.0
	v_fmac_f32_e32 v7, v0, v7
	v_div_scale_f32 v9, vcc_lo, v2, v3, v2
	s_delay_alu instid0(VALU_DEP_1) | instskip(NEXT) | instid1(VALU_DEP_1)
	v_dual_add_f32 v4, 0, v1 :: v_dual_mul_f32 v11, v9, v7
	v_div_scale_f32 v6, null, v3, v3, v4
	v_div_scale_f32 v10, s3, v4, v3, v4
	s_delay_alu instid0(VALU_DEP_2) | instskip(NEXT) | instid1(TRANS32_DEP_1)
	v_rcp_f32_e32 v8, v6
	v_fma_f32 v1, -v6, v8, 1.0
	s_delay_alu instid0(VALU_DEP_1) | instskip(SKIP_2) | instid1(VALU_DEP_1)
	v_fmac_f32_e32 v8, v1, v8
	v_mad_co_u64_u32 v[0:1], null, v166, s25, v[202:203]
	v_fma_f32 v1, -v5, v11, v9
	v_dual_mul_f32 v12, v10, v8 :: v_dual_fmac_f32 v11, v1, v7
	s_delay_alu instid0(VALU_DEP_3) | instskip(NEXT) | instid1(VALU_DEP_2)
	v_mul_lo_u32 v0, v0, 48
	v_fma_f32 v13, -v6, v12, v10
	s_delay_alu instid0(VALU_DEP_3) | instskip(NEXT) | instid1(VALU_DEP_2)
	v_fma_f32 v5, -v5, v11, v9
	v_fmac_f32_e32 v12, v13, v8
	s_delay_alu instid0(VALU_DEP_4)
	v_ashrrev_i32_e32 v1, 31, v0
	v_or_b32_e32 v0, v0, v154
	s_wait_alu 0xfffd
	v_div_fmas_f32 v5, v5, v7, v11
	v_fma_f32 v6, -v6, v12, v10
	s_wait_alu 0xfffe
	s_mov_b32 vcc_lo, s3
	v_lshlrev_b64_e32 v[0:1], 3, v[0:1]
	v_div_fixup_f32 v2, v5, v3, v2
	s_wait_alu 0xfffe
	v_div_fmas_f32 v6, v6, v8, v12
	s_delay_alu instid0(VALU_DEP_1) | instskip(NEXT) | instid1(VALU_DEP_4)
	v_div_fixup_f32 v3, v6, v3, v4
	v_add_co_u32 v4, vcc_lo, s72, v0
	s_wait_alu 0xfffd
	v_add_co_ci_u32_e64 v5, null, s73, v1, vcc_lo
	v_mov_b32_e32 v0, 0
	global_store_b64 v[4:5], v[2:3], off offset:256
.LBB14_440:                             ;   in Loop: Header=BB14_9 Depth=1
	s_wait_alu 0xfffe
	s_or_b32 exec_lo, exec_lo, s4
	s_mov_b32 s5, -1
	s_mov_b32 s3, exec_lo
	v_cmpx_gt_i32_e32 50, v0
; %bb.441:                              ;   in Loop: Header=BB14_9 Depth=1
	v_cmp_eq_u32_e32 vcc_lo, 0, v0
	s_or_not1_b32 s5, vcc_lo, exec_lo
; %bb.442:                              ;   in Loop: Header=BB14_9 Depth=1
	s_wait_alu 0xfffe
	s_or_b32 exec_lo, exec_lo, s3
	s_mov_b32 s3, s39
                                        ; implicit-def: $vgpr1
	s_and_saveexec_b32 s4, s5
	s_cbranch_execz .LBB14_470
; %bb.443:                              ;   in Loop: Header=BB14_9 Depth=1
	v_mov_b32_e32 v0, 50
	s_and_saveexec_b32 s5, s94
	s_cbranch_execz .LBB14_445
; %bb.444:                              ;   in Loop: Header=BB14_9 Depth=1
	s_clause 0x1
	scratch_load_b32 v0, off, off offset:524
	scratch_load_b32 v1, off, off offset:520
	s_wait_loadcnt 0x1
	ds_load_b32 v0, v0 offset:128
	s_wait_loadcnt 0x0
	ds_load_b32 v3, v1 offset:196
	s_wait_dscnt 0x1
	v_lshrrev_b32_e32 v1, 16, v0
	v_cvt_f32_f16_e32 v0, v0
	s_delay_alu instid0(VALU_DEP_2) | instskip(NEXT) | instid1(VALU_DEP_2)
	v_cvt_f32_f16_e32 v1, v1
	v_add_f32_e32 v2, 0, v0
	s_wait_dscnt 0x0
	s_delay_alu instid0(VALU_DEP_1) | instskip(NEXT) | instid1(VALU_DEP_1)
	v_div_scale_f32 v5, null, v3, v3, v2
	v_rcp_f32_e32 v7, v5
	s_delay_alu instid0(TRANS32_DEP_1) | instskip(NEXT) | instid1(VALU_DEP_1)
	v_fma_f32 v0, -v5, v7, 1.0
	v_fmac_f32_e32 v7, v0, v7
	v_div_scale_f32 v9, vcc_lo, v2, v3, v2
	s_delay_alu instid0(VALU_DEP_1) | instskip(NEXT) | instid1(VALU_DEP_1)
	v_dual_add_f32 v4, 0, v1 :: v_dual_mul_f32 v11, v9, v7
	v_div_scale_f32 v6, null, v3, v3, v4
	v_div_scale_f32 v10, s3, v4, v3, v4
	s_delay_alu instid0(VALU_DEP_2) | instskip(NEXT) | instid1(TRANS32_DEP_1)
	v_rcp_f32_e32 v8, v6
	v_fma_f32 v1, -v6, v8, 1.0
	s_delay_alu instid0(VALU_DEP_1) | instskip(SKIP_2) | instid1(VALU_DEP_1)
	v_fmac_f32_e32 v8, v1, v8
	v_mad_co_u64_u32 v[0:1], null, v165, s25, v[202:203]
	v_fma_f32 v1, -v5, v11, v9
	v_dual_mul_f32 v12, v10, v8 :: v_dual_fmac_f32 v11, v1, v7
	s_delay_alu instid0(VALU_DEP_3) | instskip(NEXT) | instid1(VALU_DEP_2)
	v_mul_lo_u32 v0, v0, 48
	v_fma_f32 v13, -v6, v12, v10
	s_delay_alu instid0(VALU_DEP_3) | instskip(NEXT) | instid1(VALU_DEP_2)
	v_fma_f32 v5, -v5, v11, v9
	v_fmac_f32_e32 v12, v13, v8
	s_delay_alu instid0(VALU_DEP_4)
	v_ashrrev_i32_e32 v1, 31, v0
	v_or_b32_e32 v0, v0, v154
	s_wait_alu 0xfffd
	v_div_fmas_f32 v5, v5, v7, v11
	v_fma_f32 v6, -v6, v12, v10
	s_wait_alu 0xfffe
	s_mov_b32 vcc_lo, s3
	v_lshlrev_b64_e32 v[0:1], 3, v[0:1]
	v_div_fixup_f32 v2, v5, v3, v2
	s_wait_alu 0xfffe
	v_div_fmas_f32 v6, v6, v8, v12
	s_delay_alu instid0(VALU_DEP_1) | instskip(NEXT) | instid1(VALU_DEP_4)
	v_div_fixup_f32 v3, v6, v3, v4
	v_add_co_u32 v4, vcc_lo, s72, v0
	s_wait_alu 0xfffd
	v_add_co_ci_u32_e64 v5, null, s73, v1, vcc_lo
	v_mov_b32_e32 v0, 0
	global_store_b64 v[4:5], v[2:3], off offset:256
.LBB14_445:                             ;   in Loop: Header=BB14_9 Depth=1
	s_wait_alu 0xfffe
	s_or_b32 exec_lo, exec_lo, s5
	s_mov_b32 s30, -1
	s_mov_b32 s3, exec_lo
	v_cmpx_gt_i32_e32 50, v0
; %bb.446:                              ;   in Loop: Header=BB14_9 Depth=1
	v_cmp_eq_u32_e32 vcc_lo, 0, v0
	s_or_not1_b32 s30, vcc_lo, exec_lo
; %bb.447:                              ;   in Loop: Header=BB14_9 Depth=1
	s_wait_alu 0xfffe
	s_or_b32 exec_lo, exec_lo, s3
	s_mov_b32 s3, s39
                                        ; implicit-def: $vgpr1
	s_and_saveexec_b32 s5, s30
	s_cbranch_execz .LBB14_469
; %bb.448:                              ;   in Loop: Header=BB14_9 Depth=1
	v_mov_b32_e32 v0, 50
	s_and_saveexec_b32 s30, s93
	s_cbranch_execz .LBB14_450
; %bb.449:                              ;   in Loop: Header=BB14_9 Depth=1
	s_clause 0x1
	scratch_load_b32 v0, off, off offset:548
	scratch_load_b32 v1, off, off offset:544
	s_wait_loadcnt 0x1
	ds_load_b32 v0, v0 offset:128
	s_wait_loadcnt 0x0
	ds_load_b32 v3, v1 offset:196
	s_wait_dscnt 0x1
	v_lshrrev_b32_e32 v1, 16, v0
	v_cvt_f32_f16_e32 v0, v0
	s_delay_alu instid0(VALU_DEP_2) | instskip(NEXT) | instid1(VALU_DEP_2)
	v_cvt_f32_f16_e32 v1, v1
	v_add_f32_e32 v2, 0, v0
	s_wait_dscnt 0x0
	s_delay_alu instid0(VALU_DEP_1) | instskip(NEXT) | instid1(VALU_DEP_1)
	v_div_scale_f32 v5, null, v3, v3, v2
	v_rcp_f32_e32 v7, v5
	s_delay_alu instid0(TRANS32_DEP_1) | instskip(NEXT) | instid1(VALU_DEP_1)
	v_fma_f32 v0, -v5, v7, 1.0
	v_fmac_f32_e32 v7, v0, v7
	v_div_scale_f32 v9, vcc_lo, v2, v3, v2
	s_delay_alu instid0(VALU_DEP_1) | instskip(NEXT) | instid1(VALU_DEP_1)
	v_dual_add_f32 v4, 0, v1 :: v_dual_mul_f32 v11, v9, v7
	v_div_scale_f32 v6, null, v3, v3, v4
	v_div_scale_f32 v10, s3, v4, v3, v4
	s_delay_alu instid0(VALU_DEP_2) | instskip(NEXT) | instid1(TRANS32_DEP_1)
	v_rcp_f32_e32 v8, v6
	v_fma_f32 v1, -v6, v8, 1.0
	s_delay_alu instid0(VALU_DEP_1) | instskip(SKIP_2) | instid1(VALU_DEP_1)
	v_fmac_f32_e32 v8, v1, v8
	v_mad_co_u64_u32 v[0:1], null, v164, s25, v[202:203]
	v_fma_f32 v1, -v5, v11, v9
	v_dual_mul_f32 v12, v10, v8 :: v_dual_fmac_f32 v11, v1, v7
	s_delay_alu instid0(VALU_DEP_3) | instskip(NEXT) | instid1(VALU_DEP_2)
	v_mul_lo_u32 v0, v0, 48
	v_fma_f32 v13, -v6, v12, v10
	s_delay_alu instid0(VALU_DEP_3) | instskip(NEXT) | instid1(VALU_DEP_2)
	v_fma_f32 v5, -v5, v11, v9
	v_fmac_f32_e32 v12, v13, v8
	s_delay_alu instid0(VALU_DEP_4)
	v_ashrrev_i32_e32 v1, 31, v0
	v_or_b32_e32 v0, v0, v154
	s_wait_alu 0xfffd
	v_div_fmas_f32 v5, v5, v7, v11
	v_fma_f32 v6, -v6, v12, v10
	s_wait_alu 0xfffe
	s_mov_b32 vcc_lo, s3
	v_lshlrev_b64_e32 v[0:1], 3, v[0:1]
	v_div_fixup_f32 v2, v5, v3, v2
	s_wait_alu 0xfffe
	v_div_fmas_f32 v6, v6, v8, v12
	s_delay_alu instid0(VALU_DEP_1) | instskip(NEXT) | instid1(VALU_DEP_4)
	v_div_fixup_f32 v3, v6, v3, v4
	v_add_co_u32 v4, vcc_lo, s72, v0
	s_wait_alu 0xfffd
	v_add_co_ci_u32_e64 v5, null, s73, v1, vcc_lo
	v_mov_b32_e32 v0, 0
	global_store_b64 v[4:5], v[2:3], off offset:256
.LBB14_450:                             ;   in Loop: Header=BB14_9 Depth=1
	s_wait_alu 0xfffe
	s_or_b32 exec_lo, exec_lo, s30
	s_mov_b32 s40, -1
	s_mov_b32 s3, exec_lo
	v_cmpx_gt_i32_e32 50, v0
; %bb.451:                              ;   in Loop: Header=BB14_9 Depth=1
	v_cmp_eq_u32_e32 vcc_lo, 0, v0
	s_or_not1_b32 s40, vcc_lo, exec_lo
; %bb.452:                              ;   in Loop: Header=BB14_9 Depth=1
	s_wait_alu 0xfffe
	s_or_b32 exec_lo, exec_lo, s3
	s_mov_b32 s3, s39
                                        ; implicit-def: $vgpr1
	s_and_saveexec_b32 s30, s40
	s_cbranch_execz .LBB14_468
; %bb.453:                              ;   in Loop: Header=BB14_9 Depth=1
	v_mov_b32_e32 v0, 50
	s_and_saveexec_b32 s40, s92
	s_cbranch_execz .LBB14_455
; %bb.454:                              ;   in Loop: Header=BB14_9 Depth=1
	s_clause 0x1
	scratch_load_b32 v0, off, off offset:556
	scratch_load_b32 v1, off, off offset:552
	s_wait_loadcnt 0x1
	ds_load_b32 v0, v0 offset:128
	s_wait_loadcnt 0x0
	ds_load_b32 v3, v1 offset:196
	s_wait_dscnt 0x1
	v_lshrrev_b32_e32 v1, 16, v0
	v_cvt_f32_f16_e32 v0, v0
	s_delay_alu instid0(VALU_DEP_2) | instskip(NEXT) | instid1(VALU_DEP_2)
	v_cvt_f32_f16_e32 v1, v1
	v_add_f32_e32 v2, 0, v0
	s_wait_dscnt 0x0
	s_delay_alu instid0(VALU_DEP_1) | instskip(NEXT) | instid1(VALU_DEP_1)
	v_div_scale_f32 v5, null, v3, v3, v2
	v_rcp_f32_e32 v7, v5
	s_delay_alu instid0(TRANS32_DEP_1) | instskip(NEXT) | instid1(VALU_DEP_1)
	v_fma_f32 v0, -v5, v7, 1.0
	v_fmac_f32_e32 v7, v0, v7
	v_div_scale_f32 v9, vcc_lo, v2, v3, v2
	s_delay_alu instid0(VALU_DEP_1) | instskip(NEXT) | instid1(VALU_DEP_1)
	v_dual_add_f32 v4, 0, v1 :: v_dual_mul_f32 v11, v9, v7
	v_div_scale_f32 v6, null, v3, v3, v4
	v_div_scale_f32 v10, s3, v4, v3, v4
	s_delay_alu instid0(VALU_DEP_2) | instskip(NEXT) | instid1(TRANS32_DEP_1)
	v_rcp_f32_e32 v8, v6
	v_fma_f32 v1, -v6, v8, 1.0
	s_delay_alu instid0(VALU_DEP_1) | instskip(SKIP_2) | instid1(VALU_DEP_1)
	v_fmac_f32_e32 v8, v1, v8
	v_mad_co_u64_u32 v[0:1], null, v158, s25, v[202:203]
	v_fma_f32 v1, -v5, v11, v9
	v_dual_mul_f32 v12, v10, v8 :: v_dual_fmac_f32 v11, v1, v7
	s_delay_alu instid0(VALU_DEP_3) | instskip(NEXT) | instid1(VALU_DEP_2)
	v_mul_lo_u32 v0, v0, 48
	v_fma_f32 v13, -v6, v12, v10
	s_delay_alu instid0(VALU_DEP_3) | instskip(NEXT) | instid1(VALU_DEP_2)
	v_fma_f32 v5, -v5, v11, v9
	v_fmac_f32_e32 v12, v13, v8
	s_delay_alu instid0(VALU_DEP_4)
	v_ashrrev_i32_e32 v1, 31, v0
	v_or_b32_e32 v0, v0, v154
	s_wait_alu 0xfffd
	v_div_fmas_f32 v5, v5, v7, v11
	v_fma_f32 v6, -v6, v12, v10
	s_wait_alu 0xfffe
	s_mov_b32 vcc_lo, s3
	v_lshlrev_b64_e32 v[0:1], 3, v[0:1]
	v_div_fixup_f32 v2, v5, v3, v2
	s_wait_alu 0xfffe
	v_div_fmas_f32 v6, v6, v8, v12
	s_delay_alu instid0(VALU_DEP_1) | instskip(NEXT) | instid1(VALU_DEP_4)
	v_div_fixup_f32 v3, v6, v3, v4
	v_add_co_u32 v4, vcc_lo, s72, v0
	s_wait_alu 0xfffd
	v_add_co_ci_u32_e64 v5, null, s73, v1, vcc_lo
	v_mov_b32_e32 v0, 0
	global_store_b64 v[4:5], v[2:3], off offset:256
.LBB14_455:                             ;   in Loop: Header=BB14_9 Depth=1
	s_wait_alu 0xfffe
	s_or_b32 exec_lo, exec_lo, s40
	s_mov_b32 s41, -1
	s_mov_b32 s3, exec_lo
	v_cmpx_gt_i32_e32 50, v0
; %bb.456:                              ;   in Loop: Header=BB14_9 Depth=1
	v_cmp_eq_u32_e32 vcc_lo, 0, v0
	s_or_not1_b32 s41, vcc_lo, exec_lo
; %bb.457:                              ;   in Loop: Header=BB14_9 Depth=1
	s_wait_alu 0xfffe
	s_or_b32 exec_lo, exec_lo, s3
	s_mov_b32 s3, s39
                                        ; implicit-def: $vgpr1
	s_and_saveexec_b32 s40, s41
	s_cbranch_execz .LBB14_467
; %bb.458:                              ;   in Loop: Header=BB14_9 Depth=1
	v_mov_b32_e32 v0, 50
	s_and_saveexec_b32 s41, s67
	s_cbranch_execz .LBB14_460
; %bb.459:                              ;   in Loop: Header=BB14_9 Depth=1
	s_clause 0x1
	scratch_load_b32 v0, off, off offset:572
	scratch_load_b32 v1, off, off offset:568
	s_wait_loadcnt 0x1
	ds_load_b32 v0, v0 offset:128
	s_wait_loadcnt 0x0
	ds_load_b32 v3, v1 offset:196
	s_wait_dscnt 0x1
	v_lshrrev_b32_e32 v1, 16, v0
	v_cvt_f32_f16_e32 v0, v0
	s_delay_alu instid0(VALU_DEP_2) | instskip(NEXT) | instid1(VALU_DEP_2)
	v_cvt_f32_f16_e32 v1, v1
	v_add_f32_e32 v2, 0, v0
	s_wait_dscnt 0x0
	s_delay_alu instid0(VALU_DEP_1) | instskip(NEXT) | instid1(VALU_DEP_1)
	v_div_scale_f32 v5, null, v3, v3, v2
	v_rcp_f32_e32 v7, v5
	s_delay_alu instid0(TRANS32_DEP_1) | instskip(NEXT) | instid1(VALU_DEP_1)
	v_fma_f32 v0, -v5, v7, 1.0
	v_fmac_f32_e32 v7, v0, v7
	v_div_scale_f32 v9, vcc_lo, v2, v3, v2
	s_delay_alu instid0(VALU_DEP_1) | instskip(NEXT) | instid1(VALU_DEP_1)
	v_dual_add_f32 v4, 0, v1 :: v_dual_mul_f32 v11, v9, v7
	v_div_scale_f32 v6, null, v3, v3, v4
	v_div_scale_f32 v10, s3, v4, v3, v4
	s_delay_alu instid0(VALU_DEP_2) | instskip(NEXT) | instid1(TRANS32_DEP_1)
	v_rcp_f32_e32 v8, v6
	v_fma_f32 v1, -v6, v8, 1.0
	s_delay_alu instid0(VALU_DEP_1) | instskip(SKIP_2) | instid1(VALU_DEP_1)
	v_fmac_f32_e32 v8, v1, v8
	v_mad_co_u64_u32 v[0:1], null, v138, s25, v[202:203]
	v_fma_f32 v1, -v5, v11, v9
	v_dual_mul_f32 v12, v10, v8 :: v_dual_fmac_f32 v11, v1, v7
	s_delay_alu instid0(VALU_DEP_3) | instskip(NEXT) | instid1(VALU_DEP_2)
	v_mul_lo_u32 v0, v0, 48
	v_fma_f32 v13, -v6, v12, v10
	s_delay_alu instid0(VALU_DEP_3) | instskip(NEXT) | instid1(VALU_DEP_2)
	v_fma_f32 v5, -v5, v11, v9
	v_fmac_f32_e32 v12, v13, v8
	s_delay_alu instid0(VALU_DEP_4)
	v_ashrrev_i32_e32 v1, 31, v0
	v_or_b32_e32 v0, v0, v154
	s_wait_alu 0xfffd
	v_div_fmas_f32 v5, v5, v7, v11
	v_fma_f32 v6, -v6, v12, v10
	s_wait_alu 0xfffe
	s_mov_b32 vcc_lo, s3
	v_lshlrev_b64_e32 v[0:1], 3, v[0:1]
	v_div_fixup_f32 v2, v5, v3, v2
	s_wait_alu 0xfffe
	v_div_fmas_f32 v6, v6, v8, v12
	s_delay_alu instid0(VALU_DEP_1) | instskip(NEXT) | instid1(VALU_DEP_4)
	v_div_fixup_f32 v3, v6, v3, v4
	v_add_co_u32 v4, vcc_lo, s72, v0
	s_wait_alu 0xfffd
	v_add_co_ci_u32_e64 v5, null, s73, v1, vcc_lo
	v_mov_b32_e32 v0, 0
	global_store_b64 v[4:5], v[2:3], off offset:256
.LBB14_460:                             ;   in Loop: Header=BB14_9 Depth=1
	s_wait_alu 0xfffe
	s_or_b32 exec_lo, exec_lo, s41
	s_mov_b32 s42, -1
	s_mov_b32 s3, exec_lo
	v_cmpx_gt_i32_e32 50, v0
; %bb.461:                              ;   in Loop: Header=BB14_9 Depth=1
	v_cmp_eq_u32_e32 vcc_lo, 0, v0
	s_or_not1_b32 s42, vcc_lo, exec_lo
; %bb.462:                              ;   in Loop: Header=BB14_9 Depth=1
	s_wait_alu 0xfffe
	s_or_b32 exec_lo, exec_lo, s3
	s_mov_b32 s3, s39
                                        ; implicit-def: $vgpr1
	s_and_saveexec_b32 s41, s42
	s_cbranch_execz .LBB14_466
; %bb.463:                              ;   in Loop: Header=BB14_9 Depth=1
	s_mov_b32 s3, s39
                                        ; implicit-def: $vgpr1
	s_and_saveexec_b32 s42, s6
	s_cbranch_execz .LBB14_465
; %bb.464:                              ;   in Loop: Header=BB14_9 Depth=1
	s_clause 0x1
	scratch_load_b32 v0, off, off offset:584
	scratch_load_b32 v1, off, off offset:580
	s_wait_loadcnt 0x1
	ds_load_b32 v0, v0 offset:128
	s_wait_loadcnt 0x0
	ds_load_b32 v1, v1 offset:196
	s_wait_dscnt 0x1
	v_lshrrev_b32_e32 v2, 16, v0
	v_cvt_f32_f16_e32 v0, v0
	s_delay_alu instid0(VALU_DEP_2) | instskip(NEXT) | instid1(VALU_DEP_2)
	v_cvt_f32_f16_e32 v2, v2
	v_add_f32_e32 v0, 0, v0
	s_delay_alu instid0(VALU_DEP_2) | instskip(SKIP_1) | instid1(VALU_DEP_2)
	v_add_f32_e32 v2, 0, v2
	s_wait_dscnt 0x0
	v_div_scale_f32 v3, null, v1, v1, v0
	s_delay_alu instid0(VALU_DEP_2) | instskip(NEXT) | instid1(VALU_DEP_2)
	v_div_scale_f32 v4, null, v1, v1, v2
	v_rcp_f32_e32 v5, v3
	s_delay_alu instid0(VALU_DEP_1) | instskip(NEXT) | instid1(TRANS32_DEP_2)
	v_rcp_f32_e32 v6, v4
	v_fma_f32 v7, -v3, v5, 1.0
	s_delay_alu instid0(TRANS32_DEP_1) | instskip(NEXT) | instid1(VALU_DEP_2)
	v_fma_f32 v8, -v4, v6, 1.0
	v_fmac_f32_e32 v5, v7, v5
	v_div_scale_f32 v9, vcc_lo, v0, v1, v0
	v_div_scale_f32 v7, s3, v2, v1, v2
	s_delay_alu instid0(VALU_DEP_4) | instskip(NEXT) | instid1(VALU_DEP_3)
	v_fmac_f32_e32 v6, v8, v6
	v_mul_f32_e32 v8, v9, v5
	s_delay_alu instid0(VALU_DEP_2) | instskip(NEXT) | instid1(VALU_DEP_2)
	v_mul_f32_e32 v10, v7, v6
	v_fma_f32 v11, -v3, v8, v9
	s_delay_alu instid0(VALU_DEP_2) | instskip(NEXT) | instid1(VALU_DEP_2)
	v_fma_f32 v12, -v4, v10, v7
	v_fmac_f32_e32 v8, v11, v5
	s_delay_alu instid0(VALU_DEP_2) | instskip(NEXT) | instid1(VALU_DEP_2)
	v_fmac_f32_e32 v10, v12, v6
	v_fma_f32 v3, -v3, v8, v9
	s_delay_alu instid0(VALU_DEP_2) | instskip(SKIP_1) | instid1(VALU_DEP_2)
	v_fma_f32 v4, -v4, v10, v7
	s_wait_alu 0xfffd
	v_div_fmas_f32 v3, v3, v5, v8
	s_wait_alu 0xfffe
	s_mov_b32 vcc_lo, s3
	s_or_b32 s3, s39, exec_lo
	s_wait_alu 0xfffe
	v_div_fmas_f32 v4, v4, v6, v10
	v_div_fixup_f32 v0, v3, v1, v0
	s_delay_alu instid0(VALU_DEP_2)
	v_div_fixup_f32 v1, v4, v1, v2
.LBB14_465:                             ;   in Loop: Header=BB14_9 Depth=1
	s_wait_alu 0xfffe
	s_or_b32 exec_lo, exec_lo, s42
	s_delay_alu instid0(SALU_CYCLE_1)
	s_and_not1_b32 s6, s39, exec_lo
	s_and_b32 s3, s3, exec_lo
	s_wait_alu 0xfffe
	s_or_b32 s3, s6, s3
.LBB14_466:                             ;   in Loop: Header=BB14_9 Depth=1
	s_wait_alu 0xfffe
	s_or_b32 exec_lo, exec_lo, s41
	s_delay_alu instid0(SALU_CYCLE_1)
	s_and_not1_b32 s6, s39, exec_lo
	s_and_b32 s3, s3, exec_lo
	s_wait_alu 0xfffe
	s_or_b32 s3, s6, s3
.LBB14_467:                             ;   in Loop: Header=BB14_9 Depth=1
	s_wait_alu 0xfffe
	s_or_b32 exec_lo, exec_lo, s40
	s_delay_alu instid0(SALU_CYCLE_1)
	s_and_not1_b32 s6, s39, exec_lo
	s_and_b32 s3, s3, exec_lo
	s_wait_alu 0xfffe
	s_or_b32 s3, s6, s3
.LBB14_468:                             ;   in Loop: Header=BB14_9 Depth=1
	s_wait_alu 0xfffe
	s_or_b32 exec_lo, exec_lo, s30
	s_delay_alu instid0(SALU_CYCLE_1)
	s_and_not1_b32 s6, s39, exec_lo
	s_and_b32 s3, s3, exec_lo
	s_wait_alu 0xfffe
	s_or_b32 s3, s6, s3
.LBB14_469:                             ;   in Loop: Header=BB14_9 Depth=1
	s_wait_alu 0xfffe
	s_or_b32 exec_lo, exec_lo, s5
	s_delay_alu instid0(SALU_CYCLE_1)
	s_and_not1_b32 s5, s39, exec_lo
	s_and_b32 s3, s3, exec_lo
	s_wait_alu 0xfffe
	s_or_b32 s3, s5, s3
.LBB14_470:                             ;   in Loop: Header=BB14_9 Depth=1
	s_wait_alu 0xfffe
	s_or_b32 exec_lo, exec_lo, s4
	s_delay_alu instid0(SALU_CYCLE_1)
	s_and_not1_b32 s4, s39, exec_lo
	s_and_b32 s3, s3, exec_lo
	s_wait_alu 0xfffe
	s_or_b32 s3, s4, s3
.LBB14_471:                             ;   in Loop: Header=BB14_9 Depth=1
	s_wait_alu 0xfffe
	s_or_b32 exec_lo, exec_lo, s1
	s_delay_alu instid0(SALU_CYCLE_1)
	s_and_not1_b32 s1, s39, exec_lo
	s_and_b32 s3, s3, exec_lo
	s_wait_alu 0xfffe
	s_or_b32 s39, s1, s3
.LBB14_472:                             ;   in Loop: Header=BB14_9 Depth=1
	s_wait_alu 0xfffe
	s_or_b32 exec_lo, exec_lo, s0
.LBB14_473:                             ;   in Loop: Header=BB14_9 Depth=1
	s_wait_alu 0xfffe
	s_and_saveexec_b32 s0, s39
	s_cbranch_execz .LBB14_8
; %bb.474:                              ;   in Loop: Header=BB14_9 Depth=1
	v_mad_co_u64_u32 v[2:3], null, v235, s25, v[202:203]
	s_delay_alu instid0(VALU_DEP_1) | instskip(NEXT) | instid1(VALU_DEP_1)
	v_mul_lo_u32 v2, v2, 48
	v_ashrrev_i32_e32 v3, 31, v2
	v_or_b32_e32 v2, v2, v154
	s_delay_alu instid0(VALU_DEP_1) | instskip(NEXT) | instid1(VALU_DEP_1)
	v_lshlrev_b64_e32 v[2:3], 3, v[2:3]
	v_add_co_u32 v2, vcc_lo, s72, v2
	s_wait_alu 0xfffd
	s_delay_alu instid0(VALU_DEP_2)
	v_add_co_ci_u32_e64 v3, null, s73, v3, vcc_lo
	global_store_b64 v[2:3], v[0:1], off offset:256
	s_branch .LBB14_8
.LBB14_475:                             ;   in Loop: Header=BB14_9 Depth=1
                                        ; implicit-def: $vgpr39
                                        ; implicit-def: $vgpr40
                                        ; implicit-def: $vgpr41
                                        ; implicit-def: $vgpr42
                                        ; implicit-def: $vgpr48
                                        ; implicit-def: $vgpr49
                                        ; implicit-def: $vgpr50
                                        ; implicit-def: $vgpr51
                                        ; implicit-def: $vgpr44
                                        ; implicit-def: $vgpr45
                                        ; implicit-def: $vgpr46
                                        ; implicit-def: $vgpr47
                                        ; implicit-def: $vgpr37
                                        ; implicit-def: $vgpr24_vgpr25_vgpr26_vgpr27
                                        ; implicit-def: $vgpr32_vgpr33_vgpr34_vgpr35
                                        ; implicit-def: $vgpr28_vgpr29_vgpr30_vgpr31
	s_branch .LBB14_118
.LBB14_476:                             ;   in Loop: Header=BB14_9 Depth=1
                                        ; implicit-def: $vgpr38
                                        ; implicit-def: $vgpr39
                                        ; implicit-def: $vgpr40
                                        ; implicit-def: $vgpr41
                                        ; implicit-def: $vgpr47
                                        ; implicit-def: $vgpr48
                                        ; implicit-def: $vgpr49
                                        ; implicit-def: $vgpr50
                                        ; implicit-def: $vgpr42
                                        ; implicit-def: $vgpr44
                                        ; implicit-def: $vgpr45
                                        ; implicit-def: $vgpr46
                                        ; implicit-def: $vgpr51
                                        ; implicit-def: $vgpr37
                                        ; implicit-def: $vgpr24_vgpr25_vgpr26_vgpr27
                                        ; implicit-def: $vgpr32_vgpr33_vgpr34_vgpr35
                                        ; implicit-def: $vgpr28_vgpr29_vgpr30_vgpr31
	s_branch .LBB14_348
.LBB14_477:
	s_and_not1_b32 vcc_lo, exec_lo, s0
	v_readlane_b32 s0, v255, 11
	s_add_nc_u64 s[4:5], s[64:65], 0xd0
	v_readlane_b32 s1, v255, 12
	s_wait_alu 0xfffe
	s_cbranch_vccnz .LBB14_589
; %bb.478:
	s_mov_b32 s30, s0
	s_abs_i32 s0, s97
	s_abs_i32 s3, s48
	s_wait_alu 0xfffe
	s_cvt_f32_u32 s1, s0
	s_sub_co_i32 s2, 0, s0
	s_wait_alu 0xfffe
	s_delay_alu instid0(SALU_CYCLE_1) | instskip(NEXT) | instid1(TRANS32_DEP_1)
	v_rcp_iflag_f32_e32 v0, s1
	v_readfirstlane_b32 s1, v0
	s_mul_f32 s1, s1, 0x4f7ffffe
	s_wait_alu 0xfffe
	s_delay_alu instid0(SALU_CYCLE_2) | instskip(SKIP_1) | instid1(SALU_CYCLE_2)
	s_cvt_u32_f32 s1, s1
	s_wait_alu 0xfffe
	s_mul_i32 s2, s2, s1
	s_wait_alu 0xfffe
	s_mul_hi_u32 s2, s1, s2
	s_wait_alu 0xfffe
	s_add_co_i32 s1, s1, s2
	s_xor_b32 s2, s48, s97
	s_wait_alu 0xfffe
	s_mul_hi_u32 s1, s3, s1
	s_ashr_i32 s2, s2, 31
	s_wait_alu 0xfffe
	s_mul_i32 s6, s1, s0
	s_wait_alu 0xfffe
	s_sub_co_i32 s3, s3, s6
	s_add_co_i32 s6, s1, 1
	s_wait_alu 0xfffe
	s_sub_co_i32 s16, s3, s0
	s_cmp_ge_u32 s3, s0
	s_cselect_b32 s1, s6, s1
	s_cselect_b32 s3, s16, s3
	s_wait_alu 0xfffe
	s_add_co_i32 s6, s1, 1
	s_cmp_ge_u32 s3, s0
	s_wait_alu 0xfffe
	s_cselect_b32 s0, s6, s1
	s_abs_i32 s1, s96
	s_wait_alu 0xfffe
	s_xor_b32 s0, s0, s2
	s_cvt_f32_u32 s3, s1
	s_wait_alu 0xfffe
	s_sub_co_i32 s2, s0, s2
	s_sub_co_i32 s0, 0, s1
	s_wait_alu 0xfffe
	s_mul_i32 s6, s2, s97
	v_rcp_iflag_f32_e32 v0, s3
	s_wait_alu 0xfffe
	s_sub_co_i32 s6, s48, s6
	s_wait_alu 0xfffe
	s_abs_i32 s16, s6
	s_delay_alu instid0(TRANS32_DEP_1) | instskip(SKIP_2) | instid1(SALU_CYCLE_2)
	v_readfirstlane_b32 s3, v0
	s_mul_f32 s3, s3, 0x4f7ffffe
	s_wait_alu 0xfffe
	s_cvt_u32_f32 s3, s3
	s_wait_alu 0xfffe
	s_delay_alu instid0(SALU_CYCLE_2)
	s_mul_i32 s0, s0, s3
	s_wait_alu 0xfffe
	s_mul_hi_u32 s0, s3, s0
	s_wait_alu 0xfffe
	s_add_co_i32 s3, s3, s0
	s_wait_alu 0xfffe
	s_mul_hi_u32 s0, s16, s3
	s_xor_b32 s3, s6, s96
	s_wait_alu 0xfffe
	s_mul_i32 s17, s0, s1
	s_ashr_i32 s3, s3, 31
	s_sub_co_i32 s16, s16, s17
	s_add_co_i32 s17, s0, 1
	s_sub_co_i32 s20, s16, s1
	s_cmp_ge_u32 s16, s1
	s_cselect_b32 s0, s17, s0
	s_cselect_b32 s16, s20, s16
	s_wait_alu 0xfffe
	s_add_co_i32 s17, s0, 1
	s_cmp_ge_u32 s16, s1
	s_cselect_b32 s0, s17, s0
	s_abs_i32 s1, s95
	s_wait_alu 0xfffe
	s_xor_b32 s0, s0, s3
	s_cvt_f32_u32 s16, s1
	s_wait_alu 0xfffe
	s_sub_co_i32 s20, s0, s3
	s_sub_co_i32 s0, 0, s1
	s_mul_i32 s3, s20, s96
	v_rcp_iflag_f32_e32 v0, s16
	s_wait_alu 0xfffe
	s_sub_co_i32 s3, s6, s3
	s_wait_alu 0xfffe
	s_abs_i32 s6, s3
	s_delay_alu instid0(TRANS32_DEP_1) | instskip(SKIP_2) | instid1(SALU_CYCLE_2)
	v_readfirstlane_b32 s16, v0
	s_mul_f32 s16, s16, 0x4f7ffffe
	s_wait_alu 0xfffe
	s_cvt_u32_f32 s16, s16
	s_wait_alu 0xfffe
	s_delay_alu instid0(SALU_CYCLE_2)
	s_mul_i32 s0, s0, s16
	s_wait_alu 0xfffe
	s_mul_hi_u32 s0, s16, s0
	s_wait_alu 0xfffe
	s_add_co_i32 s16, s16, s0
	s_wait_alu 0xfffe
	s_mul_hi_u32 s0, s6, s16
	s_xor_b32 s16, s3, s95
	s_wait_alu 0xfffe
	s_mul_i32 s17, s0, s1
	s_ashr_i32 s16, s16, 31
	s_wait_alu 0xfffe
	s_sub_co_i32 s6, s6, s17
	s_add_co_i32 s17, s0, 1
	s_wait_alu 0xfffe
	s_sub_co_i32 s21, s6, s1
	s_cmp_ge_u32 s6, s1
	s_cselect_b32 s0, s17, s0
	s_cselect_b32 s6, s21, s6
	s_wait_alu 0xfffe
	s_add_co_i32 s17, s0, 1
	s_cmp_ge_u32 s6, s1
	v_readlane_b32 s6, v255, 7
	s_wait_alu 0xfffe
	s_cselect_b32 s0, s17, s0
	s_mov_b32 s17, 0
	s_wait_alu 0xfffe
	s_xor_b32 s0, s0, s16
	s_wait_alu 0xfffe
	s_sub_co_i32 s0, s0, s16
	s_wait_alu 0xfffe
	s_mul_i32 s1, s0, s95
	s_wait_alu 0xfffe
	s_sub_co_i32 s1, s3, s1
	s_wait_alu 0xfffe
	s_abs_i32 s16, s1
	s_ashr_i32 s1, s1, 31
	s_wait_alu 0xfffe
	s_mul_u64 s[40:41], s[16:17], s[52:53]
	s_xor_b32 s1, s1, s6
	s_wait_alu 0xfffe
	s_mul_i32 s3, s41, s55
	s_add_co_i32 s6, s41, 1
	s_wait_alu 0xfffe
	s_sub_co_i32 s3, s16, s3
	s_wait_alu 0xfffe
	s_sub_co_i32 s16, s3, s55
	s_cmp_ge_u32 s3, s55
	s_cselect_b32 s6, s6, s41
	s_wait_alu 0xfffe
	s_cselect_b32 s3, s16, s3
	s_add_co_i32 s16, s6, 1
	s_wait_alu 0xfffe
	s_cmp_ge_u32 s3, s55
	s_cselect_b32 s3, s16, s6
	s_abs_i32 s21, s30
	s_delay_alu instid0(SALU_CYCLE_1) | instskip(SKIP_1) | instid1(SALU_CYCLE_2)
	s_cvt_f32_u32 s6, s21
	s_wait_alu 0xfffe
	v_rcp_iflag_f32_e32 v0, s6
	s_xor_b32 s6, s3, s1
	s_wait_alu 0xfffe
	s_sub_co_i32 s1, s6, s1
	s_cmp_eq_u64 s[18:19], 0
	s_delay_alu instid0(TRANS32_DEP_1)
	v_readfirstlane_b32 s3, v0
	v_mov_b32_e32 v0, s49
	s_cbranch_scc1 .LBB14_480
; %bb.479:
	v_readlane_b32 s6, v255, 0
	v_mov_b32_e32 v0, 0
	s_mul_i32 s6, s2, s6
	s_wait_alu 0xfffe
	s_add_co_i32 s40, s1, s6
	s_wait_alu 0xfffe
	s_ashr_i32 s41, s40, 31
	s_wait_alu 0xfffe
	s_lshl_b64 s[40:41], s[40:41], 2
	s_wait_alu 0xfffe
	s_add_nc_u64 s[18:19], s[18:19], s[40:41]
	global_load_b32 v0, v0, s[18:19]
	s_wait_loadcnt 0x0
	v_ashrrev_i32_e32 v1, 31, v0
	s_delay_alu instid0(VALU_DEP_1) | instskip(NEXT) | instid1(VALU_DEP_1)
	v_lshrrev_b32_e32 v1, 26, v1
	v_add_nc_u32_e32 v0, v0, v1
	s_delay_alu instid0(VALU_DEP_1) | instskip(NEXT) | instid1(VALU_DEP_1)
	v_ashrrev_i32_e32 v0, 6, v0
	v_min_i32_e32 v0, s49, v0
.LBB14_480:
	v_bfe_u32 v1, v153, 1, 9
	s_mul_i32 s6, s20, s33
	s_lshl_b32 s16, s0, 1
	s_mul_i32 s0, s2, s47
	s_wait_alu 0xfffe
	s_add_co_i32 s18, s16, s6
	s_lshl_b32 s6, s1, 5
	v_or_b32_e32 v2, s16, v131
	s_wait_alu 0xfffe
	v_add_nc_u32_e32 v1, s6, v1
	v_lshl_add_u32 v121, v232, 2, 0
	s_ashr_i32 s1, s0, 31
	v_readlane_b32 s25, v255, 13
	s_wait_alu 0xfffe
	s_add_nc_u64 s[8:9], s[8:9], s[0:1]
	v_cmp_le_i32_e64 s0, s24, v1
	v_cmp_le_i32_e64 s1, s33, v2
	v_mad_u32_u24 v120, 0xd0, v231, v121
	s_mul_i32 s18, s18, s46
	s_and_b32 s25, 0xffff, s25
	s_ashr_i32 s19, s18, 31
	s_or_b32 s0, s0, s1
	v_cmp_gt_i32_e32 vcc_lo, s33, v2
	s_wait_alu 0xfffe
	s_and_saveexec_b32 s1, s0
	s_wait_alu 0xfffe
	s_xor_b32 s0, exec_lo, s1
; %bb.481:
	v_mov_b32_e32 v1, 0
	ds_store_b32 v120, v1
                                        ; implicit-def: $vgpr1
; %bb.482:
	s_wait_alu 0xfffe
	s_or_saveexec_b32 s1, s0
	v_readlane_b32 s27, v255, 10
	s_add_nc_u64 s[8:9], s[8:9], s[18:19]
	s_mul_i32 s18, s25, 0x10001
	s_wait_alu 0xfffe
	s_xor_b32 exec_lo, exec_lo, s1
	s_cbranch_execz .LBB14_484
; %bb.483:
	v_mul_lo_u32 v1, v1, s7
	v_mul_lo_u32 v2, v131, s27
	s_delay_alu instid0(VALU_DEP_1) | instskip(NEXT) | instid1(VALU_DEP_1)
	v_add3_u32 v1, v2, v232, v1
	v_ashrrev_i32_e32 v2, 31, v1
	s_delay_alu instid0(VALU_DEP_1) | instskip(NEXT) | instid1(VALU_DEP_1)
	v_lshlrev_b64_e32 v[1:2], 3, v[1:2]
	v_add_co_u32 v1, s0, s8, v1
	s_wait_alu 0xf1ff
	s_delay_alu instid0(VALU_DEP_2) | instskip(SKIP_4) | instid1(VALU_DEP_1)
	v_add_co_ci_u32_e64 v2, null, s9, v2, s0
	global_load_b64 v[1:2], v[1:2], off
	s_wait_loadcnt 0x0
	v_cvt_f16_f32_e32 v1, v1
	v_cvt_f16_f32_e32 v2, v2
	v_pack_b32_f16 v1, v1, v2
	s_delay_alu instid0(VALU_DEP_1)
	v_pk_mul_f16 v1, v1, s18
	ds_store_b32 v120, v1
.LBB14_484:
	s_or_b32 exec_lo, exec_lo, s1
	v_lshrrev_b32_e32 v1, 1, v130
	s_xor_b32 s1, vcc_lo, -1
	s_delay_alu instid0(VALU_DEP_1) | instskip(NEXT) | instid1(VALU_DEP_1)
	v_add_nc_u32_e32 v1, s6, v1
	v_cmp_le_i32_e64 s0, s24, v1
	s_wait_alu 0xfffe
	s_or_b32 s0, s0, s1
	s_wait_alu 0xfffe
	s_and_saveexec_b32 s19, s0
	s_wait_alu 0xfffe
	s_xor_b32 s0, exec_lo, s19
; %bb.485:
	v_mad_u32_u24 v1, 0xd0, v130, v121
	v_mov_b32_e32 v2, 0
	ds_store_b32 v1, v2
                                        ; implicit-def: $vgpr1
; %bb.486:
	s_wait_alu 0xfffe
	s_and_not1_saveexec_b32 s0, s0
	s_cbranch_execz .LBB14_488
; %bb.487:
	v_mul_lo_u32 v1, v1, s7
	v_mul_lo_u32 v2, v131, s27
	s_delay_alu instid0(VALU_DEP_1) | instskip(NEXT) | instid1(VALU_DEP_1)
	v_add3_u32 v1, v2, v232, v1
	v_ashrrev_i32_e32 v2, 31, v1
	s_delay_alu instid0(VALU_DEP_1) | instskip(NEXT) | instid1(VALU_DEP_1)
	v_lshlrev_b64_e32 v[1:2], 3, v[1:2]
	v_add_co_u32 v1, vcc_lo, s8, v1
	s_wait_alu 0xfffd
	s_delay_alu instid0(VALU_DEP_2) | instskip(SKIP_4) | instid1(VALU_DEP_1)
	v_add_co_ci_u32_e64 v2, null, s9, v2, vcc_lo
	global_load_b64 v[1:2], v[1:2], off
	s_wait_loadcnt 0x0
	v_cvt_f16_f32_e32 v1, v1
	v_cvt_f16_f32_e32 v2, v2
	v_pack_b32_f16 v1, v1, v2
	v_mad_u32_u24 v2, 0xd0, v130, v121
	s_delay_alu instid0(VALU_DEP_2)
	v_pk_mul_f16 v1, v1, s18
	ds_store_b32 v2, v1
.LBB14_488:
	s_wait_alu 0xfffe
	s_or_b32 exec_lo, exec_lo, s0
	v_lshrrev_b32_e32 v1, 1, v129
	s_delay_alu instid0(VALU_DEP_1) | instskip(NEXT) | instid1(VALU_DEP_1)
	v_add_nc_u32_e32 v1, s6, v1
	v_cmp_le_i32_e32 vcc_lo, s24, v1
	s_or_b32 s0, vcc_lo, s1
	s_wait_alu 0xfffe
	s_and_saveexec_b32 s19, s0
	s_wait_alu 0xfffe
	s_xor_b32 s0, exec_lo, s19
; %bb.489:
	v_mad_u32_u24 v1, 0xd0, v129, v121
	v_mov_b32_e32 v2, 0
	ds_store_b32 v1, v2
                                        ; implicit-def: $vgpr1
; %bb.490:
	s_wait_alu 0xfffe
	s_and_not1_saveexec_b32 s0, s0
	s_cbranch_execz .LBB14_492
; %bb.491:
	v_mul_lo_u32 v1, v1, s7
	v_mul_lo_u32 v2, v131, s27
	s_delay_alu instid0(VALU_DEP_1) | instskip(NEXT) | instid1(VALU_DEP_1)
	v_add3_u32 v1, v2, v232, v1
	v_ashrrev_i32_e32 v2, 31, v1
	s_delay_alu instid0(VALU_DEP_1) | instskip(NEXT) | instid1(VALU_DEP_1)
	v_lshlrev_b64_e32 v[1:2], 3, v[1:2]
	v_add_co_u32 v1, vcc_lo, s8, v1
	s_wait_alu 0xfffd
	s_delay_alu instid0(VALU_DEP_2) | instskip(SKIP_4) | instid1(VALU_DEP_1)
	v_add_co_ci_u32_e64 v2, null, s9, v2, vcc_lo
	global_load_b64 v[1:2], v[1:2], off
	s_wait_loadcnt 0x0
	v_cvt_f16_f32_e32 v1, v1
	v_cvt_f16_f32_e32 v2, v2
	v_pack_b32_f16 v1, v1, v2
	v_mad_u32_u24 v2, 0xd0, v129, v121
	s_delay_alu instid0(VALU_DEP_2)
	v_pk_mul_f16 v1, v1, s18
	ds_store_b32 v2, v1
.LBB14_492:
	s_wait_alu 0xfffe
	s_or_b32 exec_lo, exec_lo, s0
	v_lshrrev_b32_e32 v1, 1, v128
	s_delay_alu instid0(VALU_DEP_1) | instskip(NEXT) | instid1(VALU_DEP_1)
	v_add_nc_u32_e32 v1, s6, v1
	v_cmp_le_i32_e32 vcc_lo, s24, v1
	s_or_b32 s0, vcc_lo, s1
	;; [unrolled: 42-line block ×8, first 2 shown]
	s_wait_alu 0xfffe
	s_and_saveexec_b32 s19, s0
	s_wait_alu 0xfffe
	s_xor_b32 s0, exec_lo, s19
; %bb.517:
	v_mad_u32_u24 v1, 0xd0, v144, v121
	v_mov_b32_e32 v2, 0
                                        ; implicit-def: $vgpr144
	ds_store_b32 v1, v2
                                        ; implicit-def: $vgpr1
; %bb.518:
	s_wait_alu 0xfffe
	s_and_not1_saveexec_b32 s0, s0
	s_cbranch_execz .LBB14_520
; %bb.519:
	v_mul_lo_u32 v1, v1, s7
	v_mul_lo_u32 v2, v131, s27
	s_delay_alu instid0(VALU_DEP_1) | instskip(NEXT) | instid1(VALU_DEP_1)
	v_add3_u32 v1, v2, v232, v1
	v_ashrrev_i32_e32 v2, 31, v1
	s_delay_alu instid0(VALU_DEP_1) | instskip(NEXT) | instid1(VALU_DEP_1)
	v_lshlrev_b64_e32 v[1:2], 3, v[1:2]
	v_add_co_u32 v1, vcc_lo, s8, v1
	s_wait_alu 0xfffd
	s_delay_alu instid0(VALU_DEP_2) | instskip(SKIP_4) | instid1(VALU_DEP_1)
	v_add_co_ci_u32_e64 v2, null, s9, v2, vcc_lo
	global_load_b64 v[1:2], v[1:2], off
	s_wait_loadcnt 0x0
	v_cvt_f16_f32_e32 v1, v1
	v_cvt_f16_f32_e32 v2, v2
	v_pack_b32_f16 v1, v1, v2
	v_mad_u32_u24 v2, 0xd0, v144, v121
	s_delay_alu instid0(VALU_DEP_2)
	v_pk_mul_f16 v1, v1, s18
	ds_store_b32 v2, v1
.LBB14_520:
	s_wait_alu 0xfffe
	s_or_b32 exec_lo, exec_lo, s0
	v_lshrrev_b32_e32 v1, 1, v143
	s_delay_alu instid0(VALU_DEP_1) | instskip(NEXT) | instid1(VALU_DEP_1)
	v_add_nc_u32_e32 v1, s6, v1
	v_cmp_le_i32_e32 vcc_lo, s24, v1
	s_or_b32 s0, vcc_lo, s1
	s_wait_alu 0xfffe
	s_and_saveexec_b32 s19, s0
	s_wait_alu 0xfffe
	s_xor_b32 s0, exec_lo, s19
; %bb.521:
	v_mad_u32_u24 v1, 0xd0, v143, v121
	v_mov_b32_e32 v2, 0
                                        ; implicit-def: $vgpr143
	ds_store_b32 v1, v2
                                        ; implicit-def: $vgpr1
; %bb.522:
	s_wait_alu 0xfffe
	s_and_not1_saveexec_b32 s0, s0
	s_cbranch_execz .LBB14_524
; %bb.523:
	v_mul_lo_u32 v1, v1, s7
	v_mul_lo_u32 v2, v131, s27
	s_delay_alu instid0(VALU_DEP_1) | instskip(NEXT) | instid1(VALU_DEP_1)
	v_add3_u32 v1, v2, v232, v1
	v_ashrrev_i32_e32 v2, 31, v1
	s_delay_alu instid0(VALU_DEP_1) | instskip(NEXT) | instid1(VALU_DEP_1)
	v_lshlrev_b64_e32 v[1:2], 3, v[1:2]
	v_add_co_u32 v1, vcc_lo, s8, v1
	s_wait_alu 0xfffd
	s_delay_alu instid0(VALU_DEP_2) | instskip(SKIP_4) | instid1(VALU_DEP_1)
	v_add_co_ci_u32_e64 v2, null, s9, v2, vcc_lo
	global_load_b64 v[1:2], v[1:2], off
	s_wait_loadcnt 0x0
	v_cvt_f16_f32_e32 v1, v1
	v_cvt_f16_f32_e32 v2, v2
	v_pack_b32_f16 v1, v1, v2
	v_mad_u32_u24 v2, 0xd0, v143, v121
	s_delay_alu instid0(VALU_DEP_2)
	v_pk_mul_f16 v1, v1, s18
	ds_store_b32 v2, v1
.LBB14_524:
	s_wait_alu 0xfffe
	s_or_b32 exec_lo, exec_lo, s0
	v_lshrrev_b32_e32 v1, 1, v135
	s_delay_alu instid0(VALU_DEP_1) | instskip(NEXT) | instid1(VALU_DEP_1)
	v_add_nc_u32_e32 v1, s6, v1
	v_cmp_le_i32_e32 vcc_lo, s24, v1
	s_or_b32 s0, vcc_lo, s1
	s_wait_alu 0xfffe
	s_and_saveexec_b32 s19, s0
	s_wait_alu 0xfffe
	s_xor_b32 s0, exec_lo, s19
; %bb.525:
	v_mad_u32_u24 v1, 0xd0, v135, v121
	v_mov_b32_e32 v2, 0
                                        ; implicit-def: $vgpr135
	ds_store_b32 v1, v2
                                        ; implicit-def: $vgpr1
; %bb.526:
	s_wait_alu 0xfffe
	s_and_not1_saveexec_b32 s0, s0
	s_cbranch_execz .LBB14_528
; %bb.527:
	v_mul_lo_u32 v1, v1, s7
	v_mul_lo_u32 v2, v131, s27
	s_delay_alu instid0(VALU_DEP_1) | instskip(NEXT) | instid1(VALU_DEP_1)
	v_add3_u32 v1, v2, v232, v1
	v_ashrrev_i32_e32 v2, 31, v1
	s_delay_alu instid0(VALU_DEP_1) | instskip(NEXT) | instid1(VALU_DEP_1)
	v_lshlrev_b64_e32 v[1:2], 3, v[1:2]
	v_add_co_u32 v1, vcc_lo, s8, v1
	s_wait_alu 0xfffd
	s_delay_alu instid0(VALU_DEP_2) | instskip(SKIP_4) | instid1(VALU_DEP_1)
	v_add_co_ci_u32_e64 v2, null, s9, v2, vcc_lo
	global_load_b64 v[1:2], v[1:2], off
	s_wait_loadcnt 0x0
	v_cvt_f16_f32_e32 v1, v1
	v_cvt_f16_f32_e32 v2, v2
	v_pack_b32_f16 v1, v1, v2
	v_mad_u32_u24 v2, 0xd0, v135, v121
	s_delay_alu instid0(VALU_DEP_2)
	v_pk_mul_f16 v1, v1, s18
	ds_store_b32 v2, v1
.LBB14_528:
	s_wait_alu 0xfffe
	s_or_b32 exec_lo, exec_lo, s0
	v_lshrrev_b32_e32 v1, 1, v230
	s_delay_alu instid0(VALU_DEP_1) | instskip(NEXT) | instid1(VALU_DEP_1)
	v_add_nc_u32_e32 v1, s6, v1
	v_cmp_le_i32_e32 vcc_lo, s24, v1
	s_or_b32 s0, vcc_lo, s1
	s_wait_alu 0xfffe
	s_and_saveexec_b32 s19, s0
	s_wait_alu 0xfffe
	s_xor_b32 s0, exec_lo, s19
; %bb.529:
	v_mad_u32_u24 v1, 0xd0, v230, v121
	v_mov_b32_e32 v2, 0
	ds_store_b32 v1, v2
                                        ; implicit-def: $vgpr1
; %bb.530:
	s_wait_alu 0xfffe
	s_and_not1_saveexec_b32 s0, s0
	s_cbranch_execz .LBB14_532
; %bb.531:
	v_mul_lo_u32 v1, v1, s7
	v_mul_lo_u32 v2, v131, s27
	s_delay_alu instid0(VALU_DEP_1) | instskip(NEXT) | instid1(VALU_DEP_1)
	v_add3_u32 v1, v2, v232, v1
	v_ashrrev_i32_e32 v2, 31, v1
	s_delay_alu instid0(VALU_DEP_1) | instskip(NEXT) | instid1(VALU_DEP_1)
	v_lshlrev_b64_e32 v[1:2], 3, v[1:2]
	v_add_co_u32 v1, vcc_lo, s8, v1
	s_wait_alu 0xfffd
	s_delay_alu instid0(VALU_DEP_2) | instskip(SKIP_4) | instid1(VALU_DEP_1)
	v_add_co_ci_u32_e64 v2, null, s9, v2, vcc_lo
	global_load_b64 v[1:2], v[1:2], off
	s_wait_loadcnt 0x0
	v_cvt_f16_f32_e32 v1, v1
	v_cvt_f16_f32_e32 v2, v2
	v_pack_b32_f16 v1, v1, v2
	v_mad_u32_u24 v2, 0xd0, v230, v121
	s_delay_alu instid0(VALU_DEP_2)
	v_pk_mul_f16 v1, v1, s18
	ds_store_b32 v2, v1
.LBB14_532:
	s_wait_alu 0xfffe
	s_or_b32 exec_lo, exec_lo, s0
	v_lshrrev_b32_e32 v1, 1, v134
	s_delay_alu instid0(VALU_DEP_1) | instskip(NEXT) | instid1(VALU_DEP_1)
	v_add_nc_u32_e32 v1, s6, v1
	v_cmp_le_i32_e32 vcc_lo, s24, v1
	s_or_b32 s0, vcc_lo, s1
	s_wait_alu 0xfffe
	s_and_saveexec_b32 s19, s0
	s_wait_alu 0xfffe
	s_xor_b32 s0, exec_lo, s19
; %bb.533:
	v_mad_u32_u24 v1, 0xd0, v134, v121
	v_mov_b32_e32 v2, 0
                                        ; implicit-def: $vgpr134
	ds_store_b32 v1, v2
                                        ; implicit-def: $vgpr1
; %bb.534:
	s_wait_alu 0xfffe
	s_and_not1_saveexec_b32 s0, s0
	s_cbranch_execz .LBB14_536
; %bb.535:
	v_mul_lo_u32 v1, v1, s7
	v_mul_lo_u32 v2, v131, s27
	s_delay_alu instid0(VALU_DEP_1) | instskip(NEXT) | instid1(VALU_DEP_1)
	v_add3_u32 v1, v2, v232, v1
	v_ashrrev_i32_e32 v2, 31, v1
	s_delay_alu instid0(VALU_DEP_1) | instskip(NEXT) | instid1(VALU_DEP_1)
	v_lshlrev_b64_e32 v[1:2], 3, v[1:2]
	v_add_co_u32 v1, vcc_lo, s8, v1
	s_wait_alu 0xfffd
	s_delay_alu instid0(VALU_DEP_2) | instskip(SKIP_4) | instid1(VALU_DEP_1)
	v_add_co_ci_u32_e64 v2, null, s9, v2, vcc_lo
	global_load_b64 v[1:2], v[1:2], off
	s_wait_loadcnt 0x0
	v_cvt_f16_f32_e32 v1, v1
	v_cvt_f16_f32_e32 v2, v2
	v_pack_b32_f16 v1, v1, v2
	v_mad_u32_u24 v2, 0xd0, v134, v121
	s_delay_alu instid0(VALU_DEP_2)
	v_pk_mul_f16 v1, v1, s18
	ds_store_b32 v2, v1
.LBB14_536:
	s_wait_alu 0xfffe
	s_or_b32 exec_lo, exec_lo, s0
	v_lshrrev_b32_e32 v1, 1, v133
	s_delay_alu instid0(VALU_DEP_1) | instskip(NEXT) | instid1(VALU_DEP_1)
	v_add_nc_u32_e32 v1, s6, v1
	v_cmp_le_i32_e32 vcc_lo, s24, v1
	s_or_b32 s0, vcc_lo, s1
	s_wait_alu 0xfffe
	s_and_saveexec_b32 s19, s0
	s_wait_alu 0xfffe
	s_xor_b32 s0, exec_lo, s19
; %bb.537:
	v_mad_u32_u24 v1, 0xd0, v133, v121
	v_mov_b32_e32 v2, 0
                                        ; implicit-def: $vgpr133
	ds_store_b32 v1, v2
                                        ; implicit-def: $vgpr1
; %bb.538:
	s_wait_alu 0xfffe
	s_and_not1_saveexec_b32 s0, s0
	s_cbranch_execz .LBB14_540
; %bb.539:
	v_mul_lo_u32 v1, v1, s7
	v_mul_lo_u32 v2, v131, s27
	s_delay_alu instid0(VALU_DEP_1) | instskip(NEXT) | instid1(VALU_DEP_1)
	v_add3_u32 v1, v2, v232, v1
	v_ashrrev_i32_e32 v2, 31, v1
	s_delay_alu instid0(VALU_DEP_1) | instskip(NEXT) | instid1(VALU_DEP_1)
	v_lshlrev_b64_e32 v[1:2], 3, v[1:2]
	v_add_co_u32 v1, vcc_lo, s8, v1
	s_wait_alu 0xfffd
	s_delay_alu instid0(VALU_DEP_2) | instskip(SKIP_4) | instid1(VALU_DEP_1)
	v_add_co_ci_u32_e64 v2, null, s9, v2, vcc_lo
	global_load_b64 v[1:2], v[1:2], off
	s_wait_loadcnt 0x0
	v_cvt_f16_f32_e32 v1, v1
	v_cvt_f16_f32_e32 v2, v2
	v_pack_b32_f16 v1, v1, v2
	v_mad_u32_u24 v2, 0xd0, v133, v121
	s_delay_alu instid0(VALU_DEP_2)
	v_pk_mul_f16 v1, v1, s18
	ds_store_b32 v2, v1
.LBB14_540:
	s_wait_alu 0xfffe
	s_or_b32 exec_lo, exec_lo, s0
	v_lshrrev_b32_e32 v1, 1, v132
	s_delay_alu instid0(VALU_DEP_1) | instskip(NEXT) | instid1(VALU_DEP_1)
	v_add_nc_u32_e32 v1, s6, v1
	v_cmp_le_i32_e32 vcc_lo, s24, v1
	s_or_b32 s0, vcc_lo, s1
	s_wait_alu 0xfffe
	s_and_saveexec_b32 s1, s0
	s_wait_alu 0xfffe
	s_xor_b32 s0, exec_lo, s1
; %bb.541:
	v_mad_u32_u24 v1, 0xd0, v132, v121
	v_mov_b32_e32 v2, 0
                                        ; implicit-def: $vgpr131
                                        ; implicit-def: $vgpr132
	ds_store_b32 v1, v2
                                        ; implicit-def: $vgpr1
; %bb.542:
	s_wait_alu 0xfffe
	s_and_not1_saveexec_b32 s0, s0
	s_cbranch_execz .LBB14_544
; %bb.543:
	v_mul_lo_u32 v1, v1, s7
	v_mul_lo_u32 v2, v131, s27
	s_delay_alu instid0(VALU_DEP_1) | instskip(NEXT) | instid1(VALU_DEP_1)
	v_add3_u32 v1, v2, v232, v1
	v_ashrrev_i32_e32 v2, 31, v1
	s_delay_alu instid0(VALU_DEP_1) | instskip(NEXT) | instid1(VALU_DEP_1)
	v_lshlrev_b64_e32 v[1:2], 3, v[1:2]
	v_add_co_u32 v1, vcc_lo, s8, v1
	s_wait_alu 0xfffd
	s_delay_alu instid0(VALU_DEP_2) | instskip(SKIP_4) | instid1(VALU_DEP_1)
	v_add_co_ci_u32_e64 v2, null, s9, v2, vcc_lo
	global_load_b64 v[1:2], v[1:2], off
	s_wait_loadcnt 0x0
	v_cvt_f16_f32_e32 v1, v1
	v_cvt_f16_f32_e32 v2, v2
	v_pack_b32_f16 v1, v1, v2
	v_mad_u32_u24 v2, 0xd0, v132, v121
	s_delay_alu instid0(VALU_DEP_2)
	v_pk_mul_f16 v1, v1, s18
	ds_store_b32 v2, v1
.LBB14_544:
	s_wait_alu 0xfffe
	s_or_b32 exec_lo, exec_lo, s0
	v_lshrrev_b32_e32 v1, 4, v232
	v_and_b32_e32 v123, 15, v232
	s_delay_alu instid0(VALU_DEP_2) | instskip(SKIP_1) | instid1(VALU_DEP_3)
	v_lshl_add_u32 v122, v231, 1, v1
	v_and_b32_e32 v1, 1, v1
	v_lshlrev_b32_e32 v137, 2, v123
	s_delay_alu instid0(VALU_DEP_3) | instskip(NEXT) | instid1(VALU_DEP_1)
	v_lshrrev_b32_e32 v2, 1, v122
	v_add_nc_u32_e32 v3, s6, v2
	s_delay_alu instid0(VALU_DEP_4) | instskip(NEXT) | instid1(VALU_DEP_2)
	v_or_b32_e32 v2, s16, v1
	v_cmp_le_i32_e64 s0, s24, v3
	s_delay_alu instid0(VALU_DEP_2)
	v_cmp_le_i32_e64 s1, s33, v2
	v_cmp_gt_i32_e32 vcc_lo, s33, v2
	s_or_b32 s0, s0, s1
	s_wait_alu 0xfffe
	s_and_saveexec_b32 s1, s0
	s_wait_alu 0xfffe
	s_xor_b32 s0, exec_lo, s1
	s_cbranch_execz .LBB14_546
; %bb.545:
	v_mul_u32_u24_e32 v2, 0xd0, v122
	v_mov_b32_e32 v3, 0
	s_delay_alu instid0(VALU_DEP_2)
	v_add3_u32 v2, 0, v2, v137
	ds_store_b32 v2, v3 offset:128
                                        ; implicit-def: $vgpr3
.LBB14_546:
	s_wait_alu 0xfffe
	s_or_saveexec_b32 s1, s0
	v_lshl_add_u32 v133, v123, 2, 0
	v_or_b32_e32 v2, 32, v123
	s_delay_alu instid0(VALU_DEP_2)
	v_mad_u32_u24 v132, 0xd0, v122, v133
	s_wait_alu 0xfffe
	s_xor_b32 exec_lo, exec_lo, s1
	s_cbranch_execz .LBB14_548
; %bb.547:
	v_mul_lo_u32 v3, v3, s7
	v_mul_lo_u32 v4, v1, s27
	s_delay_alu instid0(VALU_DEP_1) | instskip(NEXT) | instid1(VALU_DEP_1)
	v_add3_u32 v3, v4, v2, v3
	v_ashrrev_i32_e32 v4, 31, v3
	s_delay_alu instid0(VALU_DEP_1) | instskip(NEXT) | instid1(VALU_DEP_1)
	v_lshlrev_b64_e32 v[3:4], 3, v[3:4]
	v_add_co_u32 v3, s0, s8, v3
	s_wait_alu 0xf1ff
	s_delay_alu instid0(VALU_DEP_2) | instskip(SKIP_4) | instid1(VALU_DEP_1)
	v_add_co_ci_u32_e64 v4, null, s9, v4, s0
	global_load_b64 v[3:4], v[3:4], off
	s_wait_loadcnt 0x0
	v_cvt_f16_f32_e32 v3, v3
	v_cvt_f16_f32_e32 v4, v4
	v_pack_b32_f16 v3, v3, v4
	s_delay_alu instid0(VALU_DEP_1)
	v_pk_mul_f16 v3, v3, s18
	ds_store_b32 v132, v3 offset:128
.LBB14_548:
	s_or_b32 exec_lo, exec_lo, s1
	v_add_nc_u32_e32 v3, 8, v122
	s_xor_b32 s19, vcc_lo, -1
	s_delay_alu instid0(VALU_DEP_1) | instskip(NEXT) | instid1(VALU_DEP_1)
	v_lshrrev_b32_e32 v4, 1, v3
	v_add_nc_u32_e32 v4, s6, v4
	s_delay_alu instid0(VALU_DEP_1)
	v_cmp_le_i32_e64 s0, s24, v4
	s_wait_alu 0xfffe
	s_or_b32 s0, s0, s19
	s_wait_alu 0xfffe
	s_and_saveexec_b32 s1, s0
	s_wait_alu 0xfffe
	s_xor_b32 s0, exec_lo, s1
	s_cbranch_execz .LBB14_550
; %bb.549:
	v_mul_u32_u24_e32 v3, 0xd0, v3
	v_mov_b32_e32 v4, 0
	s_delay_alu instid0(VALU_DEP_2)
	v_add3_u32 v3, 0, v3, v137
	ds_store_b32 v3, v4 offset:128
                                        ; implicit-def: $vgpr4
                                        ; implicit-def: $vgpr3
.LBB14_550:
	s_wait_alu 0xfffe
	s_and_not1_saveexec_b32 s0, s0
	s_cbranch_execz .LBB14_552
; %bb.551:
	v_mul_lo_u32 v4, v4, s7
	v_mul_lo_u32 v5, v1, s27
	v_mad_u32_u24 v3, 0xd0, v3, v133
	s_delay_alu instid0(VALU_DEP_2) | instskip(NEXT) | instid1(VALU_DEP_1)
	v_add3_u32 v4, v5, v2, v4
	v_ashrrev_i32_e32 v5, 31, v4
	s_delay_alu instid0(VALU_DEP_1) | instskip(NEXT) | instid1(VALU_DEP_1)
	v_lshlrev_b64_e32 v[4:5], 3, v[4:5]
	v_add_co_u32 v4, vcc_lo, s8, v4
	s_wait_alu 0xfffd
	s_delay_alu instid0(VALU_DEP_2) | instskip(SKIP_4) | instid1(VALU_DEP_1)
	v_add_co_ci_u32_e64 v5, null, s9, v5, vcc_lo
	global_load_b64 v[4:5], v[4:5], off
	s_wait_loadcnt 0x0
	v_cvt_f16_f32_e32 v4, v4
	v_cvt_f16_f32_e32 v5, v5
	v_pack_b32_f16 v4, v4, v5
	s_delay_alu instid0(VALU_DEP_1)
	v_pk_mul_f16 v4, v4, s18
	ds_store_b32 v3, v4 offset:128
.LBB14_552:
	s_wait_alu 0xfffe
	s_or_b32 exec_lo, exec_lo, s0
	v_add_nc_u32_e32 v228, 16, v122
	s_delay_alu instid0(VALU_DEP_1) | instskip(NEXT) | instid1(VALU_DEP_1)
	v_lshrrev_b32_e32 v3, 1, v228
	v_add_nc_u32_e32 v3, s6, v3
	s_delay_alu instid0(VALU_DEP_1)
	v_cmp_le_i32_e32 vcc_lo, s24, v3
	s_or_b32 s0, vcc_lo, s19
	s_wait_alu 0xfffe
	s_and_saveexec_b32 s1, s0
	s_wait_alu 0xfffe
	s_xor_b32 s0, exec_lo, s1
	s_cbranch_execz .LBB14_554
; %bb.553:
	v_mul_u32_u24_e32 v3, 0xd0, v228
	v_mov_b32_e32 v4, 0
	s_delay_alu instid0(VALU_DEP_2)
	v_add3_u32 v3, 0, v3, v137
	ds_store_b32 v3, v4 offset:128
                                        ; implicit-def: $vgpr3
.LBB14_554:
	s_wait_alu 0xfffe
	s_and_not1_saveexec_b32 s0, s0
	s_cbranch_execz .LBB14_556
; %bb.555:
	v_mul_lo_u32 v3, v3, s7
	v_mul_lo_u32 v4, v1, s27
	s_delay_alu instid0(VALU_DEP_1) | instskip(NEXT) | instid1(VALU_DEP_1)
	v_add3_u32 v3, v4, v2, v3
	v_ashrrev_i32_e32 v4, 31, v3
	s_delay_alu instid0(VALU_DEP_1) | instskip(NEXT) | instid1(VALU_DEP_1)
	v_lshlrev_b64_e32 v[3:4], 3, v[3:4]
	v_add_co_u32 v3, vcc_lo, s8, v3
	s_wait_alu 0xfffd
	s_delay_alu instid0(VALU_DEP_2) | instskip(SKIP_4) | instid1(VALU_DEP_1)
	v_add_co_ci_u32_e64 v4, null, s9, v4, vcc_lo
	global_load_b64 v[3:4], v[3:4], off
	s_wait_loadcnt 0x0
	v_cvt_f16_f32_e32 v3, v3
	v_cvt_f16_f32_e32 v4, v4
	v_pack_b32_f16 v3, v3, v4
	v_mad_u32_u24 v4, 0xd0, v228, v133
	s_delay_alu instid0(VALU_DEP_2)
	v_pk_mul_f16 v3, v3, s18
	ds_store_b32 v4, v3 offset:128
.LBB14_556:
	s_wait_alu 0xfffe
	s_or_b32 exec_lo, exec_lo, s0
	v_add_nc_u32_e32 v3, 24, v122
	s_delay_alu instid0(VALU_DEP_1) | instskip(NEXT) | instid1(VALU_DEP_1)
	v_lshrrev_b32_e32 v4, 1, v3
	v_add_nc_u32_e32 v4, s6, v4
	s_delay_alu instid0(VALU_DEP_1)
	v_cmp_le_i32_e32 vcc_lo, s24, v4
	s_or_b32 s0, vcc_lo, s19
	s_wait_alu 0xfffe
	s_and_saveexec_b32 s1, s0
	s_wait_alu 0xfffe
	s_xor_b32 s0, exec_lo, s1
	s_cbranch_execz .LBB14_558
; %bb.557:
	v_mul_u32_u24_e32 v3, 0xd0, v3
	v_mov_b32_e32 v4, 0
	s_delay_alu instid0(VALU_DEP_2)
	v_add3_u32 v3, 0, v3, v137
	ds_store_b32 v3, v4 offset:128
                                        ; implicit-def: $vgpr4
                                        ; implicit-def: $vgpr3
.LBB14_558:
	s_wait_alu 0xfffe
	s_and_not1_saveexec_b32 s0, s0
	s_cbranch_execz .LBB14_560
; %bb.559:
	v_mul_lo_u32 v4, v4, s7
	v_mul_lo_u32 v5, v1, s27
	v_mad_u32_u24 v3, 0xd0, v3, v133
	s_delay_alu instid0(VALU_DEP_2) | instskip(NEXT) | instid1(VALU_DEP_1)
	v_add3_u32 v4, v5, v2, v4
	v_ashrrev_i32_e32 v5, 31, v4
	s_delay_alu instid0(VALU_DEP_1) | instskip(NEXT) | instid1(VALU_DEP_1)
	v_lshlrev_b64_e32 v[4:5], 3, v[4:5]
	v_add_co_u32 v4, vcc_lo, s8, v4
	s_wait_alu 0xfffd
	s_delay_alu instid0(VALU_DEP_2) | instskip(SKIP_4) | instid1(VALU_DEP_1)
	v_add_co_ci_u32_e64 v5, null, s9, v5, vcc_lo
	global_load_b64 v[4:5], v[4:5], off
	s_wait_loadcnt 0x0
	v_cvt_f16_f32_e32 v4, v4
	v_cvt_f16_f32_e32 v5, v5
	v_pack_b32_f16 v4, v4, v5
	s_delay_alu instid0(VALU_DEP_1)
	v_pk_mul_f16 v4, v4, s18
	ds_store_b32 v3, v4 offset:128
.LBB14_560:
	s_wait_alu 0xfffe
	s_or_b32 exec_lo, exec_lo, s0
	v_add_nc_u32_e32 v229, 32, v122
	s_delay_alu instid0(VALU_DEP_1) | instskip(NEXT) | instid1(VALU_DEP_1)
	v_lshrrev_b32_e32 v3, 1, v229
	v_add_nc_u32_e32 v3, s6, v3
	s_delay_alu instid0(VALU_DEP_1)
	v_cmp_le_i32_e32 vcc_lo, s24, v3
	s_or_b32 s0, vcc_lo, s19
	s_wait_alu 0xfffe
	s_and_saveexec_b32 s1, s0
	s_wait_alu 0xfffe
	s_xor_b32 s0, exec_lo, s1
	s_cbranch_execz .LBB14_562
; %bb.561:
	v_mul_u32_u24_e32 v3, 0xd0, v229
	v_mov_b32_e32 v4, 0
	s_delay_alu instid0(VALU_DEP_2)
	v_add3_u32 v3, 0, v3, v137
	ds_store_b32 v3, v4 offset:128
                                        ; implicit-def: $vgpr3
.LBB14_562:
	s_wait_alu 0xfffe
	s_or_saveexec_b32 s1, s0
	s_mul_f32 s0, s3, 0x4f7ffffe
	s_wait_alu 0xfffe
	s_xor_b32 exec_lo, exec_lo, s1
	s_cbranch_execz .LBB14_564
; %bb.563:
	v_mul_lo_u32 v3, v3, s7
	v_mul_lo_u32 v4, v1, s27
	s_delay_alu instid0(VALU_DEP_1) | instskip(NEXT) | instid1(VALU_DEP_1)
	v_add3_u32 v3, v4, v2, v3
	v_ashrrev_i32_e32 v4, 31, v3
	s_delay_alu instid0(VALU_DEP_1) | instskip(NEXT) | instid1(VALU_DEP_1)
	v_lshlrev_b64_e32 v[3:4], 3, v[3:4]
	v_add_co_u32 v3, vcc_lo, s8, v3
	s_wait_alu 0xfffd
	s_delay_alu instid0(VALU_DEP_2) | instskip(SKIP_4) | instid1(VALU_DEP_1)
	v_add_co_ci_u32_e64 v4, null, s9, v4, vcc_lo
	global_load_b64 v[3:4], v[3:4], off
	s_wait_loadcnt 0x0
	v_cvt_f16_f32_e32 v3, v3
	v_cvt_f16_f32_e32 v4, v4
	v_pack_b32_f16 v3, v3, v4
	v_mad_u32_u24 v4, 0xd0, v229, v133
	s_delay_alu instid0(VALU_DEP_2)
	v_pk_mul_f16 v3, v3, s18
	ds_store_b32 v4, v3 offset:128
.LBB14_564:
	s_or_b32 exec_lo, exec_lo, s1
	v_add_nc_u32_e32 v3, 40, v122
	s_cvt_u32_f32 s0, s0
	s_sub_co_i32 s1, 0, s21
	s_delay_alu instid0(VALU_DEP_1) | instskip(NEXT) | instid1(VALU_DEP_1)
	v_lshrrev_b32_e32 v4, 1, v3
	v_add_nc_u32_e32 v4, s6, v4
	s_delay_alu instid0(VALU_DEP_1)
	v_cmp_le_i32_e32 vcc_lo, s24, v4
	s_or_b32 s3, vcc_lo, s19
	s_wait_alu 0xfffe
	s_and_saveexec_b32 s16, s3
	s_wait_alu 0xfffe
	s_xor_b32 s3, exec_lo, s16
	s_cbranch_execz .LBB14_566
; %bb.565:
	v_mul_u32_u24_e32 v3, 0xd0, v3
	v_mov_b32_e32 v4, 0
	s_delay_alu instid0(VALU_DEP_2)
	v_add3_u32 v3, 0, v3, v137
	ds_store_b32 v3, v4 offset:128
                                        ; implicit-def: $vgpr4
                                        ; implicit-def: $vgpr3
.LBB14_566:
	s_wait_alu 0xfffe
	s_or_saveexec_b32 s3, s3
	s_mul_i32 s1, s1, s0
	s_wait_alu 0xfffe
	s_xor_b32 exec_lo, exec_lo, s3
	s_cbranch_execz .LBB14_568
; %bb.567:
	v_mul_lo_u32 v4, v4, s7
	v_mul_lo_u32 v5, v1, s27
	v_mad_u32_u24 v3, 0xd0, v3, v133
	s_delay_alu instid0(VALU_DEP_2) | instskip(NEXT) | instid1(VALU_DEP_1)
	v_add3_u32 v4, v5, v2, v4
	v_ashrrev_i32_e32 v5, 31, v4
	s_delay_alu instid0(VALU_DEP_1) | instskip(NEXT) | instid1(VALU_DEP_1)
	v_lshlrev_b64_e32 v[4:5], 3, v[4:5]
	v_add_co_u32 v4, vcc_lo, s8, v4
	s_wait_alu 0xfffd
	s_delay_alu instid0(VALU_DEP_2) | instskip(SKIP_4) | instid1(VALU_DEP_1)
	v_add_co_ci_u32_e64 v5, null, s9, v5, vcc_lo
	global_load_b64 v[4:5], v[4:5], off
	s_wait_loadcnt 0x0
	v_cvt_f16_f32_e32 v4, v4
	v_cvt_f16_f32_e32 v5, v5
	v_pack_b32_f16 v4, v4, v5
	s_delay_alu instid0(VALU_DEP_1)
	v_pk_mul_f16 v4, v4, s18
	ds_store_b32 v3, v4 offset:128
.LBB14_568:
	s_or_b32 exec_lo, exec_lo, s3
	v_add_nc_u32_e32 v234, 48, v122
	s_mul_hi_u32 s3, s0, s1
	s_delay_alu instid0(VALU_DEP_1) | instskip(NEXT) | instid1(VALU_DEP_1)
	v_lshrrev_b32_e32 v3, 1, v234
	v_add_nc_u32_e32 v3, s6, v3
	s_delay_alu instid0(VALU_DEP_1)
	v_cmp_le_i32_e32 vcc_lo, s24, v3
	s_or_b32 s1, vcc_lo, s19
	s_wait_alu 0xfffe
	s_and_saveexec_b32 s16, s1
	s_wait_alu 0xfffe
	s_xor_b32 s1, exec_lo, s16
	s_cbranch_execz .LBB14_570
; %bb.569:
	v_mul_u32_u24_e32 v3, 0xd0, v234
	v_mov_b32_e32 v4, 0
	s_delay_alu instid0(VALU_DEP_2)
	v_add3_u32 v3, 0, v3, v137
	ds_store_b32 v3, v4 offset:128
                                        ; implicit-def: $vgpr3
.LBB14_570:
	s_wait_alu 0xfffe
	s_or_saveexec_b32 s1, s1
	s_abs_i32 s16, s2
	s_add_co_i32 s0, s0, s3
	s_wait_alu 0xfffe
	s_xor_b32 exec_lo, exec_lo, s1
	s_cbranch_execz .LBB14_572
; %bb.571:
	v_mul_lo_u32 v3, v3, s7
	v_mul_lo_u32 v4, v1, s27
	s_delay_alu instid0(VALU_DEP_1) | instskip(NEXT) | instid1(VALU_DEP_1)
	v_add3_u32 v3, v4, v2, v3
	v_ashrrev_i32_e32 v4, 31, v3
	s_delay_alu instid0(VALU_DEP_1) | instskip(NEXT) | instid1(VALU_DEP_1)
	v_lshlrev_b64_e32 v[3:4], 3, v[3:4]
	v_add_co_u32 v3, vcc_lo, s8, v3
	s_wait_alu 0xfffd
	s_delay_alu instid0(VALU_DEP_2) | instskip(SKIP_4) | instid1(VALU_DEP_1)
	v_add_co_ci_u32_e64 v4, null, s9, v4, vcc_lo
	global_load_b64 v[3:4], v[3:4], off
	s_wait_loadcnt 0x0
	v_cvt_f16_f32_e32 v3, v3
	v_cvt_f16_f32_e32 v4, v4
	v_pack_b32_f16 v3, v3, v4
	v_mad_u32_u24 v4, 0xd0, v234, v133
	s_delay_alu instid0(VALU_DEP_2)
	v_pk_mul_f16 v3, v3, s18
	ds_store_b32 v4, v3 offset:128
.LBB14_572:
	s_or_b32 exec_lo, exec_lo, s1
	v_add_nc_u32_e32 v3, 56, v122
	s_mov_b32 s1, s17
	s_delay_alu instid0(VALU_DEP_1) | instskip(NEXT) | instid1(VALU_DEP_1)
	v_lshrrev_b32_e32 v4, 1, v3
	v_add_nc_u32_e32 v4, s6, v4
	s_delay_alu instid0(VALU_DEP_1)
	v_cmp_le_i32_e32 vcc_lo, s24, v4
	s_or_b32 s3, vcc_lo, s19
	s_wait_alu 0xfffe
	s_and_saveexec_b32 s19, s3
	s_wait_alu 0xfffe
	s_xor_b32 s3, exec_lo, s19
	s_cbranch_execz .LBB14_574
; %bb.573:
	v_mul_u32_u24_e32 v1, 0xd0, v3
	v_mov_b32_e32 v2, 0
                                        ; implicit-def: $vgpr4
                                        ; implicit-def: $vgpr3
	s_delay_alu instid0(VALU_DEP_2)
	v_add3_u32 v1, 0, v1, v137
	ds_store_b32 v1, v2 offset:128
                                        ; implicit-def: $vgpr1
                                        ; implicit-def: $vgpr2
.LBB14_574:
	s_wait_alu 0xfffe
	s_or_saveexec_b32 s19, s3
	s_mul_u64 s[0:1], s[16:17], s[0:1]
	s_ashr_i32 s3, s2, 31
	s_wait_alu 0xfffe
	s_xor_b32 exec_lo, exec_lo, s19
	s_cbranch_execz .LBB14_576
; %bb.575:
	v_mul_lo_u32 v4, v4, s7
	v_mul_lo_u32 v1, v1, s27
	s_delay_alu instid0(VALU_DEP_1) | instskip(NEXT) | instid1(VALU_DEP_1)
	v_add3_u32 v1, v1, v2, v4
	v_ashrrev_i32_e32 v2, 31, v1
	s_delay_alu instid0(VALU_DEP_1) | instskip(NEXT) | instid1(VALU_DEP_1)
	v_lshlrev_b64_e32 v[1:2], 3, v[1:2]
	v_add_co_u32 v1, vcc_lo, s8, v1
	s_wait_alu 0xfffd
	s_delay_alu instid0(VALU_DEP_2) | instskip(SKIP_4) | instid1(VALU_DEP_1)
	v_add_co_ci_u32_e64 v2, null, s9, v2, vcc_lo
	global_load_b64 v[1:2], v[1:2], off
	s_wait_loadcnt 0x0
	v_cvt_f16_f32_e32 v1, v1
	v_cvt_f16_f32_e32 v2, v2
	v_pack_b32_f16 v1, v1, v2
	v_mad_u32_u24 v2, 0xd0, v3, v133
	s_delay_alu instid0(VALU_DEP_2)
	v_pk_mul_f16 v1, v1, s18
	ds_store_b32 v2, v1 offset:128
.LBB14_576:
	s_or_b32 exec_lo, exec_lo, s19
	v_lshrrev_b32_e32 v1, 2, v232
	v_readlane_b32 s8, v255, 8
	v_mad_u32_u24 v3, 0xd00, v231, 0
	v_mul_u32_u24_e32 v141, 0xd0, v123
	v_readlane_b32 s9, v255, 9
	v_and_b32_e32 v2, 0xfc, v1
	s_mul_i32 s7, s1, s21
	s_wait_storecnt 0x0
	s_wait_loadcnt_dscnt 0x0
	s_wait_alu 0xfffe
	s_sub_co_i32 s7, s16, s7
	s_mul_i32 s0, s20, s9
	v_dual_mov_b32 v140, 0 :: v_dual_lshlrev_b32 v145, 2, v2
	s_wait_alu 0xfffe
	s_ashr_i32 s1, s0, 31
	s_sub_co_i32 s8, s7, s21
	s_cmp_ge_u32 s7, s21
	v_add3_u32 v2, v3, v141, v145
	s_barrier_signal -1
	s_barrier_wait -1
	global_inv scope:SCOPE_SE
	s_wait_alu 0xfffe
	s_cselect_b32 s7, s8, s7
	ds_load_b128 v[44:47], v2
	ds_load_b128 v[40:43], v2 offset:32
	ds_load_b128 v[36:39], v2 offset:64
	;; [unrolled: 1-line block ×5, first 2 shown]
	s_wait_alu 0xfffe
	s_sub_co_i32 s8, s7, s21
	s_cmp_ge_u32 s7, s21
	s_mul_u64 s[16:17], s[28:29], s[2:3]
	s_wait_alu 0xfffe
	s_cselect_b32 s7, s8, s7
	s_add_nc_u64 s[10:11], s[10:11], s[16:17]
	s_wait_alu 0xfffe
	s_xor_b32 s7, s7, s3
	v_readlane_b32 s16, v255, 5
	v_readlane_b32 s17, v255, 6
	s_wait_alu 0xfffe
	s_sub_co_i32 s8, s7, s3
	v_add_nc_u32_e32 v175, -1, v0
	s_wait_alu 0xfffe
	s_ashr_i32 s9, s8, 31
	v_lshlrev_b32_e32 v0, 1, v232
	s_wait_alu 0xfffe
	s_mul_u64 s[8:9], s[16:17], s[8:9]
	v_readlane_b32 s16, v255, 3
	v_readlane_b32 s17, v255, 4
	v_cmp_lt_i32_e32 vcc_lo, s94, v175
	s_movk_i32 s7, 0xd0
	s_mov_b32 s18, -1
	s_wait_loadcnt_dscnt 0x0
	s_mul_u64 s[16:17], s[16:17], s[2:3]
	s_mul_i32 s2, s20, s31
	s_wait_alu 0xfffe
	s_add_nc_u64 s[16:17], s[12:13], s[16:17]
	s_ashr_i32 s3, s2, 31
	s_barrier_signal -1
	s_barrier_wait -1
	global_inv scope:SCOPE_SE
	s_cbranch_vccnz .LBB14_580
; %bb.577:
	v_dual_mov_b32 v89, 0 :: v_dual_add_nc_u32 v2, s6, v231
	v_dual_mov_b32 v236, 32 :: v_dual_add_nc_u32 v3, s6, v130
	v_add_nc_u32_e32 v4, s6, v129
	s_delay_alu instid0(VALU_DEP_3) | instskip(SKIP_1) | instid1(VALU_DEP_3)
	v_mul_hi_u32 v5, s36, v2
	s_ashr_i32 s27, s26, 31
	v_mul_hi_u32 v6, s36, v3
	s_ashr_i32 s35, s34, 31
	s_wait_alu 0xfffe
	v_dual_mov_b32 v49, s35 :: v_dual_add_nc_u32 v8, s6, v128
	v_mov_b32_e32 v99, v89
	v_mul_hi_u32 v7, s36, v4
	v_add_nc_u32_e32 v5, v2, v5
	v_dual_mov_b32 v51, s27 :: v_dual_add_nc_u32 v10, s6, v127
	v_dual_mov_b32 v48, s34 :: v_dual_add_nc_u32 v9, s6, v233
	v_add_nc_u32_e32 v6, v3, v6
	v_mul_hi_u32 v12, s36, v8
	v_mov_b32_e32 v50, s26
	v_lshrrev_b32_e32 v5, s37, v5
	v_add_nc_u32_e32 v7, v4, v7
	v_lshrrev_b32_e32 v6, s37, v6
	v_mul_hi_u32 v13, s36, v9
	v_add_nc_u32_e32 v11, s6, v126
	v_mul_lo_u32 v5, v5, s24
	v_add_nc_u32_e32 v12, v8, v12
	v_lshrrev_b32_e32 v7, s37, v7
	v_mul_lo_u32 v6, v6, s24
	v_mul_hi_u32 v14, s36, v10
	v_lshlrev_b32_e32 v138, 4, v231
	v_add_nc_u32_e32 v13, v9, v13
	v_mul_lo_u32 v7, v7, s24
	v_sub_nc_u32_e32 v2, v2, v5
	v_lshrrev_b32_e32 v5, s37, v12
	s_movk_i32 s12, 0x240
	v_sub_nc_u32_e32 v3, v3, v6
	v_add_nc_u32_e32 v6, s6, v125
	v_mad_co_i64_i32 v[92:93], null, v2, s38, 0
	v_lshrrev_b32_e32 v2, s37, v13
	v_mul_lo_u32 v5, v5, s24
	v_sub_nc_u32_e32 v4, v4, v7
	v_mul_hi_u32 v7, s36, v6
	v_mad_co_i64_i32 v[90:91], null, v3, s38, 0
	v_mul_lo_u32 v2, v2, s24
	v_mul_hi_u32 v3, s36, v11
	v_mad_co_i64_i32 v[94:95], null, v4, s38, 0
	v_sub_nc_u32_e32 v5, v8, v5
	v_add_nc_u32_e32 v4, v10, v14
	s_wait_alu 0xfffe
	v_mad_u32_u24 v131, 0x90, v231, s12
	s_movk_i32 s12, 0x6c0
	v_sub_nc_u32_e32 v2, v9, v2
	v_mad_co_i64_i32 v[96:97], null, v5, s38, 0
	v_add_nc_u32_e32 v5, v6, v7
	v_add_nc_u32_e32 v3, v11, v3
	s_delay_alu instid0(VALU_DEP_4) | instskip(SKIP_1) | instid1(VALU_DEP_4)
	v_mad_co_i64_i32 v[100:101], null, v2, s38, 0
	v_lshrrev_b32_e32 v4, s37, v4
	v_lshrrev_b32_e32 v2, s37, v5
	s_delay_alu instid0(VALU_DEP_4)
	v_lshrrev_b32_e32 v3, s37, v3
	v_lshrrev_b32_e32 v5, 1, v232
	s_wait_alu 0xfffe
	v_mad_u32_u24 v143, 0x90, v231, s12
	v_mul_lo_u32 v4, v4, s24
	v_mul_lo_u32 v2, v2, s24
	;; [unrolled: 1-line block ×3, first 2 shown]
	v_and_b32_e32 v139, 0x1f8, v5
	s_movk_i32 s12, 0x900
	s_movk_i32 s13, 0x480
	s_wait_alu 0xfffe
	v_mad_u32_u24 v144, 0x90, v231, s12
	s_movk_i32 s12, 0xb40
	v_sub_nc_u32_e32 v4, v10, v4
	v_sub_nc_u32_e32 v2, v6, v2
	v_sub_nc_u32_e32 v3, v11, v3
	v_mad_u32_u24 v142, 0x90, v231, s13
	s_lshl_b32 s13, s26, 4
	v_mad_co_i64_i32 v[102:103], null, v4, s38, 0
	v_mad_co_i64_i32 v[108:109], null, v2, s38, 0
	v_lshlrev_b32_e32 v2, 2, v232
	v_mad_co_i64_i32 v[106:107], null, v3, s38, 0
	v_lshrrev_b32_e32 v3, 3, v232
	v_lshl_add_u32 v4, v231, 3, v1
	s_delay_alu instid0(VALU_DEP_4)
	v_and_or_b32 v88, v2, 12, 32
	v_and_b32_e32 v98, 28, v2
	v_and_or_b32 v2, v232, 14, v138
	v_lshl_add_u32 v3, v231, 2, v3
	s_wait_alu 0xfffe
	v_mad_u32_u24 v152, 0x90, v231, s12
	s_movk_i32 s12, 0xd80
	v_add_nc_u32_e32 v5, 18, v139
	v_lshrrev_b32_e32 v2, 1, v2
	v_mul_lo_u32 v112, s26, v3
	v_mul_lo_u32 v76, s34, v3
	v_mad_u32_u24 v150, v3, s7, 0xd00
	s_movk_i32 s7, 0x2700
	v_mul_u32_u24_e32 v174, 0x90, v2
	v_add_nc_u32_e32 v2, 16, v139
	s_wait_alu 0xfffe
	v_mad_u32_u24 v162, 0xd0, v3, s7
	s_lshl_b32 s7, s34, 4
	v_add_nc_u32_e32 v114, s13, v112
	s_wait_alu 0xfffe
	v_add_nc_u32_e32 v78, s7, v76
	v_lshrrev_b32_e32 v151, 1, v2
	v_add_nc_u32_e32 v2, 32, v139
	v_mad_u32_u24 v147, 0x90, v231, s12
	s_movk_i32 s12, 0xfc0
	v_mul_lo_u32 v104, s26, v4
	v_mul_lo_u32 v84, s34, v4
	v_lshrrev_b32_e32 v136, 1, v2
	v_add_nc_u32_e32 v2, 50, v139
	s_wait_alu 0xfffe
	v_mad_u32_u24 v148, 0x90, v231, s12
	s_movk_i32 s12, 0x1a00
	v_mul_u32_u24_e32 v159, 0xd0, v3
	v_add_nc_u32_e32 v116, s13, v114
	s_wait_alu 0xfffe
	v_mad_u32_u24 v161, 0xd0, v3, s12
	v_add_nc_u32_e32 v6, 20, v139
	v_add_nc_u32_e32 v7, 22, v139
	v_lshrrev_b32_e32 v153, 1, v5
	v_add_nc_u32_e32 v5, 34, v139
	v_add_nc_u32_e32 v3, 54, v139
	v_lshrrev_b32_e32 v176, 1, v2
	v_add_nc_u32_e32 v80, s7, v78
	v_lshlrev_b32_e32 v2, 1, v1
	v_mul_u32_u24_e32 v157, 0xd0, v4
	v_lshl_add_u32 v110, s26, 5, v104
	v_mad_u32_u24 v149, 0xd0, v4, s12
	v_add_nc_u32_e32 v118, s13, v116
	v_lshrrev_b32_e32 v135, 1, v6
	v_lshrrev_b32_e32 v134, 1, v7
	v_add_nc_u32_e32 v6, 36, v139
	v_add_nc_u32_e32 v7, 38, v139
	;; [unrolled: 1-line block ×3, first 2 shown]
	v_lshrrev_b32_e32 v172, 1, v5
	v_add_nc_u32_e32 v5, 52, v139
	v_mbcnt_lo_u32_b32 v154, -1, 0
	v_lshrrev_b32_e32 v178, 1, v3
	v_lshl_add_u32 v86, s34, 5, v84
	v_add_nc_u32_e32 v82, s7, v80
	v_and_b32_e32 v3, 0x1f8, v2
	v_or_b32_e32 v4, 6, v2
	v_or_b32_e32 v2, 7, v2
	v_mul_u32_u24_e32 v146, 0x90, v231
	v_ashrrev_i32_e32 v105, 31, v104
	v_ashrrev_i32_e32 v111, 31, v110
	;; [unrolled: 1-line block ×6, first 2 shown]
	v_lshrrev_b32_e32 v160, 1, v139
	v_or_b32_e32 v163, 3, v1
	v_lshrrev_b32_e32 v158, 1, v6
	v_lshrrev_b32_e32 v156, 1, v7
	;; [unrolled: 1-line block ×4, first 2 shown]
	v_xor_b32_e32 v155, 16, v154
	v_ashrrev_i32_e32 v85, 31, v84
	v_ashrrev_i32_e32 v87, 31, v86
	v_ashrrev_i32_e32 v77, 31, v76
	v_ashrrev_i32_e32 v79, 31, v78
	v_ashrrev_i32_e32 v81, 31, v80
	v_ashrrev_i32_e32 v83, 31, v82
	v_mul_u32_u24_e32 v124, 0xd0, v3
	v_mul_u32_u24_e32 v235, 0xd0, v4
	;; [unrolled: 1-line block ×3, first 2 shown]
	s_mov_b32 s18, 0
	s_branch .LBB14_581
.LBB14_578:
                                        ; implicit-def: $sgpr48_sgpr49
	s_load_b64 s[46:47], s[64:65], 0x74
	v_cvt_f32_u32_e32 v1, s22
	s_branch .LBB14_2
.LBB14_579:
                                        ; implicit-def: $sgpr54_sgpr55
	s_load_b64 s[36:37], s[64:65], 0x5c
	s_branch .LBB14_5
.LBB14_580:
                                        ; implicit-def: $vgpr146
                                        ; implicit-def: $vgpr92_vgpr93
                                        ; implicit-def: $vgpr131
                                        ; implicit-def: $vgpr90_vgpr91
                                        ; implicit-def: $vgpr142
                                        ; implicit-def: $vgpr94_vgpr95
                                        ; implicit-def: $vgpr143
                                        ; implicit-def: $vgpr96_vgpr97
                                        ; implicit-def: $vgpr144
                                        ; implicit-def: $vgpr100_vgpr101
                                        ; implicit-def: $vgpr152
                                        ; implicit-def: $vgpr102_vgpr103
                                        ; implicit-def: $vgpr147
                                        ; implicit-def: $vgpr106_vgpr107
                                        ; implicit-def: $vgpr148
                                        ; implicit-def: $vgpr108_vgpr109
                                        ; implicit-def: $vgpr50_vgpr51
                                        ; implicit-def: $vgpr157
                                        ; implicit-def: $vgpr104_vgpr105
                                        ; implicit-def: $vgpr88
                                        ; implicit-def: $vgpr149
                                        ; implicit-def: $vgpr110_vgpr111
                                        ; implicit-def: $vgpr159
                                        ; implicit-def: $vgpr98
                                        ; implicit-def: $vgpr112_vgpr113
                                        ; implicit-def: $vgpr150
                                        ; implicit-def: $vgpr114_vgpr115
                                        ; implicit-def: $vgpr161
                                        ; implicit-def: $vgpr116_vgpr117
                                        ; implicit-def: $vgpr162
                                        ; implicit-def: $vgpr118_vgpr119
                                        ; implicit-def: $vgpr139
                                        ; implicit-def: $vgpr138
                                        ; implicit-def: $vgpr174
                                        ; implicit-def: $vgpr160
                                        ; implicit-def: $vgpr163
                                        ; implicit-def: $vgpr151
                                        ; implicit-def: $vgpr153
                                        ; implicit-def: $vgpr135
                                        ; implicit-def: $vgpr134
                                        ; implicit-def: $vgpr136
                                        ; implicit-def: $vgpr172
                                        ; implicit-def: $vgpr158
                                        ; implicit-def: $vgpr156
                                        ; implicit-def: $vgpr173
                                        ; implicit-def: $vgpr176
                                        ; implicit-def: $vgpr177
                                        ; implicit-def: $vgpr178
                                        ; implicit-def: $vgpr154
                                        ; implicit-def: $vgpr155
                                        ; implicit-def: $vgpr236
                                        ; implicit-def: $vgpr48_vgpr49
                                        ; implicit-def: $vgpr84_vgpr85
                                        ; implicit-def: $vgpr86_vgpr87
                                        ; implicit-def: $vgpr76_vgpr77
                                        ; implicit-def: $vgpr78_vgpr79
                                        ; implicit-def: $vgpr80_vgpr81
                                        ; implicit-def: $vgpr82_vgpr83
                                        ; implicit-def: $vgpr124
                                        ; implicit-def: $vgpr235
                                        ; implicit-def: $vgpr75
.LBB14_581:
	v_lshlrev_b32_e32 v179, 1, v0
	s_add_nc_u64 s[10:11], s[10:11], s[0:1]
	s_add_nc_u64 s[12:13], s[14:15], s[8:9]
	s_wait_alu 0xfffe
	s_and_not1_b32 vcc_lo, exec_lo, s18
	s_add_nc_u64 s[8:9], s[16:17], s[2:3]
	s_wait_alu 0xfffe
	s_cbranch_vccnz .LBB14_585
; %bb.582:
	v_dual_mov_b32 v89, 0 :: v_dual_add_nc_u32 v0, s6, v231
	v_add_nc_u32_e32 v2, s6, v130
	v_add_nc_u32_e32 v5, s6, v129
	v_mbcnt_lo_u32_b32 v154, -1, 0
	s_delay_alu instid0(VALU_DEP_4)
	v_mul_hi_u32 v3, s36, v0
	v_mov_b32_e32 v99, v89
	v_mul_hi_u32 v4, s36, v2
	v_mov_b32_e32 v140, v89
	v_mul_hi_u32 v6, s36, v5
	v_xor_b32_e32 v155, 16, v154
	v_add_nc_u32_e32 v7, s6, v128
	v_add_co_u32 v130, s0, s12, v179
	v_add_nc_u32_e32 v3, v0, v3
	v_add_nc_u32_e32 v4, v2, v4
	v_cmp_gt_i32_e32 vcc_lo, 32, v155
	v_add_nc_u32_e32 v6, v5, v6
	v_mul_hi_u32 v8, s36, v7
	v_lshrrev_b32_e32 v3, s37, v3
	v_lshrrev_b32_e32 v4, s37, v4
	s_wait_alu 0xf1ff
	v_add_co_ci_u32_e64 v180, null, s13, 0, s0
	v_lshrrev_b32_e32 v6, s37, v6
	v_mul_lo_u32 v3, v3, s24
	v_mul_lo_u32 v4, v4, s24
	s_movk_i32 s0, 0x240
	v_dual_mov_b32 v12, v89 :: v_dual_add_nc_u32 v9, s6, v233
	s_wait_alu 0xfffe
	v_mad_u32_u24 v11, 0x90, v231, s0
	v_dual_mov_b32 v13, v89 :: v_dual_add_nc_u32 v8, v7, v8
	v_sub_nc_u32_e32 v0, v0, v3
	v_mul_lo_u32 v3, v6, s24
	v_sub_nc_u32_e32 v2, v2, v4
	s_movk_i32 s0, 0x480
	v_add_nc_u32_e32 v10, s6, v127
	v_lshrrev_b32_e32 v4, s37, v8
	v_mad_co_i64_i32 v[92:93], null, v0, s38, 0
	v_mad_co_i64_i32 v[90:91], null, v2, s38, 0
	v_sub_nc_u32_e32 v2, v5, v3
	s_wait_alu 0xfffe
	v_mad_u32_u24 v3, 0x90, v231, s0
	scratch_store_b32 off, v11, off offset:4 ; 4-byte Folded Spill
	v_mul_hi_u32 v11, s36, v9
	v_mul_hi_u32 v0, s36, v10
	v_dual_mov_b32 v14, v89 :: v_dual_add_nc_u32 v5, s6, v126
	scratch_store_b32 off, v3, off offset:8 ; 4-byte Folded Spill
	v_mul_lo_u32 v3, v4, s24
	v_mad_co_i64_i32 v[94:95], null, v2, s38, 0
	v_add_nc_u32_e32 v4, v9, v11
	v_dual_mov_b32 v15, v89 :: v_dual_add_nc_u32 v0, v10, v0
	v_dual_mov_b32 v17, v89 :: v_dual_add_nc_u32 v6, s6, v125
	s_delay_alu instid0(VALU_DEP_3)
	v_lshrrev_b32_e32 v2, s37, v4
	v_mul_hi_u32 v4, s36, v5
	v_sub_nc_u32_e32 v3, v7, v3
	v_lshrrev_b32_e32 v0, s37, v0
	v_mul_hi_u32 v7, s36, v6
	v_mul_lo_u32 v2, v2, s24
	s_movk_i32 s0, 0x6c0
	v_mad_co_i64_i32 v[96:97], null, v3, s38, 0
	v_add_nc_u32_e32 v4, v5, v4
	v_mul_lo_u32 v0, v0, s24
	s_wait_alu 0xfffe
	v_mad_u32_u24 v8, 0x90, v231, s0
	v_dual_mov_b32 v16, v89 :: v_dual_add_nc_u32 v3, v6, v7
	v_lshrrev_b32_e32 v4, s37, v4
	s_movk_i32 s0, 0x900
	v_sub_nc_u32_e32 v2, v9, v2
	s_delay_alu instid0(VALU_DEP_3)
	v_lshrrev_b32_e32 v3, s37, v3
	v_sub_nc_u32_e32 v0, v10, v0
	v_mul_lo_u32 v4, v4, s24
	s_wait_alu 0xfffe
	v_mad_u32_u24 v7, 0x90, v231, s0
	s_movk_i32 s0, 0xb40
	v_mad_co_i64_i32 v[100:101], null, v2, s38, 0
	s_wait_alu 0xfffe
	v_mad_u32_u24 v152, 0x90, v231, s0
	s_movk_i32 s0, 0xd80
	v_mul_lo_u32 v2, v3, s24
	v_mad_co_i64_i32 v[102:103], null, v0, s38, 0
	v_dual_mov_b32 v19, v89 :: v_dual_lshlrev_b32 v0, 2, v232
	v_sub_nc_u32_e32 v3, v5, v4
	s_wait_alu 0xfffe
	v_mad_u32_u24 v5, 0x90, v231, s0
	s_movk_i32 s0, 0xfc0
	v_lshl_add_u32 v4, v231, 3, v1
	v_sub_nc_u32_e32 v2, v6, v2
	v_mad_co_i64_i32 v[106:107], null, v3, s38, 0
	s_wait_alu 0xfffe
	v_mad_u32_u24 v3, 0x90, v231, s0
	scratch_store_b32 off, v5, off offset:36 ; 4-byte Folded Spill
	v_dual_mov_b32 v18, v89 :: v_dual_and_b32 v5, 12, v0
	v_mul_u32_u24_e32 v157, 0xd0, v4
	s_movk_i32 s0, 0x1a00
	v_mad_co_i64_i32 v[108:109], null, v2, s38, 0
	s_delay_alu instid0(VALU_DEP_3)
	v_dual_mov_b32 v21, v89 :: v_dual_lshlrev_b32 v6, 2, v5
	v_dual_mov_b32 v23, v89 :: v_dual_and_b32 v98, 28, v0
	s_wait_alu 0xfffe
	v_mad_u32_u24 v0, 0xd0, v4, s0
	scratch_store_b32 off, v3, off offset:40 ; 4-byte Folded Spill
	v_add3_u32 v2, 0, v157, v6
	v_lshrrev_b32_e32 v3, 3, v232
	s_movk_i32 s2, 0xd00
	scratch_store_b32 off, v0, off offset:44 ; 4-byte Folded Spill
	v_lshlrev_b32_e32 v0, 2, v98
	v_dual_mov_b32 v20, v89 :: v_dual_add_nc_u32 v127, 0x80, v2
	v_lshl_add_u32 v3, v231, 2, v3
	v_add_nc_u32_e32 v128, 0x1a80, v2
	v_lshrrev_b32_e32 v2, 1, v232
	v_mul_lo_u32 v104, s26, v4
	v_or_b32_e32 v88, 32, v5
	v_mul_u32_u24_e32 v159, 0xd0, v3
	v_mad_u32_u24 v161, 0xd0, v3, s0
	v_and_b32_e32 v139, 0x1f8, v2
	s_movk_i32 s0, 0x2700
	v_mul_lo_u32 v112, s26, v3
	s_wait_alu 0xfffe
	v_mad_u32_u24 v162, 0xd0, v3, s0
	v_or_b32_e32 v163, 3, v1
	v_mul_lo_u32 v84, s34, v4
	v_add_nc_u32_e32 v4, 54, v139
	v_mul_lo_u32 v76, s34, v3
	v_lshlrev_b32_e32 v1, 1, v1
	v_lshlrev_b32_e32 v191, 2, v5
	v_mov_b32_e32 v5, v89
	v_add3_u32 v129, 0, v159, v0
	v_mad_u32_u24 v0, 0xd0, v3, s2
	s_wait_alu 0xfffd
	v_cndmask_b32_e32 v3, v154, v155, vcc_lo
	v_lshlrev_b32_e32 v138, 4, v231
	v_lshrrev_b32_e32 v178, 1, v4
	v_or_b32_e32 v4, 6, v1
	s_clause 0x1
	scratch_store_b32 off, v7, off offset:16
	scratch_store_b32 off, v0, off offset:48
	v_lshlrev_b32_e32 v187, 2, v3
	v_and_b32_e32 v3, 0x1f8, v1
	v_and_or_b32 v0, v232, 14, v138
	v_add_nc_u32_e32 v6, 18, v139
	s_lshl_b32 s1, s26, 4
	s_lshl_b32 s0, s34, 4
	v_mul_u32_u24_e32 v124, 0xd0, v3
	v_mul_u32_u24_e32 v3, 0xd0, v4
	scratch_store_b32 off, v8, off offset:12 ; 4-byte Folded Spill
	v_lshrrev_b32_e32 v0, 1, v0
	v_lshrrev_b32_e32 v153, 1, v6
	v_add_nc_u32_e32 v6, 32, v139
	s_wait_alu 0xfffe
	v_add_nc_u32_e32 v114, s1, v112
	v_add_nc_u32_e32 v78, s0, v76
	v_mad_u32_u24 v2, 0x90, v0, 0
	v_mul_u32_u24_e32 v174, 0x90, v0
	v_lshrrev_b32_e32 v136, 1, v6
	v_or_b32_e32 v1, 7, v1
	v_add_nc_u32_e32 v80, s0, v78
	v_lshl_add_u32 v6, v6, 1, v2
	v_lshl_add_u32 v110, s26, 5, v104
	;; [unrolled: 1-line block ×3, first 2 shown]
	v_mul_u32_u24_e32 v75, 0xd0, v1
	v_mov_b32_e32 v1, v89
	v_dual_mov_b32 v6, v89 :: v_dual_add_nc_u32 v195, 0x3400, v6
	v_add_nc_u32_e32 v8, 22, v139
	v_add_nc_u32_e32 v0, 16, v139
	;; [unrolled: 1-line block ×5, first 2 shown]
	v_lshrrev_b32_e32 v134, 1, v8
	v_add_nc_u32_e32 v8, 34, v139
	v_lshrrev_b32_e32 v151, 1, v0
	v_lshl_add_u32 v0, v0, 1, v2
	v_add_nc_u32_e32 v10, 38, v139
	v_add_nc_u32_e32 v11, 52, v139
	v_lshrrev_b32_e32 v172, 1, v8
	v_add_nc_u32_e32 v8, 48, v139
	v_lshl_add_u32 v185, v139, 1, v2
	v_lshrrev_b32_e32 v158, 1, v9
	v_lshl_add_u32 v9, v9, 1, v2
	v_lshrrev_b32_e32 v156, 1, v10
	v_add_nc_u32_e32 v10, 50, v139
	v_lshrrev_b32_e32 v173, 1, v8
	v_lshl_add_u32 v8, v8, 1, v2
	v_lshl_add_u32 v86, s34, 5, v84
	v_add_nc_u32_e32 v82, s0, v80
	scratch_store_b32 off, v3, off          ; 4-byte Folded Spill
	v_add3_u32 v189, 0, v3, v137
	v_dual_mov_b32 v0, v89 :: v_dual_add_nc_u32 v193, 0x3400, v0
	v_lshrrev_b32_e32 v135, 1, v7
	v_lshl_add_u32 v7, v7, 1, v2
	v_lshl_add_u32 v2, v11, 1, v2
	v_dual_mov_b32 v3, v89 :: v_dual_add_nc_u32 v118, s1, v116
	v_dual_mov_b32 v126, 0xfeffffff :: v_dual_add_nc_u32 v131, 0, v179
	v_mul_u32_u24_e32 v146, 0x90, v231
	v_ashrrev_i32_e32 v105, 31, v104
	v_ashrrev_i32_e32 v111, 31, v110
	;; [unrolled: 1-line block ×3, first 2 shown]
	v_dual_mov_b32 v22, v89 :: v_dual_add_nc_u32 v181, 0xd00, v129
	v_ashrrev_i32_e32 v115, 31, v114
	v_add_nc_u32_e32 v182, 0x1a00, v129
	v_ashrrev_i32_e32 v117, 31, v116
	v_dual_mov_b32 v4, v89 :: v_dual_add_nc_u32 v183, 0x2700, v129
	v_ashrrev_i32_e32 v119, 31, v118
	v_add3_u32 v184, 0, v141, v145
	v_lshrrev_b32_e32 v160, 1, v139
	v_lshrrev_b32_e32 v176, 1, v10
	;; [unrolled: 1-line block ×3, first 2 shown]
	v_ashrrev_i32_e32 v85, 31, v84
	v_ashrrev_i32_e32 v87, 31, v86
	v_ashrrev_i32_e32 v77, 31, v76
	v_ashrrev_i32_e32 v79, 31, v78
	v_ashrrev_i32_e32 v81, 31, v80
	v_ashrrev_i32_e32 v83, 31, v82
	v_add3_u32 v188, 0, v124, v137
	v_add3_u32 v190, 0, v75, v137
	v_lshlrev_b32_e32 v192, 2, v98
	v_add_nc_u32_e32 v194, 0x3400, v7
	v_add_nc_u32_e32 v196, 0x3400, v9
	;; [unrolled: 1-line block ×4, first 2 shown]
	v_dual_mov_b32 v8, v89 :: v_dual_mov_b32 v9, v89
	v_dual_mov_b32 v10, v89 :: v_dual_mov_b32 v11, v89
	;; [unrolled: 1-line block ×3, first 2 shown]
	s_ashr_i32 s27, s26, 31
	s_ashr_i32 s35, s34, 31
	s_lshl_b32 s14, s94, 6
.LBB14_583:                             ; =>This Inner Loop Header: Depth=1
	s_delay_alu instid0(SALU_CYCLE_1)
	s_ashr_i32 s15, s14, 31
	v_lshlrev_b64_e32 v[48:49], 1, v[92:93]
	s_lshl_b64 s[0:1], s[14:15], 1
	v_lshlrev_b64_e32 v[50:51], 1, v[90:91]
	s_wait_alu 0xfffe
	v_add_co_u32 v64, vcc_lo, v130, s0
	s_wait_alu 0xfffd
	v_add_co_ci_u32_e64 v65, null, s1, v180, vcc_lo
	v_lshlrev_b64_e32 v[52:53], 1, v[94:95]
	s_delay_alu instid0(VALU_DEP_3)
	v_add_co_u32 v48, vcc_lo, v64, v48
	v_lshlrev_b64_e32 v[54:55], 1, v[96:97]
	s_wait_alu 0xfffd
	v_add_co_ci_u32_e64 v49, null, v65, v49, vcc_lo
	v_add_co_u32 v50, vcc_lo, v64, v50
	v_lshlrev_b64_e32 v[56:57], 1, v[100:101]
	s_wait_alu 0xfffd
	v_add_co_ci_u32_e64 v51, null, v65, v51, vcc_lo
	v_add_co_u32 v52, vcc_lo, v64, v52
	v_lshlrev_b64_e32 v[58:59], 1, v[102:103]
	s_wait_alu 0xfffd
	v_add_co_ci_u32_e64 v53, null, v65, v53, vcc_lo
	v_add_co_u32 v54, vcc_lo, v64, v54
	v_lshlrev_b64_e32 v[60:61], 1, v[106:107]
	s_wait_alu 0xfffd
	v_add_co_ci_u32_e64 v55, null, v65, v55, vcc_lo
	v_add_co_u32 v56, vcc_lo, v64, v56
	v_lshlrev_b64_e32 v[62:63], 1, v[108:109]
	s_wait_alu 0xfffd
	v_add_co_ci_u32_e64 v57, null, v65, v57, vcc_lo
	v_add_co_u32 v58, vcc_lo, v64, v58
	s_wait_alu 0xfffd
	v_add_co_ci_u32_e64 v59, null, v65, v59, vcc_lo
	v_add_co_u32 v60, vcc_lo, v64, v60
	s_wait_alu 0xfffd
	v_add_co_ci_u32_e64 v61, null, v65, v61, vcc_lo
	;; [unrolled: 3-line block ×3, first 2 shown]
	s_clause 0x6
	global_load_b32 v48, v[48:49], off
	global_load_b32 v49, v[50:51], off
	;; [unrolled: 1-line block ×7, first 2 shown]
	v_add_nc_u32_e32 v55, v131, v146
	s_mul_u64 s[0:1], s[14:15], s[26:27]
	s_add_co_i32 s94, s94, 1
	s_wait_alu 0xfffe
	s_lshl_b64 s[0:1], s[0:1], 2
	v_add_nc_u32_e32 v56, 0x3400, v55
	s_wait_alu 0xfffe
	s_add_nc_u64 s[0:1], s[10:11], s[0:1]
	s_wait_loadcnt 0x5
	ds_store_2addr_b32 v56, v48, v49 offset1:144
	v_add_nc_u32_e32 v48, 0x3800, v55
	v_add_nc_u32_e32 v49, v131, v152
	s_wait_loadcnt 0x3
	ds_store_2addr_b32 v48, v50, v51 offset0:32 offset1:176
	global_load_b32 v48, v[58:59], off
	v_add_nc_u32_e32 v50, 0x3400, v49
	s_wait_loadcnt 0x0
	ds_store_2addr_b32 v50, v48, v52 offset1:144
	ds_store_b32 v55, v54 offset:15616
	ds_store_b32 v49, v53 offset:14464
	v_lshlrev_b64_e32 v[48:49], 2, v[104:105]
	s_wait_alu 0xfffe
	s_delay_alu instid0(VALU_DEP_1) | instskip(SKIP_1) | instid1(VALU_DEP_2)
	v_add_co_u32 v50, vcc_lo, s0, v48
	s_wait_alu 0xfffd
	v_add_co_ci_u32_e64 v51, null, s1, v49, vcc_lo
	v_lshlrev_b64_e32 v[48:49], 2, v[110:111]
	s_delay_alu instid0(VALU_DEP_1) | instskip(SKIP_1) | instid1(VALU_DEP_2)
	v_add_co_u32 v52, vcc_lo, s0, v48
	s_wait_alu 0xfffd
	v_add_co_ci_u32_e64 v53, null, s1, v49, vcc_lo
	v_add_co_u32 v48, vcc_lo, v50, v191
	s_wait_alu 0xfffd
	v_add_co_ci_u32_e64 v49, null, 0, v51, vcc_lo
	;; [unrolled: 3-line block ×3, first 2 shown]
	s_clause 0x1
	global_load_b128 v[48:51], v[48:49], off offset:128
	global_load_b128 v[52:55], v[52:53], off offset:128
	s_wait_loadcnt 0x1
	ds_store_b128 v127, v[48:51]
	s_wait_loadcnt 0x0
	ds_store_b128 v128, v[52:55]
	v_lshlrev_b64_e32 v[48:49], 2, v[112:113]
	s_delay_alu instid0(VALU_DEP_1) | instskip(SKIP_1) | instid1(VALU_DEP_2)
	v_add_co_u32 v50, vcc_lo, s0, v48
	s_wait_alu 0xfffd
	v_add_co_ci_u32_e64 v51, null, s1, v49, vcc_lo
	v_lshlrev_b64_e32 v[48:49], 2, v[114:115]
	s_delay_alu instid0(VALU_DEP_1) | instskip(SKIP_1) | instid1(VALU_DEP_2)
	v_add_co_u32 v52, vcc_lo, s0, v48
	s_wait_alu 0xfffd
	v_add_co_ci_u32_e64 v53, null, s1, v49, vcc_lo
	v_add_co_u32 v48, vcc_lo, v50, v192
	s_wait_alu 0xfffd
	v_add_co_ci_u32_e64 v49, null, 0, v51, vcc_lo
	;; [unrolled: 3-line block ×3, first 2 shown]
	s_clause 0x1
	global_load_b128 v[48:51], v[48:49], off
	global_load_b128 v[52:55], v[52:53], off
	s_wait_loadcnt 0x1
	ds_store_b128 v129, v[48:51]
	s_wait_loadcnt 0x0
	ds_store_b128 v181, v[52:55]
	v_lshlrev_b64_e32 v[48:49], 2, v[116:117]
	s_delay_alu instid0(VALU_DEP_1) | instskip(SKIP_1) | instid1(VALU_DEP_2)
	v_add_co_u32 v50, vcc_lo, s0, v48
	s_wait_alu 0xfffd
	v_add_co_ci_u32_e64 v51, null, s1, v49, vcc_lo
	v_lshlrev_b64_e32 v[48:49], 2, v[118:119]
	s_delay_alu instid0(VALU_DEP_1) | instskip(SKIP_1) | instid1(VALU_DEP_2)
	v_add_co_u32 v52, vcc_lo, s0, v48
	s_wait_alu 0xfffd
	v_add_co_ci_u32_e64 v53, null, s1, v49, vcc_lo
	v_add_co_u32 v48, vcc_lo, v50, v192
	s_wait_alu 0xfffd
	v_add_co_ci_u32_e64 v49, null, 0, v51, vcc_lo
	;; [unrolled: 3-line block ×3, first 2 shown]
	s_clause 0x1
	global_load_b128 v[48:51], v[48:49], off
	global_load_b128 v[52:55], v[52:53], off
	s_mul_u64 s[0:1], s[14:15], s[34:35]
	s_add_co_i32 s14, s14, 64
	s_wait_alu 0xfffe
	s_lshl_b64 s[0:1], s[0:1], 2
	s_wait_loadcnt 0x1
	ds_store_b128 v182, v[48:51]
	s_wait_loadcnt 0x0
	ds_store_b128 v183, v[52:55]
	s_wait_storecnt_dscnt 0x0
	s_barrier_signal -1
	s_barrier_wait -1
	global_inv scope:SCOPE_SE
	ds_load_b128 v[48:51], v184
	ds_load_b128 v[62:65], v184 offset:32
	v_add_nc_u32_e32 v52, 0x3400, v185
	s_wait_alu 0xfffe
	s_add_nc_u64 s[0:1], s[8:9], s[0:1]
	s_wait_dscnt 0x1
	v_wmma_f32_16x16x16_f16 v[54:61], v[48:51], v[44:47], 0
	s_wait_dscnt 0x0
	s_delay_alu instid0(VALU_DEP_1)
	v_wmma_f32_16x16x16_f16 v[54:61], v[62:65], v[40:43], v[54:61]
	ds_load_b128 v[48:51], v184 offset:64
	ds_load_b128 v[62:65], v184 offset:96
	s_wait_dscnt 0x1
	v_wmma_f32_16x16x16_f16 v[54:61], v[48:51], v[36:39], v[54:61]
	s_wait_dscnt 0x0
	s_delay_alu instid0(VALU_DEP_1)
	v_wmma_f32_16x16x16_f16 v[54:61], v[62:65], v[32:35], v[54:61]
	ds_load_b128 v[48:51], v184 offset:128
	ds_load_b128 v[62:65], v184 offset:160
	s_wait_dscnt 0x1
	v_wmma_f32_16x16x16_f16 v[54:61], v[48:51], v[28:31], v[54:61]
	ds_load_b128 v[48:51], v184 offset:3328
	ds_load_b128 v[67:70], v184 offset:3360
	;; [unrolled: 1-line block ×18, first 2 shown]
	s_wait_loadcnt_dscnt 0x0
	s_barrier_signal -1
	s_barrier_wait -1
	v_wmma_f32_16x16x16_f16 v[54:61], v[62:65], v[24:27], v[54:61]
	global_inv scope:SCOPE_SE
	ds_load_2addr_b32 v[52:53], v52 offset1:1
	ds_load_2addr_b32 v[215:216], v193 offset1:1
	ds_load_b32 v62, v186 offset:13312
	ds_load_b32 v65, v185 offset:13320
	s_wait_dscnt 0x3
	v_cvt_f32_f16_e32 v64, v53
	v_lshrrev_b32_e32 v53, 16, v53
	s_wait_dscnt 0x1
	v_lshrrev_b32_e32 v125, 16, v62
	s_wait_dscnt 0x0
	v_cvt_f32_f16_e32 v66, v65
	v_lshrrev_b32_e32 v65, 16, v65
	v_cvt_f32_f16_e32 v63, v52
	v_lshrrev_b32_e32 v52, 16, v52
	v_cvt_f32_f16_e32 v62, v62
	v_cvt_f32_f16_e32 v53, v53
	;; [unrolled: 1-line block ×3, first 2 shown]
	v_cvt_f32_f16_e64 v217, v125
	v_cvt_f32_f16_e32 v52, v52
	v_add_f32_e32 v54, v54, v63
	s_delay_alu instid0(VALU_DEP_4) | instskip(SKIP_4) | instid1(VALU_DEP_2)
	v_dual_add_f32 v56, v56, v64 :: v_dual_add_f32 v125, v59, v65
	v_dual_add_f32 v226, v57, v53 :: v_dual_add_f32 v223, v58, v66
	;; [unrolled: 1-line block ×3, first 2 shown]
	v_wmma_f32_16x16x16_f16 v[59:66], v[48:51], v[44:47], 0
	v_add_f32_e32 v55, v55, v52
	v_wmma_f32_16x16x16_f16 v[59:66], v[67:70], v[40:43], v[59:66]
	ds_load_2addr_b32 v[48:49], v194 offset1:1
	ds_load_2addr_b32 v[50:51], v195 offset1:1
	;; [unrolled: 1-line block ×4, first 2 shown]
	v_lshrrev_b32_e32 v70, 16, v215
	v_cvt_f32_f16_e64 v69, v215
	v_wmma_f32_16x16x16_f16 v[59:66], v[71:74], v[36:39], v[59:66]
	v_lshrrev_b32_e32 v72, 16, v216
	v_cvt_f32_f16_e64 v71, v216
	v_cvt_f32_f16_e32 v70, v70
	s_delay_alu instid0(VALU_DEP_4) | instskip(NEXT) | instid1(VALU_DEP_4)
	v_wmma_f32_16x16x16_f16 v[59:66], v[199:202], v[32:35], v[59:66]
	v_cvt_f32_f16_e32 v72, v72
	s_delay_alu instid0(VALU_DEP_2)
	v_wmma_f32_16x16x16_f16 v[59:66], v[203:206], v[28:31], v[59:66]
	s_wait_dscnt 0x3
	v_cvt_f32_f16_e32 v73, v48
	v_lshrrev_b32_e32 v48, 16, v48
	v_lshrrev_b32_e32 v74, 16, v49
	v_wmma_f32_16x16x16_f16 v[59:66], v[207:210], v[24:27], v[59:66]
	v_cvt_f32_f16_e32 v49, v49
	s_delay_alu instid0(VALU_DEP_4) | instskip(NEXT) | instid1(VALU_DEP_4)
	v_cvt_f32_f16_e32 v48, v48
	v_cvt_f32_f16_e32 v74, v74
	s_delay_alu instid0(VALU_DEP_4) | instskip(SKIP_1) | instid1(VALU_DEP_3)
	v_dual_add_f32 v215, v59, v69 :: v_dual_add_f32 v216, v60, v70
	v_dual_add_f32 v217, v61, v71 :: v_dual_add_f32 v222, v63, v73
	v_add_f32_e32 v219, v66, v74
	v_add_f32_e32 v221, v64, v48
	s_wait_dscnt 0x2
	v_cvt_f32_f16_e32 v48, v50
	v_add_f32_e32 v220, v65, v49
	v_lshrrev_b32_e32 v49, 16, v50
	v_cvt_f32_f16_e32 v50, v51
	v_add_f32_e32 v218, v62, v72
	v_wmma_f32_16x16x16_f16 v[59:66], v[211:214], v[44:47], 0
	v_lshrrev_b32_e32 v51, 16, v51
	s_wait_dscnt 0x1
	v_cvt_f32_f16_e32 v69, v52
	v_lshrrev_b32_e32 v52, 16, v52
	v_wmma_f32_16x16x16_f16 v[59:66], v[227:230], v[40:43], v[59:66]
	v_lshrrev_b32_e32 v70, 16, v53
	v_cvt_f32_f16_e32 v53, v53
	v_cvt_f32_f16_e32 v49, v49
	;; [unrolled: 1-line block ×3, first 2 shown]
	v_wmma_f32_16x16x16_f16 v[59:66], v[231:234], v[36:39], v[59:66]
	v_cvt_f32_f16_e32 v52, v52
	v_cvt_f32_f16_e32 v70, v70
	s_delay_alu instid0(VALU_DEP_3) | instskip(NEXT) | instid1(VALU_DEP_1)
	v_wmma_f32_16x16x16_f16 v[59:66], v[235:238], v[32:35], v[59:66]
	v_wmma_f32_16x16x16_f16 v[59:66], v[239:242], v[28:31], v[59:66]
	s_delay_alu instid0(VALU_DEP_1) | instskip(NEXT) | instid1(VALU_DEP_1)
	v_wmma_f32_16x16x16_f16 v[59:66], v[243:246], v[24:27], v[59:66]
	v_dual_add_f32 v207, v59, v48 :: v_dual_add_f32 v208, v60, v49
	s_delay_alu instid0(VALU_DEP_2) | instskip(NEXT) | instid1(VALU_DEP_3)
	v_add_f32_e32 v211, v66, v70
	v_dual_add_f32 v209, v61, v50 :: v_dual_add_f32 v210, v62, v51
	s_delay_alu instid0(VALU_DEP_4)
	v_add_f32_e32 v213, v64, v52
	s_wait_dscnt 0x0
	v_cvt_f32_f16_e32 v50, v67
	v_add_f32_e32 v212, v65, v53
	v_cvt_f32_f16_e32 v52, v68
	v_add_f32_e32 v214, v63, v69
	v_wmma_f32_16x16x16_f16 v[59:66], v[247:250], v[44:47], 0
	ds_load_2addr_b32 v[48:49], v198 offset1:1
	v_lshrrev_b32_e32 v51, 16, v67
	v_lshrrev_b32_e32 v53, 16, v68
	v_wmma_f32_16x16x16_f16 v[59:66], v[251:254], v[40:43], v[59:66]
	s_delay_alu instid0(VALU_DEP_3) | instskip(NEXT) | instid1(VALU_DEP_3)
	v_cvt_f32_f16_e32 v51, v51
	v_cvt_f32_f16_e32 v53, v53
	s_delay_alu instid0(VALU_DEP_3) | instskip(NEXT) | instid1(VALU_DEP_1)
	v_wmma_f32_16x16x16_f16 v[59:66], v[147:150], v[36:39], v[59:66]
	v_wmma_f32_16x16x16_f16 v[59:66], v[141:144], v[32:35], v[59:66]
	s_delay_alu instid0(VALU_DEP_1)
	v_wmma_f32_16x16x16_f16 v[59:66], v[164:167], v[28:31], v[59:66]
	s_wait_dscnt 0x0
	v_cvt_f32_f16_e32 v67, v48
	v_lshrrev_b32_e32 v48, 16, v48
	v_lshrrev_b32_e32 v68, 16, v49
	v_wmma_f32_16x16x16_f16 v[59:66], v[168:171], v[24:27], v[59:66]
	v_cvt_f32_f16_e32 v49, v49
	s_delay_alu instid0(VALU_DEP_4) | instskip(NEXT) | instid1(VALU_DEP_4)
	v_cvt_f32_f16_e32 v48, v48
	v_cvt_f32_f16_e32 v68, v68
	s_delay_alu instid0(VALU_DEP_4) | instskip(NEXT) | instid1(VALU_DEP_4)
	v_add_f32_e32 v202, v62, v53
	v_dual_add_f32 v204, v65, v49 :: v_dual_add_f32 v199, v59, v50
	s_delay_alu instid0(VALU_DEP_4)
	v_add_f32_e32 v205, v64, v48
	v_lshlrev_b64_e32 v[48:49], 2, v[84:85]
	v_dual_add_f32 v200, v60, v51 :: v_dual_add_f32 v203, v66, v68
	v_lshlrev_b64_e32 v[50:51], 2, v[86:87]
	v_dual_add_f32 v201, v61, v52 :: v_dual_add_f32 v206, v63, v67
	s_wait_alu 0xfffe
	s_delay_alu instid0(VALU_DEP_4)
	v_add_co_u32 v48, vcc_lo, s0, v48
	s_wait_alu 0xfffd
	v_add_co_ci_u32_e64 v49, null, s1, v49, vcc_lo
	v_add_co_u32 v50, vcc_lo, s0, v50
	s_wait_alu 0xfffd
	v_add_co_ci_u32_e64 v51, null, s1, v51, vcc_lo
	;; [unrolled: 3-line block ×4, first 2 shown]
	s_clause 0x1
	global_load_b128 v[48:51], v[48:49], off offset:128
	global_load_b128 v[59:62], v[52:53], off offset:128
	s_wait_loadcnt 0x1
	ds_store_b128 v127, v[48:51]
	s_wait_loadcnt 0x0
	ds_store_b128 v128, v[59:62]
	v_lshlrev_b64_e32 v[48:49], 2, v[76:77]
	s_delay_alu instid0(VALU_DEP_1) | instskip(SKIP_1) | instid1(VALU_DEP_2)
	v_add_co_u32 v50, vcc_lo, s0, v48
	s_wait_alu 0xfffd
	v_add_co_ci_u32_e64 v51, null, s1, v49, vcc_lo
	v_lshlrev_b64_e32 v[48:49], 2, v[78:79]
	s_delay_alu instid0(VALU_DEP_1) | instskip(SKIP_1) | instid1(VALU_DEP_2)
	v_add_co_u32 v52, vcc_lo, s0, v48
	s_wait_alu 0xfffd
	v_add_co_ci_u32_e64 v53, null, s1, v49, vcc_lo
	v_add_co_u32 v48, vcc_lo, v50, v192
	s_wait_alu 0xfffd
	v_add_co_ci_u32_e64 v49, null, 0, v51, vcc_lo
	;; [unrolled: 3-line block ×3, first 2 shown]
	s_clause 0x1
	global_load_b128 v[48:51], v[48:49], off
	global_load_b128 v[59:62], v[52:53], off
	s_wait_loadcnt 0x1
	ds_store_b128 v129, v[48:51]
	s_wait_loadcnt 0x0
	ds_store_b128 v181, v[59:62]
	v_lshlrev_b64_e32 v[48:49], 2, v[80:81]
	s_delay_alu instid0(VALU_DEP_1) | instskip(SKIP_1) | instid1(VALU_DEP_2)
	v_add_co_u32 v50, vcc_lo, s0, v48
	s_wait_alu 0xfffd
	v_add_co_ci_u32_e64 v51, null, s1, v49, vcc_lo
	v_lshlrev_b64_e32 v[48:49], 2, v[82:83]
	s_delay_alu instid0(VALU_DEP_1) | instskip(SKIP_1) | instid1(VALU_DEP_2)
	v_add_co_u32 v52, vcc_lo, s0, v48
	s_wait_alu 0xfffd
	v_add_co_ci_u32_e64 v53, null, s1, v49, vcc_lo
	v_add_co_u32 v48, vcc_lo, v50, v192
	s_wait_alu 0xfffd
	v_add_co_ci_u32_e64 v49, null, 0, v51, vcc_lo
	;; [unrolled: 3-line block ×3, first 2 shown]
	s_clause 0x1
	global_load_b128 v[48:51], v[48:49], off
	global_load_b128 v[59:62], v[52:53], off
	s_wait_loadcnt 0x1
	ds_store_b128 v182, v[48:51]
	s_wait_loadcnt 0x0
	ds_store_b128 v183, v[59:62]
	v_add_nc_u32_e32 v48, 0x200, v188
	s_wait_dscnt 0x0
	s_barrier_signal -1
	s_barrier_wait -1
	global_inv scope:SCOPE_SE
	ds_load_2addr_b32 v[48:49], v48 offset0:112 offset1:132
	ds_load_2addr_b32 v[50:51], v188 offset0:208 offset1:224
	ds_load_2addr_b32 v[52:53], v189 offset1:16
	ds_load_2addr_b32 v[59:60], v190 offset1:16
	s_wait_dscnt 0x2
	v_perm_b32 v65, v49, v50, 0x7060302
	v_perm_b32 v73, v49, v50, 0x5040100
	v_add_nc_u32_e32 v49, 0x400, v188
	s_wait_dscnt 0x0
	v_perm_b32 v66, v59, v52, 0x7060302
	v_perm_b32 v74, v59, v52, 0x5040100
	;; [unrolled: 1-line block ×4, first 2 shown]
	ds_load_2addr_b32 v[141:142], v49 offset0:20 offset1:36
	s_wait_dscnt 0x0
	v_perm_b32 v61, v141, v51, 0x7060302
	v_perm_b32 v69, v141, v51, 0x5040100
	ds_load_2addr_b32 v[49:50], v188 offset0:104 offset1:120
	ds_load_2addr_b32 v[51:52], v188 offset0:136 offset1:156
	;; [unrolled: 1-line block ×3, first 2 shown]
	v_perm_b32 v53, v142, v48, 0x5040100
	s_wait_dscnt 0x1
	v_perm_b32 v64, v52, v49, 0x7060302
	v_perm_b32 v72, v52, v49, 0x5040100
	s_wait_dscnt 0x0
	v_perm_b32 v60, v143, v50, 0x7060302
	v_perm_b32 v68, v143, v50, 0x5040100
	;; [unrolled: 1-line block ×5, first 2 shown]
	ds_load_2addr_b32 v[141:142], v188 offset1:16
	ds_load_2addr_b32 v[143:144], v188 offset0:32 offset1:52
	ds_load_2addr_b32 v[147:148], v188 offset0:68 offset1:84
	s_wait_dscnt 0x1
	v_perm_b32 v63, v144, v141, 0x7060302
	v_perm_b32 v71, v144, v141, 0x5040100
	s_wait_dscnt 0x0
	v_perm_b32 v59, v147, v142, 0x7060302
	v_perm_b32 v67, v147, v142, 0x5040100
	v_dual_mov_b32 v141, v126 :: v_dual_add_f32 v126, 0x40051340, v54
	v_add_f32_e32 v142, 0x40051340, v55
	v_perm_b32 v48, v148, v143, 0x7060302
	v_perm_b32 v51, v148, v143, 0x5040100
	v_add_f32_e32 v143, 0x40051340, v226
	s_delay_alu instid0(VALU_DEP_4) | instskip(SKIP_1) | instid1(VALU_DEP_1)
	v_max3_num_f32 v126, v141, v126, v142
	v_add_f32_e32 v142, 0x40051340, v56
	v_max3_num_f32 v126, v126, v142, v143
	v_dual_add_f32 v142, 0x40051340, v223 :: v_dual_add_f32 v143, 0x40051340, v125
	s_delay_alu instid0(VALU_DEP_1) | instskip(SKIP_1) | instid1(VALU_DEP_1)
	v_max3_num_f32 v126, v126, v142, v143
	v_dual_add_f32 v142, 0x40051340, v58 :: v_dual_add_f32 v143, 0x40051340, v57
	v_max3_num_f32 v126, v126, v142, v143
	v_dual_add_f32 v142, 0x40051340, v215 :: v_dual_add_f32 v143, 0x40051340, v216
	s_delay_alu instid0(VALU_DEP_1) | instskip(SKIP_1) | instid1(VALU_DEP_1)
	v_max3_num_f32 v126, v126, v142, v143
	v_dual_add_f32 v142, 0x40051340, v217 :: v_dual_add_f32 v143, 0x40051340, v218
	;; [unrolled: 5-line block ×7, first 2 shown]
	v_max3_num_f32 v126, v126, v142, v143
	ds_bpermute_b32 v142, v187, v126
	s_wait_dscnt 0x0
	v_max_num_f32_e32 v142, v142, v142
	s_delay_alu instid0(VALU_DEP_1) | instskip(NEXT) | instid1(VALU_DEP_1)
	v_max_num_f32_e32 v126, v126, v142
	v_sub_f32_e32 v142, v223, v126
	v_sub_f32_e32 v125, v125, v126
	;; [unrolled: 1-line block ×3, first 2 shown]
	s_delay_alu instid0(VALU_DEP_3) | instskip(NEXT) | instid1(VALU_DEP_3)
	v_mul_f32_e32 v143, 0x3fb8aa3b, v142
	v_cmp_ngt_f32_e32 vcc_lo, 0xc2ce8ed0, v125
	s_delay_alu instid0(VALU_DEP_3) | instskip(SKIP_1) | instid1(VALU_DEP_4)
	v_cmp_ngt_f32_e64 s0, 0xc2ce8ed0, v58
	v_cmp_ngt_f32_e64 s2, 0xc2ce8ed0, v142
	v_fma_f32 v144, 0x3fb8aa3b, v142, -v143
	v_rndne_f32_e32 v147, v143
	s_delay_alu instid0(VALU_DEP_1) | instskip(SKIP_1) | instid1(VALU_DEP_2)
	v_dual_fmac_f32 v144, 0x32a5705f, v142 :: v_dual_sub_f32 v143, v143, v147
	v_cvt_i32_f32_e32 v147, v147
	v_dual_add_f32 v143, v143, v144 :: v_dual_mul_f32 v144, 0x3fb8aa3b, v125
	s_delay_alu instid0(VALU_DEP_1) | instskip(NEXT) | instid1(VALU_DEP_1)
	v_exp_f32_e32 v143, v143
	v_fma_f32 v148, 0x3fb8aa3b, v125, -v144
	v_rndne_f32_e32 v149, v144
	s_delay_alu instid0(VALU_DEP_2) | instskip(NEXT) | instid1(VALU_DEP_2)
	v_fmac_f32_e32 v148, 0x32a5705f, v125
	v_sub_f32_e32 v144, v144, v149
	s_delay_alu instid0(TRANS32_DEP_1) | instskip(NEXT) | instid1(VALU_DEP_2)
	v_ldexp_f32 v143, v143, v147
	v_add_f32_e32 v144, v144, v148
	v_mul_f32_e32 v148, 0x3fb8aa3b, v58
	s_delay_alu instid0(VALU_DEP_2) | instskip(NEXT) | instid1(VALU_DEP_1)
	v_exp_f32_e32 v144, v144
	v_fma_f32 v150, 0x3fb8aa3b, v58, -v148
	v_rndne_f32_e32 v164, v148
	s_delay_alu instid0(VALU_DEP_2) | instskip(NEXT) | instid1(VALU_DEP_2)
	v_fmac_f32_e32 v150, 0x32a5705f, v58
	v_sub_f32_e32 v148, v148, v164
	v_cvt_i32_f32_e32 v147, v164
	s_delay_alu instid0(VALU_DEP_2) | instskip(NEXT) | instid1(VALU_DEP_1)
	v_add_f32_e32 v148, v148, v150
	v_exp_f32_e32 v148, v148
	s_delay_alu instid0(TRANS32_DEP_1) | instskip(SKIP_1) | instid1(VALU_DEP_1)
	v_ldexp_f32 v147, v148, v147
	v_cvt_i32_f32_e32 v148, v149
	v_ldexp_f32 v144, v144, v148
	s_wait_alu 0xfffd
	s_delay_alu instid0(VALU_DEP_1)
	v_cndmask_b32_e32 v144, 0, v144, vcc_lo
	v_cmp_nlt_f32_e32 vcc_lo, 0x42b17218, v125
	s_wait_alu 0xf1ff
	v_cndmask_b32_e64 v125, 0, v147, s0
	v_cmp_nlt_f32_e64 s0, 0x42b17218, v58
	s_wait_alu 0xfffd
	v_cndmask_b32_e32 v225, 0x7f800000, v144, vcc_lo
	v_sub_f32_e32 v57, v57, v126
	v_sub_f32_e32 v54, v54, v126
	s_wait_alu 0xf1ff
	v_cndmask_b32_e64 v125, 0x7f800000, v125, s0
	v_sub_f32_e32 v56, v56, v126
	v_dual_sub_f32 v55, v55, v126 :: v_dual_mul_f32 v150, 0x3fb8aa3b, v57
	v_cmp_ngt_f32_e64 s1, 0xc2ce8ed0, v57
	v_sub_f32_e32 v203, v203, v126
	s_delay_alu instid0(VALU_DEP_4) | instskip(SKIP_4) | instid1(VALU_DEP_2)
	v_cmp_ngt_f32_e64 s0, 0xc2ce8ed0, v56
	v_sub_f32_e32 v207, v207, v126
	v_fma_f32 v165, 0x3fb8aa3b, v57, -v150
	v_rndne_f32_e32 v166, v150
	v_sub_f32_e32 v199, v199, v126
	v_dual_fmac_f32 v165, 0x32a5705f, v57 :: v_dual_sub_f32 v150, v150, v166
	v_cvt_i32_f32_e32 v148, v166
	s_delay_alu instid0(VALU_DEP_2) | instskip(NEXT) | instid1(VALU_DEP_1)
	v_add_f32_e32 v150, v150, v165
	v_exp_f32_e32 v149, v150
	s_delay_alu instid0(TRANS32_DEP_1) | instskip(SKIP_1) | instid1(VALU_DEP_1)
	v_ldexp_f32 v148, v149, v148
	s_wait_alu 0xf1ff
	v_cndmask_b32_e64 v58, 0, v148, s1
	v_cmp_nlt_f32_e64 s1, 0x42b17218, v57
	v_cndmask_b32_e64 v57, 0, v143, s2
	v_cmp_nlt_f32_e64 s2, 0x42b17218, v142
	v_cvt_f16_f32_e64 v143, v225
	s_wait_alu 0xf1ff
	v_cndmask_b32_e64 v223, 0x7f800000, v58, s1
	v_cvt_f16_f32_e32 v58, v125
	v_cndmask_b32_e64 v224, 0x7f800000, v57, s2
	s_delay_alu instid0(VALU_DEP_3) | instskip(NEXT) | instid1(VALU_DEP_2)
	v_cvt_f16_f32_e64 v142, v223
	v_cvt_f16_f32_e64 v57, v224
	s_delay_alu instid0(VALU_DEP_2) | instskip(SKIP_1) | instid1(VALU_DEP_3)
	v_pack_b32_f16 v58, v58, v142
	v_sub_f32_e32 v142, v226, v126
	v_pack_b32_f16 v57, v57, v143
	s_delay_alu instid0(VALU_DEP_2) | instskip(SKIP_1) | instid1(VALU_DEP_2)
	v_mul_f32_e32 v143, 0x3fb8aa3b, v142
	v_cmp_ngt_f32_e32 vcc_lo, 0xc2ce8ed0, v142
	v_fma_f32 v144, 0x3fb8aa3b, v142, -v143
	v_rndne_f32_e32 v147, v143
	s_delay_alu instid0(VALU_DEP_1) | instskip(SKIP_1) | instid1(VALU_DEP_2)
	v_dual_fmac_f32 v144, 0x32a5705f, v142 :: v_dual_sub_f32 v143, v143, v147
	v_cvt_i32_f32_e32 v147, v147
	v_add_f32_e32 v143, v143, v144
	v_mul_f32_e32 v144, 0x3fb8aa3b, v56
	s_delay_alu instid0(VALU_DEP_2) | instskip(NEXT) | instid1(VALU_DEP_1)
	v_exp_f32_e32 v143, v143
	v_fma_f32 v148, 0x3fb8aa3b, v56, -v144
	v_rndne_f32_e32 v149, v144
	s_delay_alu instid0(VALU_DEP_2) | instskip(NEXT) | instid1(VALU_DEP_2)
	v_fmac_f32_e32 v148, 0x32a5705f, v56
	v_sub_f32_e32 v144, v144, v149
	s_delay_alu instid0(TRANS32_DEP_1) | instskip(SKIP_2) | instid1(VALU_DEP_2)
	v_ldexp_f32 v143, v143, v147
	v_cvt_i32_f32_e32 v147, v149
	s_wait_alu 0xfffd
	v_dual_add_f32 v144, v144, v148 :: v_dual_cndmask_b32 v143, 0, v143
	v_cmp_nlt_f32_e32 vcc_lo, 0x42b17218, v142
	s_delay_alu instid0(VALU_DEP_2) | instskip(SKIP_1) | instid1(VALU_DEP_2)
	v_exp_f32_e32 v144, v144
	s_wait_alu 0xfffd
	v_cndmask_b32_e32 v227, 0x7f800000, v143, vcc_lo
	v_cmp_ngt_f32_e32 vcc_lo, 0xc2ce8ed0, v55
	s_delay_alu instid0(TRANS32_DEP_1) | instskip(NEXT) | instid1(VALU_DEP_1)
	v_ldexp_f32 v144, v144, v147
	v_cndmask_b32_e64 v142, 0, v144, s0
	v_cmp_nlt_f32_e64 s0, 0x42b17218, v56
	s_wait_alu 0xf1ff
	s_delay_alu instid0(VALU_DEP_1) | instskip(SKIP_2) | instid1(VALU_DEP_3)
	v_cndmask_b32_e64 v226, 0x7f800000, v142, s0
	v_cvt_f16_f32_e64 v142, v227
	v_cmp_ngt_f32_e64 s0, 0xc2ce8ed0, v54
	v_cvt_f16_f32_e64 v56, v226
	s_delay_alu instid0(VALU_DEP_1) | instskip(SKIP_1) | instid1(VALU_DEP_1)
	v_pack_b32_f16 v56, v56, v142
	v_mul_f32_e32 v142, 0x3fb8aa3b, v55
	v_fma_f32 v143, 0x3fb8aa3b, v55, -v142
	v_rndne_f32_e32 v144, v142
	s_delay_alu instid0(VALU_DEP_1) | instskip(SKIP_1) | instid1(VALU_DEP_2)
	v_dual_fmac_f32 v143, 0x32a5705f, v55 :: v_dual_sub_f32 v142, v142, v144
	v_cvt_i32_f32_e32 v144, v144
	v_dual_add_f32 v142, v142, v143 :: v_dual_mul_f32 v143, 0x3fb8aa3b, v54
	s_delay_alu instid0(VALU_DEP_1) | instskip(NEXT) | instid1(VALU_DEP_1)
	v_exp_f32_e32 v142, v142
	v_fma_f32 v147, 0x3fb8aa3b, v54, -v143
	v_rndne_f32_e32 v148, v143
	s_delay_alu instid0(VALU_DEP_2) | instskip(NEXT) | instid1(VALU_DEP_2)
	v_fmac_f32_e32 v147, 0x32a5705f, v54
	v_sub_f32_e32 v143, v143, v148
	s_delay_alu instid0(TRANS32_DEP_1) | instskip(SKIP_2) | instid1(VALU_DEP_2)
	v_ldexp_f32 v142, v142, v144
	v_cvt_i32_f32_e32 v144, v148
	s_wait_alu 0xfffd
	v_dual_add_f32 v143, v143, v147 :: v_dual_cndmask_b32 v142, 0, v142
	v_cmp_nlt_f32_e32 vcc_lo, 0x42b17218, v55
	s_delay_alu instid0(VALU_DEP_2) | instskip(SKIP_1) | instid1(VALU_DEP_2)
	v_exp_f32_e32 v143, v143
	s_wait_alu 0xfffd
	v_cndmask_b32_e32 v229, 0x7f800000, v142, vcc_lo
	s_delay_alu instid0(TRANS32_DEP_1) | instskip(SKIP_1) | instid1(VALU_DEP_1)
	v_ldexp_f32 v143, v143, v144
	s_wait_alu 0xf1ff
	v_cndmask_b32_e64 v55, 0, v143, s0
	v_cmp_nlt_f32_e64 s0, 0x42b17218, v54
	s_wait_alu 0xf1ff
	s_delay_alu instid0(VALU_DEP_1) | instskip(SKIP_1) | instid1(VALU_DEP_2)
	v_cndmask_b32_e64 v228, 0x7f800000, v55, s0
	v_cvt_f16_f32_e64 v55, v229
	v_cvt_f16_f32_e64 v54, v228
	s_delay_alu instid0(VALU_DEP_1) | instskip(SKIP_1) | instid1(VALU_DEP_1)
	v_pack_b32_f16 v55, v54, v55
	v_sub_f32_e32 v54, v141, v126
	v_mul_f32_e32 v141, 0x3fb8aa3b, v54
	v_cmp_ngt_f32_e32 vcc_lo, 0xc2ce8ed0, v54
	s_delay_alu instid0(VALU_DEP_2) | instskip(SKIP_1) | instid1(VALU_DEP_1)
	v_fma_f32 v142, 0x3fb8aa3b, v54, -v141
	v_rndne_f32_e32 v143, v141
	v_dual_fmac_f32 v142, 0x32a5705f, v54 :: v_dual_sub_f32 v141, v141, v143
	s_delay_alu instid0(VALU_DEP_1) | instskip(SKIP_1) | instid1(VALU_DEP_2)
	v_add_f32_e32 v141, v141, v142
	v_cvt_i32_f32_e32 v142, v143
	v_exp_f32_e32 v141, v141
	s_delay_alu instid0(TRANS32_DEP_1) | instskip(SKIP_1) | instid1(VALU_DEP_1)
	v_ldexp_f32 v141, v141, v142
	s_wait_alu 0xfffd
	v_cndmask_b32_e32 v141, 0, v141, vcc_lo
	v_cmp_nlt_f32_e32 vcc_lo, 0x42b17218, v54
	s_wait_alu 0xfffd
	s_delay_alu instid0(VALU_DEP_2) | instskip(SKIP_2) | instid1(VALU_DEP_2)
	v_cndmask_b32_e32 v141, 0x7f800000, v141, vcc_lo
	v_cmp_le_f32_e32 vcc_lo, 0xc1a00000, v54
	s_wait_alu 0xfffd
	v_cndmask_b32_e32 v230, 0, v141, vcc_lo
	s_delay_alu instid0(VALU_DEP_1) | instskip(NEXT) | instid1(VALU_DEP_1)
	v_cvt_f16_f32_e64 v54, v230
	v_and_b32_e32 v54, 0xffff, v54
	s_delay_alu instid0(VALU_DEP_1) | instskip(NEXT) | instid1(VALU_DEP_1)
	v_mul_u32_u24_e32 v231, 0x10001, v54
	v_pk_mul_f16 v16, v16, v231
	v_pk_mul_f16 v17, v17, v231
	;; [unrolled: 1-line block ×8, first 2 shown]
	v_wmma_f16_16x16x16_f16 v[16:19], v[63:66], v[55:58], v[16:19]
	v_pk_mul_f16 v4, v4, v231
	v_pk_mul_f16 v5, v5, v231
	;; [unrolled: 1-line block ×3, first 2 shown]
	v_wmma_f16_16x16x16_f16 v[8:11], v[59:62], v[55:58], v[8:11]
	ds_load_b32 v59, v189 offset:128
	ds_load_b32 v60, v190 offset:128
	;; [unrolled: 1-line block ×8, first 2 shown]
	v_pk_mul_f16 v7, v7, v231
	v_pk_mul_f16 v0, v0, v231
	;; [unrolled: 1-line block ×13, first 2 shown]
	s_wait_dscnt 0x6
	v_perm_b32 v54, v60, v59, 0x5040100
	v_wmma_f16_16x16x16_f16 v[20:23], v[71:74], v[55:58], v[20:23]
	s_delay_alu instid0(VALU_DEP_3) | instskip(NEXT) | instid1(VALU_DEP_3)
	v_wmma_f16_16x16x16_f16 v[12:15], v[67:70], v[55:58], v[12:15]
	v_wmma_f16_16x16x16_f16 v[4:7], v[51:54], v[55:58], v[4:7]
	v_perm_b32 v51, v60, v59, 0x7060302
	v_sub_f32_e32 v60, v222, v126
	s_delay_alu instid0(VALU_DEP_2)
	v_wmma_f16_16x16x16_f16 v[0:3], v[48:51], v[55:58], v[0:3]
	v_add_nc_u32_e32 v48, 0xc00, v189
	v_add_nc_u32_e32 v50, 0xc00, v190
	;; [unrolled: 1-line block ×3, first 2 shown]
	ds_load_2addr_b32 v[48:49], v48 offset0:64 offset1:80
	ds_load_2addr_b32 v[52:53], v50 offset0:64 offset1:80
	;; [unrolled: 1-line block ×4, first 2 shown]
	v_cmp_ngt_f32_e64 s2, 0xc2ce8ed0, v60
	ds_load_2addr_b32 v[73:74], v58 offset0:84 offset1:100
	s_wait_dscnt 0x3
	v_perm_b32 v51, v52, v48, 0x7060302
	v_perm_b32 v55, v52, v48, 0x5040100
	s_wait_dscnt 0x1
	v_perm_b32 v50, v68, v56, 0x7060302
	v_perm_b32 v54, v68, v56, 0x5040100
	v_add_nc_u32_e32 v56, 0xc00, v188
	v_perm_b32 v59, v53, v49, 0x7060302
	v_perm_b32 v70, v53, v49, 0x5040100
	ds_load_2addr_b32 v[71:72], v56 offset0:168 offset1:184
	ds_load_2addr_b32 v[52:53], v56 offset0:200 offset1:220
	ds_load_2addr_b32 v[141:142], v56 offset0:236 offset1:252
	ds_load_2addr_b32 v[147:148], v56 offset0:64 offset1:80
	ds_load_2addr_b32 v[149:150], v56 offset0:96 offset1:116
	s_wait_dscnt 0x5
	v_perm_b32 v58, v73, v57, 0x7060302
	v_perm_b32 v69, v73, v57, 0x5040100
	;; [unrolled: 1-line block ×4, first 2 shown]
	ds_load_2addr_b32 v[164:165], v56 offset0:132 offset1:148
	v_mul_f32_e32 v74, 0x3fb8aa3b, v60
	s_delay_alu instid0(VALU_DEP_1) | instskip(NEXT) | instid1(VALU_DEP_1)
	v_fma_f32 v144, 0x3fb8aa3b, v60, -v74
	v_fmac_f32_e32 v144, 0x32a5705f, v60
	s_wait_dscnt 0x4
	v_perm_b32 v49, v53, v71, 0x7060302
	s_wait_dscnt 0x3
	v_perm_b32 v57, v141, v72, 0x7060302
	v_perm_b32 v68, v141, v72, 0x5040100
	;; [unrolled: 1-line block ×4, first 2 shown]
	s_wait_dscnt 0x1
	v_perm_b32 v48, v150, v147, 0x7060302
	v_perm_b32 v52, v150, v147, 0x5040100
	v_rndne_f32_e32 v147, v74
	s_wait_dscnt 0x0
	v_perm_b32 v56, v164, v148, 0x7060302
	v_perm_b32 v67, v164, v148, 0x5040100
	;; [unrolled: 1-line block ×4, first 2 shown]
	v_sub_f32_e32 v74, v74, v147
	v_perm_b32 v141, v165, v149, 0x5040100
	v_cvt_i32_f32_e32 v147, v147
	s_delay_alu instid0(VALU_DEP_3) | instskip(SKIP_1) | instid1(VALU_DEP_2)
	v_add_f32_e32 v74, v74, v144
	v_sub_f32_e32 v144, v221, v126
	v_exp_f32_e32 v74, v74
	s_delay_alu instid0(VALU_DEP_1) | instskip(SKIP_1) | instid1(VALU_DEP_2)
	v_mul_f32_e32 v148, 0x3fb8aa3b, v144
	v_cmp_ngt_f32_e32 vcc_lo, 0xc2ce8ed0, v144
	v_fma_f32 v149, 0x3fb8aa3b, v144, -v148
	v_rndne_f32_e32 v150, v148
	s_delay_alu instid0(TRANS32_DEP_1) | instskip(NEXT) | instid1(VALU_DEP_2)
	v_ldexp_f32 v74, v74, v147
	v_dual_fmac_f32 v149, 0x32a5705f, v144 :: v_dual_sub_f32 v148, v148, v150
	v_cvt_i32_f32_e32 v150, v150
	s_wait_alu 0xf1ff
	s_delay_alu instid0(VALU_DEP_3) | instskip(SKIP_3) | instid1(VALU_DEP_2)
	v_cndmask_b32_e64 v74, 0, v74, s2
	v_cmp_nlt_f32_e64 s2, 0x42b17218, v60
	v_add_f32_e32 v148, v148, v149
	v_sub_f32_e32 v149, v220, v126
	v_exp_f32_e32 v148, v148
	s_delay_alu instid0(VALU_DEP_1) | instskip(SKIP_1) | instid1(VALU_DEP_2)
	v_mul_f32_e32 v164, 0x3fb8aa3b, v149
	v_cmp_ngt_f32_e64 s0, 0xc2ce8ed0, v149
	v_fma_f32 v165, 0x3fb8aa3b, v149, -v164
	v_rndne_f32_e32 v166, v164
	s_delay_alu instid0(TRANS32_DEP_1) | instskip(NEXT) | instid1(VALU_DEP_2)
	v_ldexp_f32 v148, v148, v150
	v_dual_fmac_f32 v165, 0x32a5705f, v149 :: v_dual_sub_f32 v164, v164, v166
	v_cvt_i32_f32_e32 v147, v166
	s_wait_alu 0xfffd
	s_delay_alu instid0(VALU_DEP_3) | instskip(SKIP_2) | instid1(VALU_DEP_1)
	v_cndmask_b32_e32 v148, 0, v148, vcc_lo
	v_cmp_nlt_f32_e32 vcc_lo, 0x42b17218, v144
	v_dual_add_f32 v164, v164, v165 :: v_dual_sub_f32 v165, v219, v126
	v_exp_f32_e32 v164, v164
	s_delay_alu instid0(VALU_DEP_1) | instskip(SKIP_1) | instid1(VALU_DEP_2)
	v_mul_f32_e32 v167, 0x3fb8aa3b, v165
	v_cmp_ngt_f32_e64 s1, 0xc2ce8ed0, v165
	v_fma_f32 v168, 0x3fb8aa3b, v165, -v167
	v_rndne_f32_e32 v169, v167
	s_delay_alu instid0(TRANS32_DEP_1) | instskip(NEXT) | instid1(VALU_DEP_3)
	v_ldexp_f32 v147, v164, v147
	v_fmac_f32_e32 v168, 0x32a5705f, v165
	s_delay_alu instid0(VALU_DEP_3)
	v_sub_f32_e32 v167, v167, v169
	v_cvt_i32_f32_e32 v150, v169
	s_wait_alu 0xf1ff
	v_cndmask_b32_e64 v144, 0, v147, s0
	v_cmp_nlt_f32_e64 s0, 0x42b17218, v149
	v_add_f32_e32 v167, v167, v168
	s_delay_alu instid0(VALU_DEP_1) | instskip(SKIP_2) | instid1(TRANS32_DEP_1)
	v_exp_f32_e32 v164, v167
	s_wait_alu 0xfffd
	v_cndmask_b32_e32 v167, 0x7f800000, v148, vcc_lo
	v_ldexp_f32 v150, v164, v150
	v_cndmask_b32_e64 v164, 0x7f800000, v74, s2
	s_delay_alu instid0(VALU_DEP_2) | instskip(SKIP_4) | instid1(VALU_DEP_3)
	v_cndmask_b32_e64 v147, 0, v150, s1
	v_cmp_nlt_f32_e64 s1, 0x42b17218, v165
	s_wait_alu 0xf1ff
	v_cndmask_b32_e64 v165, 0x7f800000, v144, s0
	v_cvt_f16_f32_e64 v60, v164
	v_cndmask_b32_e64 v166, 0x7f800000, v147, s1
	v_cvt_f16_f32_e64 v147, v167
	s_delay_alu instid0(VALU_DEP_4) | instskip(NEXT) | instid1(VALU_DEP_3)
	v_cvt_f16_f32_e64 v74, v165
	v_cvt_f16_f32_e64 v144, v166
	s_delay_alu instid0(VALU_DEP_3) | instskip(SKIP_1) | instid1(VALU_DEP_3)
	v_pack_b32_f16 v149, v60, v147
	v_sub_f32_e32 v60, v218, v126
	v_pack_b32_f16 v150, v74, v144
	s_delay_alu instid0(VALU_DEP_2) | instskip(SKIP_1) | instid1(VALU_DEP_2)
	v_mul_f32_e32 v74, 0x3fb8aa3b, v60
	v_cmp_ngt_f32_e32 vcc_lo, 0xc2ce8ed0, v60
	v_fma_f32 v144, 0x3fb8aa3b, v60, -v74
	v_rndne_f32_e32 v147, v74
	s_delay_alu instid0(VALU_DEP_2) | instskip(NEXT) | instid1(VALU_DEP_2)
	v_fmac_f32_e32 v144, 0x32a5705f, v60
	v_sub_f32_e32 v74, v74, v147
	v_cvt_i32_f32_e32 v147, v147
	s_delay_alu instid0(VALU_DEP_2) | instskip(SKIP_1) | instid1(VALU_DEP_2)
	v_add_f32_e32 v74, v74, v144
	v_sub_f32_e32 v144, v217, v126
	v_exp_f32_e32 v74, v74
	s_delay_alu instid0(VALU_DEP_1) | instskip(SKIP_1) | instid1(VALU_DEP_2)
	v_mul_f32_e32 v148, 0x3fb8aa3b, v144
	v_cmp_ngt_f32_e64 s0, 0xc2ce8ed0, v144
	v_fma_f32 v168, 0x3fb8aa3b, v144, -v148
	v_rndne_f32_e32 v169, v148
	s_delay_alu instid0(TRANS32_DEP_1) | instskip(NEXT) | instid1(VALU_DEP_3)
	v_ldexp_f32 v74, v74, v147
	v_fmac_f32_e32 v168, 0x32a5705f, v144
	s_delay_alu instid0(VALU_DEP_3)
	v_sub_f32_e32 v148, v148, v169
	v_cvt_i32_f32_e32 v147, v169
	s_wait_alu 0xfffd
	v_cndmask_b32_e32 v74, 0, v74, vcc_lo
	v_cmp_nlt_f32_e32 vcc_lo, 0x42b17218, v60
	s_wait_alu 0xfffd
	s_delay_alu instid0(VALU_DEP_2) | instskip(NEXT) | instid1(VALU_DEP_1)
	v_dual_add_f32 v148, v148, v168 :: v_dual_cndmask_b32 v169, 0x7f800000, v74
	v_exp_f32_e32 v148, v148
	s_delay_alu instid0(VALU_DEP_1) | instskip(NEXT) | instid1(TRANS32_DEP_1)
	v_cvt_f16_f32_e64 v74, v169
	v_ldexp_f32 v147, v148, v147
	s_wait_alu 0xf1ff
	s_delay_alu instid0(VALU_DEP_1) | instskip(SKIP_2) | instid1(VALU_DEP_1)
	v_cndmask_b32_e64 v60, 0, v147, s0
	v_cmp_nlt_f32_e64 s0, 0x42b17218, v144
	s_wait_alu 0xf1ff
	v_cndmask_b32_e64 v168, 0x7f800000, v60, s0
	s_delay_alu instid0(VALU_DEP_1) | instskip(NEXT) | instid1(VALU_DEP_1)
	v_cvt_f16_f32_e64 v60, v168
	v_pack_b32_f16 v148, v60, v74
	v_sub_f32_e32 v60, v216, v126
	s_delay_alu instid0(VALU_DEP_1) | instskip(SKIP_1) | instid1(VALU_DEP_2)
	v_mul_f32_e32 v74, 0x3fb8aa3b, v60
	v_cmp_ngt_f32_e32 vcc_lo, 0xc2ce8ed0, v60
	v_fma_f32 v144, 0x3fb8aa3b, v60, -v74
	v_rndne_f32_e32 v147, v74
	s_delay_alu instid0(VALU_DEP_2) | instskip(NEXT) | instid1(VALU_DEP_2)
	v_fmac_f32_e32 v144, 0x32a5705f, v60
	v_sub_f32_e32 v74, v74, v147
	v_cvt_i32_f32_e32 v147, v147
	s_delay_alu instid0(VALU_DEP_2) | instskip(SKIP_1) | instid1(VALU_DEP_2)
	v_add_f32_e32 v74, v74, v144
	v_sub_f32_e32 v144, v215, v126
	v_exp_f32_e32 v74, v74
	s_delay_alu instid0(VALU_DEP_1) | instskip(SKIP_1) | instid1(VALU_DEP_2)
	v_mul_f32_e32 v170, 0x3fb8aa3b, v144
	v_cmp_ngt_f32_e64 s0, 0xc2ce8ed0, v144
	v_fma_f32 v171, 0x3fb8aa3b, v144, -v170
	v_rndne_f32_e32 v215, v170
	s_delay_alu instid0(TRANS32_DEP_1) | instskip(NEXT) | instid1(VALU_DEP_2)
	v_ldexp_f32 v74, v74, v147
	v_dual_fmac_f32 v171, 0x32a5705f, v144 :: v_dual_sub_f32 v170, v170, v215
	v_cvt_i32_f32_e32 v147, v215
	s_wait_alu 0xfffd
	s_delay_alu instid0(VALU_DEP_3) | instskip(SKIP_2) | instid1(VALU_DEP_2)
	v_cndmask_b32_e32 v74, 0, v74, vcc_lo
	v_cmp_nlt_f32_e32 vcc_lo, 0x42b17218, v60
	s_wait_alu 0xfffd
	v_dual_add_f32 v170, v170, v171 :: v_dual_cndmask_b32 v171, 0x7f800000, v74
	s_delay_alu instid0(VALU_DEP_1) | instskip(NEXT) | instid1(VALU_DEP_1)
	v_exp_f32_e32 v170, v170
	v_cvt_f16_f32_e64 v74, v171
	s_delay_alu instid0(TRANS32_DEP_1) | instskip(SKIP_1) | instid1(VALU_DEP_1)
	v_ldexp_f32 v147, v170, v147
	s_wait_alu 0xf1ff
	v_cndmask_b32_e64 v60, 0, v147, s0
	v_cmp_nlt_f32_e64 s0, 0x42b17218, v144
	v_perm_b32 v144, v62, v61, 0x5040100
	s_wait_alu 0xf1ff
	s_delay_alu instid0(VALU_DEP_2) | instskip(NEXT) | instid1(VALU_DEP_1)
	v_cndmask_b32_e64 v170, 0x7f800000, v60, s0
	v_cvt_f16_f32_e64 v60, v170
	s_delay_alu instid0(VALU_DEP_1) | instskip(SKIP_1) | instid1(VALU_DEP_2)
	v_pack_b32_f16 v147, v60, v74
	v_perm_b32 v74, v62, v61, 0x7060302
	v_wmma_f16_16x16x16_f16 v[16:19], v[48:51], v[147:150], v[16:19]
	v_add_nc_u32_e32 v48, 0x1800, v189
	v_add_nc_u32_e32 v50, 0x1800, v190
	v_wmma_f16_16x16x16_f16 v[12:15], v[67:70], v[147:150], v[12:15]
	v_add_nc_u32_e32 v67, 0x1c00, v188
	v_wmma_f16_16x16x16_f16 v[20:23], v[52:55], v[147:150], v[20:23]
	v_wmma_f16_16x16x16_f16 v[8:11], v[56:59], v[147:150], v[8:11]
	ds_load_2addr_b32 v[48:49], v48 offset0:128 offset1:144
	ds_load_2addr_b32 v[52:53], v50 offset0:128 offset1:144
	;; [unrolled: 1-line block ×4, first 2 shown]
	v_wmma_f16_16x16x16_f16 v[0:3], v[71:74], v[147:150], v[0:3]
	ds_load_2addr_b32 v[71:72], v67 offset0:148 offset1:164
	v_wmma_f16_16x16x16_f16 v[4:7], v[141:144], v[147:150], v[4:7]
	s_wait_dscnt 0x3
	v_perm_b32 v51, v52, v48, 0x7060302
	v_perm_b32 v55, v52, v48, 0x5040100
	s_wait_dscnt 0x1
	v_perm_b32 v50, v61, v56, 0x7060302
	v_perm_b32 v54, v61, v56, 0x5040100
	v_add_nc_u32_e32 v56, 0x1800, v188
	v_perm_b32 v59, v53, v49, 0x7060302
	v_perm_b32 v70, v53, v49, 0x5040100
	ds_load_2addr_b32 v[61:62], v56 offset0:232 offset1:248
	ds_load_2addr_b32 v[52:53], v67 offset0:8 offset1:28
	;; [unrolled: 1-line block ×6, first 2 shown]
	s_wait_dscnt 0x6
	v_perm_b32 v58, v71, v57, 0x7060302
	v_perm_b32 v69, v71, v57, 0x5040100
	s_wait_dscnt 0x4
	v_perm_b32 v49, v53, v61, 0x7060302
	v_perm_b32 v53, v53, v61, 0x5040100
	s_wait_dscnt 0x3
	v_perm_b32 v57, v73, v62, 0x7060302
	v_perm_b32 v68, v73, v62, 0x5040100
	v_perm_b32 v62, v72, v60, 0x7060302
	v_perm_b32 v73, v72, v60, 0x5040100
	;; [unrolled: 1-line block ×4, first 2 shown]
	v_sub_f32_e32 v74, v214, v126
	s_wait_dscnt 0x1
	v_perm_b32 v48, v144, v141, 0x7060302
	v_perm_b32 v52, v144, v141, 0x5040100
	s_wait_dscnt 0x0
	v_perm_b32 v56, v147, v142, 0x7060302
	v_perm_b32 v67, v147, v142, 0x5040100
	v_mul_f32_e32 v141, 0x3fb8aa3b, v74
	v_perm_b32 v60, v148, v143, 0x7060302
	v_perm_b32 v71, v148, v143, 0x5040100
	v_cmp_ngt_f32_e64 s2, 0xc2ce8ed0, v74
	s_delay_alu instid0(VALU_DEP_4) | instskip(SKIP_1) | instid1(VALU_DEP_1)
	v_fma_f32 v142, 0x3fb8aa3b, v74, -v141
	v_rndne_f32_e32 v143, v141
	v_dual_fmac_f32 v142, 0x32a5705f, v74 :: v_dual_sub_f32 v141, v141, v143
	v_cvt_i32_f32_e32 v143, v143
	s_delay_alu instid0(VALU_DEP_2) | instskip(SKIP_1) | instid1(VALU_DEP_2)
	v_add_f32_e32 v141, v141, v142
	v_sub_f32_e32 v142, v213, v126
	v_exp_f32_e32 v141, v141
	s_delay_alu instid0(VALU_DEP_1) | instskip(SKIP_1) | instid1(VALU_DEP_2)
	v_mul_f32_e32 v144, 0x3fb8aa3b, v142
	v_cmp_ngt_f32_e32 vcc_lo, 0xc2ce8ed0, v142
	v_fma_f32 v147, 0x3fb8aa3b, v142, -v144
	v_rndne_f32_e32 v148, v144
	s_delay_alu instid0(TRANS32_DEP_1) | instskip(NEXT) | instid1(VALU_DEP_2)
	v_ldexp_f32 v141, v141, v143
	v_dual_fmac_f32 v147, 0x32a5705f, v142 :: v_dual_sub_f32 v144, v144, v148
	v_cvt_i32_f32_e32 v148, v148
	s_wait_alu 0xf1ff
	s_delay_alu instid0(VALU_DEP_3) | instskip(SKIP_3) | instid1(VALU_DEP_2)
	v_cndmask_b32_e64 v141, 0, v141, s2
	v_cmp_nlt_f32_e64 s2, 0x42b17218, v74
	v_add_f32_e32 v144, v144, v147
	v_sub_f32_e32 v147, v212, v126
	v_exp_f32_e32 v144, v144
	s_delay_alu instid0(VALU_DEP_1) | instskip(SKIP_1) | instid1(VALU_DEP_2)
	v_mul_f32_e32 v149, 0x3fb8aa3b, v147
	v_cmp_ngt_f32_e64 s0, 0xc2ce8ed0, v147
	v_fma_f32 v150, 0x3fb8aa3b, v147, -v149
	v_rndne_f32_e32 v212, v149
	s_delay_alu instid0(TRANS32_DEP_1) | instskip(NEXT) | instid1(VALU_DEP_2)
	v_ldexp_f32 v144, v144, v148
	v_dual_fmac_f32 v150, 0x32a5705f, v147 :: v_dual_sub_f32 v149, v149, v212
	v_cvt_i32_f32_e32 v143, v212
	s_wait_alu 0xfffd
	s_delay_alu instid0(VALU_DEP_3) | instskip(SKIP_3) | instid1(VALU_DEP_2)
	v_cndmask_b32_e32 v144, 0, v144, vcc_lo
	v_cmp_nlt_f32_e32 vcc_lo, 0x42b17218, v142
	v_add_f32_e32 v149, v149, v150
	v_sub_f32_e32 v150, v211, v126
	v_exp_f32_e32 v149, v149
	s_delay_alu instid0(VALU_DEP_1) | instskip(SKIP_1) | instid1(VALU_DEP_2)
	v_mul_f32_e32 v211, 0x3fb8aa3b, v150
	v_cmp_ngt_f32_e64 s1, 0xc2ce8ed0, v150
	v_fma_f32 v213, 0x3fb8aa3b, v150, -v211
	v_rndne_f32_e32 v214, v211
	s_delay_alu instid0(TRANS32_DEP_1) | instskip(NEXT) | instid1(VALU_DEP_3)
	v_ldexp_f32 v143, v149, v143
	v_fmac_f32_e32 v213, 0x32a5705f, v150
	s_delay_alu instid0(VALU_DEP_3)
	v_sub_f32_e32 v211, v211, v214
	v_cvt_i32_f32_e32 v148, v214
	s_wait_alu 0xf1ff
	v_cndmask_b32_e64 v142, 0, v143, s0
	v_cmp_nlt_f32_e64 s0, 0x42b17218, v147
	v_add_f32_e32 v211, v211, v213
	v_cndmask_b32_e64 v147, 0x7f800000, v141, s2
	s_delay_alu instid0(VALU_DEP_2) | instskip(NEXT) | instid1(VALU_DEP_1)
	v_exp_f32_e32 v149, v211
	v_cvt_f16_f32_e64 v74, v147
	s_delay_alu instid0(TRANS32_DEP_1) | instskip(NEXT) | instid1(VALU_DEP_1)
	v_ldexp_f32 v148, v149, v148
	v_cndmask_b32_e64 v143, 0, v148, s1
	v_cmp_nlt_f32_e64 s1, 0x42b17218, v150
	s_wait_alu 0xfffd
	v_cndmask_b32_e32 v150, 0x7f800000, v144, vcc_lo
	s_wait_alu 0xf1ff
	v_cndmask_b32_e64 v148, 0x7f800000, v142, s0
	v_cndmask_b32_e64 v149, 0x7f800000, v143, s1
	s_delay_alu instid0(VALU_DEP_3) | instskip(NEXT) | instid1(VALU_DEP_3)
	v_cvt_f16_f32_e64 v143, v150
	v_cvt_f16_f32_e64 v141, v148
	v_cmp_ngt_f32_e64 s1, 0xc2ce8ed0, v203
	s_delay_alu instid0(VALU_DEP_4) | instskip(NEXT) | instid1(VALU_DEP_4)
	v_cvt_f16_f32_e64 v142, v149
	v_pack_b32_f16 v143, v74, v143
	v_sub_f32_e32 v74, v210, v126
	s_delay_alu instid0(VALU_DEP_3) | instskip(NEXT) | instid1(VALU_DEP_2)
	v_pack_b32_f16 v144, v141, v142
	v_mul_f32_e32 v141, 0x3fb8aa3b, v74
	v_cmp_ngt_f32_e32 vcc_lo, 0xc2ce8ed0, v74
	s_delay_alu instid0(VALU_DEP_2) | instskip(SKIP_1) | instid1(VALU_DEP_2)
	v_fma_f32 v142, 0x3fb8aa3b, v74, -v141
	v_rndne_f32_e32 v210, v141
	v_fmac_f32_e32 v142, 0x32a5705f, v74
	s_delay_alu instid0(VALU_DEP_2) | instskip(SKIP_1) | instid1(VALU_DEP_2)
	v_sub_f32_e32 v141, v141, v210
	v_cvt_i32_f32_e32 v210, v210
	v_add_f32_e32 v141, v141, v142
	v_sub_f32_e32 v142, v209, v126
	s_delay_alu instid0(VALU_DEP_2) | instskip(NEXT) | instid1(VALU_DEP_1)
	v_exp_f32_e32 v141, v141
	v_mul_f32_e32 v209, 0x3fb8aa3b, v142
	v_cmp_ngt_f32_e64 s0, 0xc2ce8ed0, v142
	s_delay_alu instid0(VALU_DEP_2) | instskip(SKIP_1) | instid1(TRANS32_DEP_1)
	v_fma_f32 v211, 0x3fb8aa3b, v142, -v209
	v_rndne_f32_e32 v212, v209
	v_ldexp_f32 v141, v141, v210
	s_delay_alu instid0(VALU_DEP_3) | instskip(NEXT) | instid1(VALU_DEP_3)
	v_fmac_f32_e32 v211, 0x32a5705f, v142
	v_sub_f32_e32 v209, v209, v212
	v_cvt_i32_f32_e32 v210, v212
	s_wait_alu 0xfffd
	v_cndmask_b32_e32 v141, 0, v141, vcc_lo
	v_cmp_nlt_f32_e32 vcc_lo, 0x42b17218, v74
	v_add_f32_e32 v209, v209, v211
	s_delay_alu instid0(VALU_DEP_1) | instskip(NEXT) | instid1(TRANS32_DEP_1)
	v_exp_f32_e32 v209, v209
	v_ldexp_f32 v209, v209, v210
	s_wait_alu 0xfffd
	v_cndmask_b32_e32 v210, 0x7f800000, v141, vcc_lo
	s_wait_alu 0xf1ff
	s_delay_alu instid0(VALU_DEP_2) | instskip(SKIP_1) | instid1(VALU_DEP_3)
	v_cndmask_b32_e64 v74, 0, v209, s0
	v_cmp_nlt_f32_e64 s0, 0x42b17218, v142
	v_cvt_f16_f32_e64 v141, v210
	s_wait_alu 0xf1ff
	s_delay_alu instid0(VALU_DEP_2) | instskip(SKIP_1) | instid1(VALU_DEP_2)
	v_cndmask_b32_e64 v209, 0x7f800000, v74, s0
	v_cmp_ngt_f32_e64 s0, 0xc2ce8ed0, v207
	v_cvt_f16_f32_e64 v74, v209
	s_delay_alu instid0(VALU_DEP_1) | instskip(SKIP_1) | instid1(VALU_DEP_1)
	v_pack_b32_f16 v142, v74, v141
	v_sub_f32_e32 v74, v208, v126
	v_mul_f32_e32 v141, 0x3fb8aa3b, v74
	v_cmp_ngt_f32_e32 vcc_lo, 0xc2ce8ed0, v74
	s_delay_alu instid0(VALU_DEP_2) | instskip(SKIP_1) | instid1(VALU_DEP_1)
	v_fma_f32 v208, 0x3fb8aa3b, v74, -v141
	v_rndne_f32_e32 v211, v141
	v_dual_fmac_f32 v208, 0x32a5705f, v74 :: v_dual_sub_f32 v141, v141, v211
	v_cvt_i32_f32_e32 v211, v211
	s_delay_alu instid0(VALU_DEP_2) | instskip(NEXT) | instid1(VALU_DEP_1)
	v_dual_add_f32 v141, v141, v208 :: v_dual_mul_f32 v208, 0x3fb8aa3b, v207
	v_exp_f32_e32 v141, v141
	s_delay_alu instid0(VALU_DEP_1) | instskip(SKIP_1) | instid1(VALU_DEP_2)
	v_fma_f32 v212, 0x3fb8aa3b, v207, -v208
	v_rndne_f32_e32 v213, v208
	v_fmac_f32_e32 v212, 0x32a5705f, v207
	s_delay_alu instid0(VALU_DEP_2) | instskip(NEXT) | instid1(TRANS32_DEP_1)
	v_sub_f32_e32 v208, v208, v213
	v_ldexp_f32 v141, v141, v211
	v_cvt_i32_f32_e32 v211, v213
	s_wait_alu 0xfffd
	s_delay_alu instid0(VALU_DEP_2) | instskip(SKIP_1) | instid1(VALU_DEP_2)
	v_dual_add_f32 v208, v208, v212 :: v_dual_cndmask_b32 v141, 0, v141
	v_cmp_nlt_f32_e32 vcc_lo, 0x42b17218, v74
	v_exp_f32_e32 v208, v208
	s_delay_alu instid0(TRANS32_DEP_1) | instskip(SKIP_1) | instid1(VALU_DEP_1)
	v_ldexp_f32 v208, v208, v211
	s_wait_alu 0xf1ff
	v_cndmask_b32_e64 v74, 0, v208, s0
	v_cmp_nlt_f32_e64 s0, 0x42b17218, v207
	s_wait_alu 0xfffd
	v_cndmask_b32_e32 v208, 0x7f800000, v141, vcc_lo
	s_wait_alu 0xf1ff
	s_delay_alu instid0(VALU_DEP_2) | instskip(NEXT) | instid1(VALU_DEP_2)
	v_cndmask_b32_e64 v207, 0x7f800000, v74, s0
	v_cvt_f16_f32_e64 v141, v208
	s_delay_alu instid0(VALU_DEP_2) | instskip(NEXT) | instid1(VALU_DEP_1)
	v_cvt_f16_f32_e64 v74, v207
	v_pack_b32_f16 v141, v74, v141
	v_perm_b32 v74, v64, v63, 0x5040100
	v_perm_b32 v63, v64, v63, 0x7060302
	v_add_nc_u32_e32 v64, 0x2800, v188
	s_delay_alu instid0(VALU_DEP_4)
	v_wmma_f16_16x16x16_f16 v[16:19], v[48:51], v[141:144], v[16:19]
	v_add_nc_u32_e32 v48, 0x2400, v189
	v_add_nc_u32_e32 v50, 0x2400, v190
	v_wmma_f16_16x16x16_f16 v[20:23], v[52:55], v[141:144], v[20:23]
	v_wmma_f16_16x16x16_f16 v[8:11], v[56:59], v[141:144], v[8:11]
	;; [unrolled: 1-line block ×3, first 2 shown]
	ds_load_2addr_b32 v[48:49], v48 offset0:192 offset1:208
	ds_load_2addr_b32 v[52:53], v50 offset0:192 offset1:208
	;; [unrolled: 1-line block ×4, first 2 shown]
	v_wmma_f16_16x16x16_f16 v[12:15], v[67:70], v[141:144], v[12:15]
	v_wmma_f16_16x16x16_f16 v[4:7], v[71:74], v[141:144], v[4:7]
	ds_load_2addr_b32 v[69:70], v64 offset0:212 offset1:228
	s_wait_dscnt 0x3
	v_perm_b32 v51, v52, v48, 0x7060302
	v_perm_b32 v55, v52, v48, 0x5040100
	;; [unrolled: 1-line block ×4, first 2 shown]
	ds_load_2addr_b32 v[67:68], v64 offset0:40 offset1:56
	ds_load_2addr_b32 v[52:53], v64 offset0:72 offset1:92
	;; [unrolled: 1-line block ×3, first 2 shown]
	v_add_nc_u32_e32 v48, 0x2400, v188
	s_wait_dscnt 0x4
	v_perm_b32 v50, v61, v56, 0x7060302
	v_perm_b32 v54, v61, v56, 0x5040100
	s_wait_dscnt 0x3
	v_perm_b32 v58, v69, v57, 0x7060302
	v_perm_b32 v62, v69, v57, 0x5040100
	;; [unrolled: 1-line block ×3, first 2 shown]
	s_wait_dscnt 0x1
	v_perm_b32 v49, v53, v67, 0x7060302
	s_wait_dscnt 0x0
	v_perm_b32 v57, v72, v68, 0x7060302
	v_perm_b32 v61, v72, v68, 0x5040100
	;; [unrolled: 1-line block ×4, first 2 shown]
	ds_load_2addr_b32 v[73:74], v48 offset0:192 offset1:208
	ds_load_2addr_b32 v[141:142], v48 offset0:224 offset1:244
	v_perm_b32 v53, v53, v67, 0x5040100
	v_perm_b32 v72, v70, v60, 0x5040100
	s_wait_dscnt 0x0
	v_perm_b32 v48, v142, v73, 0x7060302
	v_perm_b32 v52, v142, v73, 0x5040100
	ds_load_2addr_b32 v[142:143], v64 offset0:4 offset1:20
	v_sub_f32_e32 v64, v206, v126
	s_wait_loadcnt_dscnt 0x0
	s_barrier_signal -1
	s_barrier_wait -1
	global_inv scope:SCOPE_SE
	v_mul_f32_e32 v73, 0x3fb8aa3b, v64
	v_cmp_ngt_f32_e64 s2, 0xc2ce8ed0, v64
	v_perm_b32 v56, v142, v74, 0x7060302
	v_perm_b32 v60, v142, v74, 0x5040100
	;; [unrolled: 1-line block ×4, first 2 shown]
	v_fma_f32 v74, 0x3fb8aa3b, v64, -v73
	v_rndne_f32_e32 v141, v73
	s_delay_alu instid0(VALU_DEP_1) | instskip(SKIP_1) | instid1(VALU_DEP_2)
	v_dual_fmac_f32 v74, 0x32a5705f, v64 :: v_dual_sub_f32 v73, v73, v141
	v_cvt_i32_f32_e32 v141, v141
	v_add_f32_e32 v73, v73, v74
	v_sub_f32_e32 v74, v205, v126
	s_delay_alu instid0(VALU_DEP_2) | instskip(NEXT) | instid1(VALU_DEP_1)
	v_exp_f32_e32 v73, v73
	v_mul_f32_e32 v142, 0x3fb8aa3b, v74
	v_cmp_ngt_f32_e32 vcc_lo, 0xc2ce8ed0, v74
	s_delay_alu instid0(VALU_DEP_2) | instskip(SKIP_1) | instid1(TRANS32_DEP_1)
	v_fma_f32 v143, 0x3fb8aa3b, v74, -v142
	v_rndne_f32_e32 v144, v142
	v_ldexp_f32 v73, v73, v141
	s_delay_alu instid0(VALU_DEP_2) | instskip(SKIP_2) | instid1(VALU_DEP_3)
	v_dual_fmac_f32 v143, 0x32a5705f, v74 :: v_dual_sub_f32 v142, v142, v144
	v_cvt_i32_f32_e32 v144, v144
	s_wait_alu 0xf1ff
	v_cndmask_b32_e64 v73, 0, v73, s2
	v_cmp_nlt_f32_e64 s2, 0x42b17218, v64
	v_dual_add_f32 v142, v142, v143 :: v_dual_sub_f32 v143, v204, v126
	s_wait_alu 0xf1ff
	s_delay_alu instid0(VALU_DEP_2) | instskip(NEXT) | instid1(VALU_DEP_2)
	v_cndmask_b32_e64 v64, 0x7f800000, v73, s2
	v_exp_f32_e32 v142, v142
	s_delay_alu instid0(VALU_DEP_2) | instskip(SKIP_1) | instid1(VALU_DEP_3)
	v_mul_f32_e32 v204, 0x3fb8aa3b, v143
	v_cmp_ngt_f32_e64 s0, 0xc2ce8ed0, v143
	v_cvt_f16_f32_e32 v73, v64
	s_delay_alu instid0(VALU_DEP_3) | instskip(SKIP_1) | instid1(TRANS32_DEP_1)
	v_fma_f32 v205, 0x3fb8aa3b, v143, -v204
	v_rndne_f32_e32 v206, v204
	v_ldexp_f32 v142, v142, v144
	s_delay_alu instid0(VALU_DEP_2) | instskip(SKIP_2) | instid1(VALU_DEP_3)
	v_dual_fmac_f32 v205, 0x32a5705f, v143 :: v_dual_sub_f32 v204, v204, v206
	v_cvt_i32_f32_e32 v141, v206
	s_wait_alu 0xfffd
	v_cndmask_b32_e32 v142, 0, v142, vcc_lo
	v_cmp_nlt_f32_e32 vcc_lo, 0x42b17218, v74
	v_dual_add_f32 v204, v204, v205 :: v_dual_mul_f32 v205, 0x3fb8aa3b, v203
	s_delay_alu instid0(VALU_DEP_1) | instskip(NEXT) | instid1(VALU_DEP_1)
	v_exp_f32_e32 v204, v204
	v_fma_f32 v211, 0x3fb8aa3b, v203, -v205
	v_rndne_f32_e32 v212, v205
	s_delay_alu instid0(VALU_DEP_2) | instskip(NEXT) | instid1(VALU_DEP_2)
	v_fmac_f32_e32 v211, 0x32a5705f, v203
	v_sub_f32_e32 v205, v205, v212
	v_cvt_i32_f32_e32 v144, v212
	s_delay_alu instid0(TRANS32_DEP_1) | instskip(NEXT) | instid1(VALU_DEP_3)
	v_ldexp_f32 v141, v204, v141
	v_add_f32_e32 v205, v205, v211
	s_wait_alu 0xf1ff
	s_delay_alu instid0(VALU_DEP_2) | instskip(SKIP_1) | instid1(VALU_DEP_3)
	v_cndmask_b32_e64 v74, 0, v141, s0
	v_cmp_nlt_f32_e64 s0, 0x42b17218, v143
	v_exp_f32_e32 v204, v205
	s_wait_alu 0xf1ff
	s_delay_alu instid0(VALU_DEP_1) | instskip(NEXT) | instid1(TRANS32_DEP_1)
	v_cndmask_b32_e64 v74, 0x7f800000, v74, s0
	v_ldexp_f32 v144, v204, v144
	s_wait_alu 0xfffd
	v_cndmask_b32_e32 v204, 0x7f800000, v142, vcc_lo
	s_delay_alu instid0(VALU_DEP_2) | instskip(SKIP_1) | instid1(VALU_DEP_3)
	v_cndmask_b32_e64 v141, 0, v144, s1
	v_cmp_nlt_f32_e64 s1, 0x42b17218, v203
	v_cvt_f16_f32_e64 v143, v204
	s_wait_alu 0xf1ff
	s_delay_alu instid0(VALU_DEP_2) | instskip(SKIP_1) | instid1(VALU_DEP_3)
	v_cndmask_b32_e64 v203, 0x7f800000, v141, s1
	v_cvt_f16_f32_e64 v141, v74
	v_pack_b32_f16 v143, v73, v143
	v_sub_f32_e32 v73, v202, v126
	s_delay_alu instid0(VALU_DEP_4) | instskip(NEXT) | instid1(VALU_DEP_2)
	v_cvt_f16_f32_e64 v142, v203
	v_cmp_ngt_f32_e32 vcc_lo, 0xc2ce8ed0, v73
	s_delay_alu instid0(VALU_DEP_2) | instskip(SKIP_1) | instid1(VALU_DEP_1)
	v_pack_b32_f16 v144, v141, v142
	v_mul_f32_e32 v141, 0x3fb8aa3b, v73
	v_fma_f32 v142, 0x3fb8aa3b, v73, -v141
	v_rndne_f32_e32 v202, v141
	s_delay_alu instid0(VALU_DEP_1) | instskip(SKIP_1) | instid1(VALU_DEP_2)
	v_dual_fmac_f32 v142, 0x32a5705f, v73 :: v_dual_sub_f32 v141, v141, v202
	v_cvt_i32_f32_e32 v202, v202
	v_add_f32_e32 v141, v141, v142
	v_sub_f32_e32 v142, v201, v126
	s_delay_alu instid0(VALU_DEP_2) | instskip(NEXT) | instid1(VALU_DEP_1)
	v_exp_f32_e32 v141, v141
	v_mul_f32_e32 v201, 0x3fb8aa3b, v142
	v_cmp_ngt_f32_e64 s0, 0xc2ce8ed0, v142
	s_delay_alu instid0(VALU_DEP_2) | instskip(SKIP_1) | instid1(TRANS32_DEP_1)
	v_fma_f32 v205, 0x3fb8aa3b, v142, -v201
	v_rndne_f32_e32 v206, v201
	v_ldexp_f32 v141, v141, v202
	s_delay_alu instid0(VALU_DEP_3) | instskip(NEXT) | instid1(VALU_DEP_3)
	v_fmac_f32_e32 v205, 0x32a5705f, v142
	v_sub_f32_e32 v201, v201, v206
	v_cvt_i32_f32_e32 v202, v206
	s_wait_alu 0xfffd
	v_cndmask_b32_e32 v141, 0, v141, vcc_lo
	v_cmp_nlt_f32_e32 vcc_lo, 0x42b17218, v73
	v_add_f32_e32 v201, v201, v205
	s_delay_alu instid0(VALU_DEP_1) | instskip(NEXT) | instid1(TRANS32_DEP_1)
	v_exp_f32_e32 v201, v201
	v_ldexp_f32 v201, v201, v202
	s_wait_alu 0xfffd
	v_cndmask_b32_e32 v202, 0x7f800000, v141, vcc_lo
	s_wait_alu 0xf1ff
	s_delay_alu instid0(VALU_DEP_2) | instskip(SKIP_1) | instid1(VALU_DEP_3)
	v_cndmask_b32_e64 v73, 0, v201, s0
	v_cmp_nlt_f32_e64 s0, 0x42b17218, v142
	v_cvt_f16_f32_e64 v141, v202
	s_wait_alu 0xf1ff
	s_delay_alu instid0(VALU_DEP_2) | instskip(SKIP_1) | instid1(VALU_DEP_2)
	v_cndmask_b32_e64 v201, 0x7f800000, v73, s0
	v_cmp_ngt_f32_e64 s0, 0xc2ce8ed0, v199
	v_cvt_f16_f32_e64 v73, v201
	s_delay_alu instid0(VALU_DEP_1) | instskip(SKIP_1) | instid1(VALU_DEP_1)
	v_pack_b32_f16 v142, v73, v141
	v_sub_f32_e32 v73, v200, v126
	v_mul_f32_e32 v141, 0x3fb8aa3b, v73
	v_cmp_ngt_f32_e32 vcc_lo, 0xc2ce8ed0, v73
	s_delay_alu instid0(VALU_DEP_2) | instskip(SKIP_1) | instid1(VALU_DEP_2)
	v_fma_f32 v200, 0x3fb8aa3b, v73, -v141
	v_rndne_f32_e32 v205, v141
	v_fmac_f32_e32 v200, 0x32a5705f, v73
	s_delay_alu instid0(VALU_DEP_2) | instskip(SKIP_1) | instid1(VALU_DEP_2)
	v_sub_f32_e32 v141, v141, v205
	v_cvt_i32_f32_e32 v205, v205
	v_dual_add_f32 v141, v141, v200 :: v_dual_mul_f32 v200, 0x3fb8aa3b, v199
	s_delay_alu instid0(VALU_DEP_1) | instskip(NEXT) | instid1(VALU_DEP_1)
	v_exp_f32_e32 v141, v141
	v_fma_f32 v206, 0x3fb8aa3b, v199, -v200
	v_rndne_f32_e32 v211, v200
	s_delay_alu instid0(VALU_DEP_2) | instskip(NEXT) | instid1(VALU_DEP_2)
	v_fmac_f32_e32 v206, 0x32a5705f, v199
	v_sub_f32_e32 v200, v200, v211
	s_delay_alu instid0(TRANS32_DEP_1) | instskip(SKIP_2) | instid1(VALU_DEP_2)
	v_ldexp_f32 v141, v141, v205
	v_cvt_i32_f32_e32 v205, v211
	s_wait_alu 0xfffd
	v_dual_add_f32 v200, v200, v206 :: v_dual_cndmask_b32 v141, 0, v141
	v_cmp_nlt_f32_e32 vcc_lo, 0x42b17218, v73
	s_delay_alu instid0(VALU_DEP_2) | instskip(NEXT) | instid1(TRANS32_DEP_1)
	v_exp_f32_e32 v200, v200
	v_ldexp_f32 v200, v200, v205
	s_wait_alu 0xf1ff
	s_delay_alu instid0(VALU_DEP_1)
	v_cndmask_b32_e64 v73, 0, v200, s0
	v_cmp_nlt_f32_e64 s0, 0x42b17218, v199
	s_wait_alu 0xfffd
	v_cndmask_b32_e32 v200, 0x7f800000, v141, vcc_lo
	v_cmp_lt_i32_e32 vcc_lo, s94, v175
	s_wait_alu 0xf1ff
	v_cndmask_b32_e64 v199, 0x7f800000, v73, s0
	s_delay_alu instid0(VALU_DEP_3) | instskip(SKIP_1) | instid1(VALU_DEP_2)
	v_cvt_f16_f32_e64 v141, v200
	s_and_b32 vcc_lo, exec_lo, vcc_lo
	v_cvt_f16_f32_e64 v73, v199
	s_delay_alu instid0(VALU_DEP_1) | instskip(SKIP_1) | instid1(VALU_DEP_2)
	v_pack_b32_f16 v141, v73, v141
	v_perm_b32 v73, v65, v66, 0x5040100
	v_wmma_f16_16x16x16_f16 v[16:19], v[48:51], v[141:144], v[16:19]
	v_add_f32_e32 v48, v228, v229
	s_delay_alu instid0(VALU_DEP_3)
	v_wmma_f16_16x16x16_f16 v[4:7], v[70:73], v[141:144], v[4:7]
	v_perm_b32 v70, v65, v66, 0x7060302
	v_mov_b32_e32 v49, v140
	v_wmma_f16_16x16x16_f16 v[20:23], v[52:55], v[141:144], v[20:23]
	v_add_f32_e32 v48, v226, v48
	v_wmma_f16_16x16x16_f16 v[12:15], v[60:63], v[141:144], v[12:15]
	v_wmma_f16_16x16x16_f16 v[8:11], v[56:59], v[141:144], v[8:11]
	v_wmma_f16_16x16x16_f16 v[0:3], v[67:70], v[141:144], v[0:3]
	s_delay_alu instid0(VALU_DEP_4) | instskip(NEXT) | instid1(VALU_DEP_1)
	v_add_f32_e32 v48, v227, v48
	v_add_f32_e32 v48, v224, v48
	s_delay_alu instid0(VALU_DEP_1) | instskip(NEXT) | instid1(VALU_DEP_1)
	v_add_f32_e32 v48, v225, v48
	v_add_f32_e32 v48, v125, v48
	s_delay_alu instid0(VALU_DEP_1) | instskip(NEXT) | instid1(VALU_DEP_1)
	v_add_f32_e32 v48, v223, v48
	v_add_f32_e32 v48, v170, v48
	s_delay_alu instid0(VALU_DEP_1) | instskip(NEXT) | instid1(VALU_DEP_1)
	v_add_f32_e32 v48, v171, v48
	v_add_f32_e32 v48, v168, v48
	s_delay_alu instid0(VALU_DEP_1) | instskip(NEXT) | instid1(VALU_DEP_1)
	v_add_f32_e32 v48, v169, v48
	v_add_f32_e32 v48, v164, v48
	s_delay_alu instid0(VALU_DEP_1) | instskip(NEXT) | instid1(VALU_DEP_1)
	v_add_f32_e32 v48, v167, v48
	v_add_f32_e32 v48, v165, v48
	s_delay_alu instid0(VALU_DEP_1) | instskip(NEXT) | instid1(VALU_DEP_1)
	v_add_f32_e32 v48, v166, v48
	v_add_f32_e32 v48, v207, v48
	s_delay_alu instid0(VALU_DEP_1) | instskip(NEXT) | instid1(VALU_DEP_1)
	v_add_f32_e32 v48, v208, v48
	v_add_f32_e32 v48, v209, v48
	s_delay_alu instid0(VALU_DEP_1) | instskip(NEXT) | instid1(VALU_DEP_1)
	v_add_f32_e32 v48, v210, v48
	v_add_f32_e32 v48, v147, v48
	s_delay_alu instid0(VALU_DEP_1) | instskip(NEXT) | instid1(VALU_DEP_1)
	v_add_f32_e32 v48, v150, v48
	v_add_f32_e32 v48, v148, v48
	s_delay_alu instid0(VALU_DEP_1) | instskip(NEXT) | instid1(VALU_DEP_1)
	v_add_f32_e32 v48, v149, v48
	v_add_f32_e32 v48, v199, v48
	s_delay_alu instid0(VALU_DEP_1) | instskip(NEXT) | instid1(VALU_DEP_1)
	v_add_f32_e32 v48, v200, v48
	v_add_f32_e32 v48, v201, v48
	s_delay_alu instid0(VALU_DEP_1) | instskip(NEXT) | instid1(VALU_DEP_1)
	v_add_f32_e32 v48, v202, v48
	v_add_f32_e32 v48, v64, v48
	s_delay_alu instid0(VALU_DEP_1) | instskip(NEXT) | instid1(VALU_DEP_1)
	v_add_f32_e32 v48, v204, v48
	v_add_f32_e32 v48, v74, v48
	s_delay_alu instid0(VALU_DEP_1) | instskip(NEXT) | instid1(VALU_DEP_1)
	v_add_f32_e32 v140, v203, v48
	v_fmac_f32_e32 v140, v49, v230
	s_wait_alu 0xfffe
	s_cbranch_vccnz .LBB14_583
; %bb.584:
	s_clause 0x2
	scratch_load_b32 v231, off, off offset:20
	scratch_load_b64 v[232:233], off, off offset:24
	scratch_load_b32 v235, off, off
	s_wait_loadcnt 0x1
	s_clause 0x8
	scratch_load_b32 v233, off, off offset:32
	scratch_load_b32 v131, off, off offset:4
	;; [unrolled: 1-line block ×9, first 2 shown]
	v_dual_mov_b32 v49, s35 :: v_dual_mov_b32 v48, s34
	v_dual_mov_b32 v51, s27 :: v_dual_mov_b32 v50, s26
	v_add_nc_u32_e32 v228, 16, v122
	v_add_nc_u32_e32 v229, 32, v122
	v_add_nc_u32_e32 v234, 48, v122
	v_mul_u32_u24_e32 v141, 0xd0, v123
	v_dual_mov_b32 v236, 32 :: v_dual_add_nc_u32 v227, 32, v231
	v_add_nc_u32_e32 v230, 48, v231
	s_branch .LBB14_586
.LBB14_585:
	v_dual_mov_b32 v3, 0 :: v_dual_mov_b32 v126, 0xfeffffff
	s_delay_alu instid0(VALU_DEP_1) | instskip(SKIP_1) | instid1(VALU_DEP_2)
	v_dual_mov_b32 v7, 0 :: v_dual_mov_b32 v2, v3
	v_dual_mov_b32 v1, v3 :: v_dual_mov_b32 v0, v3
	;; [unrolled: 1-line block ×11, first 2 shown]
	v_mov_b32_e32 v8, v3
.LBB14_586:
	s_lshl_b32 s0, s94, 6
	v_lshlrev_b64_e32 v[52:53], 1, v[92:93]
	s_wait_alu 0xfffe
	s_ashr_i32 s1, s0, 31
	v_mul_lo_u32 v51, s0, v51
	s_wait_alu 0xfffe
	s_lshl_b64 s[2:3], s[0:1], 1
	v_mul_lo_u32 v70, s1, v50
	s_wait_alu 0xfffe
	s_add_nc_u64 s[2:3], s[12:13], s[2:3]
	v_lshlrev_b64_e32 v[54:55], 1, v[90:91]
	s_wait_alu 0xfffe
	v_add_co_u32 v68, s2, s2, v179
	s_wait_alu 0xf1ff
	v_add_co_ci_u32_e64 v69, null, s3, 0, s2
	v_lshlrev_b64_e32 v[56:57], 1, v[94:95]
	v_mul_hi_u32 v71, s0, v50
	v_add_co_u32 v52, vcc_lo, v68, v52
	v_lshlrev_b64_e32 v[58:59], 1, v[96:97]
	v_add_nc_u32_e32 v51, v51, v70
	s_wait_alu 0xfffd
	v_add_co_ci_u32_e64 v53, null, v69, v53, vcc_lo
	v_add_co_u32 v54, vcc_lo, v68, v54
	v_lshlrev_b64_e32 v[60:61], 1, v[100:101]
	v_mul_lo_u32 v50, s0, v50
	s_wait_alu 0xfffd
	v_add_co_ci_u32_e64 v55, null, v69, v55, vcc_lo
	v_add_co_u32 v56, vcc_lo, v68, v56
	v_lshlrev_b64_e32 v[62:63], 1, v[102:103]
	s_wait_alu 0xfffd
	v_add_co_ci_u32_e64 v57, null, v69, v57, vcc_lo
	v_add_co_u32 v58, vcc_lo, v68, v58
	v_lshlrev_b64_e32 v[64:65], 1, v[106:107]
	v_add_nc_u32_e32 v51, v51, v71
	s_wait_alu 0xfffd
	v_add_co_ci_u32_e64 v59, null, v69, v59, vcc_lo
	v_add_co_u32 v60, vcc_lo, v68, v60
	v_lshlrev_b64_e32 v[66:67], 1, v[108:109]
	s_wait_alu 0xfffd
	v_add_co_ci_u32_e64 v61, null, v69, v61, vcc_lo
	v_add_co_u32 v62, vcc_lo, v68, v62
	v_lshlrev_b64_e32 v[50:51], 2, v[50:51]
	s_wait_alu 0xfffd
	v_add_co_ci_u32_e64 v63, null, v69, v63, vcc_lo
	v_add_co_u32 v64, vcc_lo, v68, v64
	s_wait_alu 0xfffd
	v_add_co_ci_u32_e64 v65, null, v69, v65, vcc_lo
	v_add_co_u32 v66, vcc_lo, v68, v66
	s_wait_alu 0xfffd
	v_add_co_ci_u32_e64 v67, null, v69, v67, vcc_lo
	s_clause 0x7
	global_load_b32 v74, v[52:53], off
	global_load_b32 v97, v[54:55], off
	;; [unrolled: 1-line block ×8, first 2 shown]
	v_lshlrev_b64_e32 v[54:55], 2, v[104:105]
	v_add_co_u32 v62, vcc_lo, s10, v50
	s_wait_alu 0xfffd
	v_add_co_ci_u32_e64 v63, null, s11, v51, vcc_lo
	v_lshlrev_b64_e32 v[52:53], 2, v[88:89]
	s_delay_alu instid0(VALU_DEP_3) | instskip(SKIP_3) | instid1(VALU_DEP_3)
	v_add_co_u32 v54, vcc_lo, v62, v54
	v_lshlrev_b64_e32 v[50:51], 2, v[110:111]
	s_wait_alu 0xfffd
	v_add_co_ci_u32_e64 v55, null, v63, v55, vcc_lo
	v_add_co_u32 v54, vcc_lo, v54, v52
	v_lshlrev_b64_e32 v[56:57], 2, v[112:113]
	s_wait_alu 0xfffd
	s_delay_alu instid0(VALU_DEP_3) | instskip(SKIP_4) | instid1(VALU_DEP_3)
	v_add_co_ci_u32_e64 v55, null, v55, v53, vcc_lo
	v_add_co_u32 v50, vcc_lo, v62, v50
	s_wait_alu 0xfffd
	v_add_co_ci_u32_e64 v51, null, v63, v51, vcc_lo
	v_mul_lo_u32 v49, s0, v49
	v_add_co_u32 v58, vcc_lo, v50, v52
	s_wait_alu 0xfffd
	s_delay_alu instid0(VALU_DEP_3)
	v_add_co_ci_u32_e64 v59, null, v51, v53, vcc_lo
	v_lshlrev_b64_e32 v[50:51], 2, v[98:99]
	v_add_co_u32 v60, vcc_lo, v62, v56
	s_wait_alu 0xfffd
	v_add_co_ci_u32_e64 v61, null, v63, v57, vcc_lo
	v_lshlrev_b64_e32 v[56:57], 2, v[114:115]
	s_delay_alu instid0(VALU_DEP_3) | instskip(SKIP_1) | instid1(VALU_DEP_3)
	v_add_co_u32 v68, vcc_lo, v60, v50
	s_wait_alu 0xfffd
	v_add_co_ci_u32_e64 v69, null, v61, v51, vcc_lo
	s_mov_b32 s2, exec_lo
	v_add_co_u32 v60, vcc_lo, v62, v56
	s_wait_alu 0xfffd
	v_add_co_ci_u32_e64 v61, null, v63, v57, vcc_lo
	v_lshlrev_b64_e32 v[56:57], 2, v[116:117]
	s_delay_alu instid0(VALU_DEP_3) | instskip(SKIP_1) | instid1(VALU_DEP_3)
	v_add_co_u32 v72, vcc_lo, v60, v50
	s_wait_alu 0xfffd
	v_add_co_ci_u32_e64 v73, null, v61, v51, vcc_lo
	v_lshlrev_b64_e32 v[60:61], 2, v[118:119]
	s_delay_alu instid0(VALU_DEP_4) | instskip(SKIP_2) | instid1(VALU_DEP_3)
	v_add_co_u32 v56, vcc_lo, v62, v56
	s_wait_alu 0xfffd
	v_add_co_ci_u32_e64 v57, null, v63, v57, vcc_lo
	v_add_co_u32 v60, vcc_lo, v62, v60
	s_wait_alu 0xfffd
	v_add_co_ci_u32_e64 v61, null, v63, v61, vcc_lo
	;; [unrolled: 3-line block ×4, first 2 shown]
	s_clause 0x5
	global_load_b128 v[60:63], v[54:55], off
	global_load_b128 v[64:67], v[58:59], off
	;; [unrolled: 1-line block ×6, first 2 shown]
	v_add_nc_u32_e32 v54, 0, v179
	v_lshlrev_b32_e32 v55, 2, v88
	v_lshlrev_b32_e32 v59, 2, v98
	v_add3_u32 v72, 0, v141, v145
	v_add_nc_u32_e32 v73, 0, v174
	v_add_nc_u32_e32 v88, v54, v146
	s_wait_loadcnt 0x15
	v_add_nc_u32_e32 v98, v54, v131
	s_wait_loadcnt 0x14
	;; [unrolled: 2-line block ×6, first 2 shown]
	v_add_nc_u32_e32 v113, v54, v148
	v_add_nc_u32_e32 v111, v54, v152
	v_add3_u32 v54, 0, v157, v55
	s_wait_loadcnt 0xf
	v_add3_u32 v55, 0, v149, v55
	v_add3_u32 v56, 0, v159, v59
	s_wait_loadcnt 0xe
	v_add3_u32 v57, 0, v150, v59
	v_add3_u32 v58, 0, v161, v59
	;; [unrolled: 1-line block ×3, first 2 shown]
	v_lshl_add_u32 v131, v160, 2, v73
	v_lshl_add_u32 v216, v163, 2, v73
	;; [unrolled: 1-line block ×14, first 2 shown]
	v_cmp_lt_i32_e32 vcc_lo, v155, v236
	s_wait_loadcnt 0xd
	ds_store_b32 v88, v74 offset:13312
	s_wait_loadcnt 0xc
	ds_store_b32 v98, v97 offset:13312
	;; [unrolled: 2-line block ×8, first 2 shown]
	s_wait_loadcnt 0x5
	ds_store_b128 v54, v[60:63]
	s_wait_loadcnt 0x4
	ds_store_b128 v55, v[64:67]
	;; [unrolled: 2-line block ×6, first 2 shown]
	s_wait_dscnt 0x0
	s_barrier_signal -1
	s_barrier_wait -1
	global_inv scope:SCOPE_SE
	ds_load_b128 v[68:71], v72
	ds_load_b128 v[112:115], v72 offset:32
	ds_load_b128 v[116:119], v72 offset:64
	;; [unrolled: 1-line block ×23, first 2 shown]
	s_wait_dscnt 0x17
	v_wmma_f32_16x16x16_f16 v[60:67], v[68:71], v[44:47], 0
	s_wait_dscnt 0x11
	v_wmma_f32_16x16x16_f16 v[88:95], v[96:99], v[44:47], 0
	s_wait_loadcnt_dscnt 0x0
	s_delay_alu instid0(VALU_DEP_2) | instskip(SKIP_3) | instid1(VALU_DEP_2)
	v_wmma_f32_16x16x16_f16 v[60:67], v[112:115], v[40:43], v[60:67]
	s_barrier_signal -1
	s_barrier_wait -1
	v_wmma_f32_16x16x16_f16 v[96:103], v[104:107], v[44:47], 0
	v_wmma_f32_16x16x16_f16 v[60:67], v[116:119], v[36:39], v[60:67]
	global_inv scope:SCOPE_SE
	v_wmma_f32_16x16x16_f16 v[88:95], v[149:152], v[40:43], v[88:95]
	v_wmma_f32_16x16x16_f16 v[96:103], v[172:175], v[40:43], v[96:103]
	;; [unrolled: 1-line block ×4, first 2 shown]
	s_delay_alu instid0(VALU_DEP_4) | instskip(NEXT) | instid1(VALU_DEP_4)
	v_wmma_f32_16x16x16_f16 v[88:95], v[156:159], v[36:39], v[88:95]
	v_wmma_f32_16x16x16_f16 v[96:103], v[176:179], v[36:39], v[96:103]
	s_delay_alu instid0(VALU_DEP_4) | instskip(NEXT) | instid1(VALU_DEP_4)
	v_wmma_f32_16x16x16_f16 v[104:111], v[196:199], v[40:43], v[104:111]
	v_wmma_f32_16x16x16_f16 v[60:67], v[141:144], v[28:31], v[60:67]
	;; [unrolled: 3-line block ×4, first 2 shown]
	v_add_nc_u32_e32 v73, 0x3400, v131
	ds_load_2addr_b32 v[72:73], v73 offset1:1
	ds_load_b32 v74, v216 offset:13312
	ds_load_b32 v125, v217 offset:13312
	;; [unrolled: 1-line block ×14, first 2 shown]
	v_wmma_f32_16x16x16_f16 v[104:111], v[204:207], v[32:35], v[104:111]
	v_wmma_f32_16x16x16_f16 v[88:95], v[164:167], v[28:31], v[88:95]
	;; [unrolled: 1-line block ×3, first 2 shown]
	s_wait_dscnt 0xe
	v_lshrrev_b32_e32 v45, 16, v72
	v_cvt_f32_f16_e32 v44, v72
	v_lshrrev_b32_e32 v47, 16, v73
	v_cvt_f32_f16_e32 v46, v73
	v_wmma_f32_16x16x16_f16 v[104:111], v[208:211], v[28:31], v[104:111]
	v_cvt_f32_f16_e32 v41, v45
	v_add_f32_e32 v40, v60, v44
	s_wait_dscnt 0x7
	v_lshrrev_b32_e32 v69, 16, v131
	v_cvt_f32_f16_e32 v43, v47
	v_cvt_f32_f16_e64 v68, v131
	v_add_f32_e32 v41, v61, v41
	v_lshrrev_b32_e32 v71, 16, v74
	v_cvt_f32_f16_e32 v45, v69
	v_wmma_f32_16x16x16_f16 v[88:95], v[168:171], v[24:27], v[88:95]
	v_wmma_f32_16x16x16_f16 v[96:103], v[188:191], v[24:27], v[96:103]
	;; [unrolled: 1-line block ×3, first 2 shown]
	v_dual_add_f32 v42, v62, v46 :: v_dual_add_f32 v43, v63, v43
	v_dual_add_f32 v24, 0x40051340, v40 :: v_dual_add_f32 v25, 0x40051340, v41
	v_cvt_f32_f16_e32 v70, v74
	v_lshrrev_b32_e32 v73, 16, v125
	v_cvt_f32_f16_e32 v47, v71
	v_dual_add_f32 v44, v64, v68 :: v_dual_add_f32 v45, v65, v45
	v_dual_add_f32 v26, 0x40051340, v42 :: v_dual_add_f32 v27, 0x40051340, v43
	v_max3_num_f32 v24, v126, v24, v25
	v_cvt_f32_f16_e32 v72, v125
	v_cvt_f32_f16_e64 v74, v153
	v_lshrrev_b32_e32 v125, 16, v153
	v_cvt_f32_f16_e32 v69, v73
	v_dual_add_f32 v46, v66, v70 :: v_dual_add_f32 v47, v67, v47
	v_add_f32_e32 v60, v88, v72
	v_dual_add_f32 v25, 0x40051340, v44 :: v_dual_add_f32 v28, 0x40051340, v45
	v_max3_num_f32 v24, v24, v26, v27
	v_cvt_f32_f16_e64 v131, v135
	v_lshrrev_b32_e32 v135, 16, v135
	v_cvt_f32_f16_e32 v71, v125
	v_dual_add_f32 v61, v89, v69 :: v_dual_add_f32 v62, v90, v74
	v_dual_add_f32 v26, 0x40051340, v46 :: v_dual_add_f32 v27, 0x40051340, v47
	v_max3_num_f32 v24, v24, v25, v28
	v_cvt_f32_f16_e64 v153, v134
	v_lshrrev_b32_e32 v134, 16, v134
	v_cvt_f32_f16_e64 v192, v136
	v_cvt_f32_f16_e64 v73, v135
	s_delay_alu instid0(VALU_DEP_4)
	v_dual_add_f32 v63, v91, v71 :: v_dual_add_f32 v66, v94, v153
	v_dual_add_f32 v25, 0x40051340, v60 :: v_dual_add_f32 v64, v92, v131
	v_add_f32_e32 v28, 0x40051340, v61
	v_max3_num_f32 v24, v24, v26, v27
	v_lshrrev_b32_e32 v136, 16, v136
	s_wait_dscnt 0x6
	v_cvt_f32_f16_e64 v193, v216
	v_lshrrev_b32_e32 v194, 16, v216
	s_wait_dscnt 0x5
	v_lshrrev_b32_e32 v216, 16, v217
	v_cvt_f32_f16_e64 v112, v134
	v_dual_add_f32 v65, v93, v73 :: v_dual_add_f32 v68, v96, v192
	v_dual_add_f32 v26, 0x40051340, v62 :: v_dual_add_f32 v27, 0x40051340, v63
	v_max3_num_f32 v24, v24, v25, v28
	v_cvt_f32_f16_e64 v113, v136
	v_cvt_f32_f16_e64 v114, v194
	;; [unrolled: 1-line block ×3, first 2 shown]
	v_add_f32_e32 v67, v95, v112
	v_dual_add_f32 v25, 0x40051340, v64 :: v_dual_add_f32 v28, 0x40051340, v65
	v_max3_num_f32 v24, v24, v26, v27
	s_wait_dscnt 0x3
	v_cvt_f32_f16_e64 v223, v219
	v_lshrrev_b32_e32 v219, 16, v219
	v_dual_add_f32 v26, 0x40051340, v66 :: v_dual_add_f32 v39, v98, v193
	v_add_f32_e32 v36, v101, v115
	v_add_f32_e32 v69, v97, v113
	v_dual_add_f32 v27, 0x40051340, v67 :: v_dual_add_f32 v38, v99, v114
	v_max3_num_f32 v24, v24, v25, v28
	v_cvt_f32_f16_e64 v195, v217
	v_cvt_f32_f16_e64 v217, v218
	v_lshrrev_b32_e32 v218, 16, v218
	s_wait_dscnt 0x2
	v_cvt_f32_f16_e64 v224, v220
	v_lshrrev_b32_e32 v220, 16, v220
	v_cvt_f32_f16_e64 v117, v219
	v_add_f32_e32 v25, 0x40051340, v68
	v_max3_num_f32 v24, v24, v26, v27
	v_add_f32_e32 v26, 0x40051340, v39
	v_add_f32_e32 v28, 0x40051340, v69
	v_cvt_f32_f16_e64 v116, v218
	v_cvt_f32_f16_e64 v118, v220
	v_add_f32_e32 v37, v100, v195
	v_dual_add_f32 v27, 0x40051340, v38 :: v_dual_add_f32 v32, v105, v117
	v_max3_num_f32 v24, v24, v25, v28
	s_wait_dscnt 0x1
	v_cvt_f32_f16_e64 v225, v221
	v_lshrrev_b32_e32 v221, 16, v221
	v_dual_add_f32 v35, v102, v217 :: v_dual_add_f32 v30, v107, v118
	v_dual_add_f32 v34, v103, v116 :: v_dual_add_f32 v25, 0x40051340, v37
	v_add_f32_e32 v28, 0x40051340, v36
	v_max3_num_f32 v24, v24, v26, v27
	s_wait_dscnt 0x0
	v_cvt_f32_f16_e64 v226, v222
	v_lshrrev_b32_e32 v222, 16, v222
	v_cvt_f32_f16_e64 v119, v221
	v_dual_add_f32 v33, v104, v223 :: v_dual_add_f32 v70, 0x40051340, v32
	v_dual_add_f32 v26, 0x40051340, v35 :: v_dual_add_f32 v27, 0x40051340, v34
	v_max3_num_f32 v24, v24, v25, v28
	v_cvt_f32_f16_e64 v125, v222
	v_add_f32_e32 v31, v106, v224
	v_dual_add_f32 v25, 0x40051340, v33 :: v_dual_add_f32 v28, v109, v119
	s_delay_alu instid0(VALU_DEP_4) | instskip(NEXT) | instid1(VALU_DEP_2)
	v_max3_num_f32 v24, v24, v26, v27
	v_dual_add_f32 v29, v108, v225 :: v_dual_add_f32 v72, 0x40051340, v28
	s_delay_alu instid0(VALU_DEP_2) | instskip(SKIP_4) | instid1(VALU_DEP_2)
	v_max3_num_f32 v70, v24, v25, v70
	v_add_f32_e32 v24, v111, v125
	v_dual_add_f32 v26, 0x40051340, v31 :: v_dual_add_f32 v25, v110, v226
	v_add_f32_e32 v27, 0x40051340, v30
	v_add_f32_e32 v71, 0x40051340, v29
	v_max3_num_f32 v73, v70, v26, v27
	s_wait_alu 0xfffd
	v_dual_cndmask_b32 v27, v154, v155 :: v_dual_add_f32 v70, 0x40051340, v24
	v_add_f32_e32 v26, 0x40051340, v25
	s_delay_alu instid0(VALU_DEP_3) | instskip(SKIP_2) | instid1(VALU_DEP_2)
	v_max3_num_f32 v71, v73, v71, v72
	v_mul_lo_u32 v72, s1, v48
	s_mov_b32 s1, 0
	v_max3_num_f32 v26, v71, v26, v70
	v_lshlrev_b32_e32 v27, 2, v27
	v_mul_hi_u32 v70, s0, v48
	v_mul_lo_u32 v48, s0, v48
	v_add_nc_u32_e32 v49, v49, v72
	v_lshlrev_b64_e32 v[72:73], 2, v[86:87]
	ds_bpermute_b32 v74, v27, v26
	v_add_nc_u32_e32 v49, v49, v70
	v_lshlrev_b64_e32 v[70:71], 2, v[84:85]
	s_delay_alu instid0(VALU_DEP_2) | instskip(NEXT) | instid1(VALU_DEP_1)
	v_lshlrev_b64_e32 v[48:49], 2, v[48:49]
	v_add_co_u32 v84, vcc_lo, s8, v48
	s_wait_alu 0xfffd
	s_delay_alu instid0(VALU_DEP_2)
	v_add_co_ci_u32_e64 v85, null, s9, v49, vcc_lo
	s_wait_dscnt 0x0
	v_max_num_f32_e32 v48, v74, v74
	v_add_co_u32 v49, vcc_lo, v84, v70
	s_wait_alu 0xfffd
	v_add_co_ci_u32_e64 v70, null, v85, v71, vcc_lo
	s_delay_alu instid0(VALU_DEP_3) | instskip(NEXT) | instid1(VALU_DEP_3)
	v_max_num_f32_e32 v26, v26, v48
	v_add_co_u32 v48, vcc_lo, v49, v52
	s_wait_alu 0xfffd
	s_delay_alu instid0(VALU_DEP_3) | instskip(NEXT) | instid1(VALU_DEP_3)
	v_add_co_ci_u32_e64 v49, null, v70, v53, vcc_lo
	v_sub_f32_e32 v40, v40, v26
	v_sub_f32_e32 v44, v44, v26
	;; [unrolled: 1-line block ×5, first 2 shown]
	v_dual_mul_f32 v67, 0x3fb8aa3b, v40 :: v_dual_sub_f32 v46, v46, v26
	v_mul_f32_e32 v71, 0x3fb8aa3b, v44
	v_cmp_ngt_f32_e32 vcc_lo, 0xc2ce8ed0, v40
	v_sub_f32_e32 v38, v38, v26
	s_delay_alu instid0(VALU_DEP_4)
	v_fma_f32 v100, 0x3fb8aa3b, v40, -v67
	v_sub_f32_e32 v65, v65, v26
	v_rndne_f32_e32 v101, v67
	v_sub_f32_e32 v64, v64, v26
	v_rndne_f32_e32 v109, v71
	v_dual_fmac_f32 v100, 0x32a5705f, v40 :: v_dual_sub_f32 v63, v63, v26
	v_dual_mul_f32 v96, 0x3fb8aa3b, v65 :: v_dual_sub_f32 v61, v61, v26
	v_dual_sub_f32 v86, v68, v26 :: v_dual_sub_f32 v67, v67, v101
	s_delay_alu instid0(VALU_DEP_3) | instskip(NEXT) | instid1(VALU_DEP_3)
	v_dual_mul_f32 v94, 0x3fb8aa3b, v63 :: v_dual_sub_f32 v47, v47, v26
	v_dual_mul_f32 v92, 0x3fb8aa3b, v61 :: v_dual_sub_f32 v45, v45, v26
	v_dual_sub_f32 v60, v60, v26 :: v_dual_mul_f32 v95, 0x3fb8aa3b, v64
	s_delay_alu instid0(VALU_DEP_3) | instskip(NEXT) | instid1(VALU_DEP_3)
	v_dual_mul_f32 v90, 0x3fb8aa3b, v47 :: v_dual_sub_f32 v43, v43, v26
	v_dual_mul_f32 v88, 0x3fb8aa3b, v45 :: v_dual_sub_f32 v41, v41, v26
	s_delay_alu instid0(VALU_DEP_3) | instskip(NEXT) | instid1(VALU_DEP_3)
	v_dual_sub_f32 v62, v62, v26 :: v_dual_mul_f32 v91, 0x3fb8aa3b, v60
	v_mul_f32_e32 v70, 0x3fb8aa3b, v43
	s_delay_alu instid0(VALU_DEP_3) | instskip(NEXT) | instid1(VALU_DEP_4)
	v_fma_f32 v110, 0x3fb8aa3b, v45, -v88
	v_mul_f32_e32 v68, 0x3fb8aa3b, v41
	v_rndne_f32_e32 v111, v88
	v_mul_f32_e32 v93, 0x3fb8aa3b, v62
	s_delay_alu instid0(VALU_DEP_4) | instskip(NEXT) | instid1(VALU_DEP_4)
	v_dual_add_f32 v67, v67, v100 :: v_dual_fmac_f32 v110, 0x32a5705f, v45
	v_fma_f32 v102, 0x3fb8aa3b, v41, -v68
	v_sub_f32_e32 v87, v69, v26
	v_rndne_f32_e32 v103, v68
	v_mul_f32_e32 v69, 0x3fb8aa3b, v42
	v_fma_f32 v114, 0x3fb8aa3b, v47, -v90
	v_fmac_f32_e32 v102, 0x32a5705f, v41
	v_sub_f32_e32 v88, v88, v111
	v_sub_f32_e32 v68, v68, v103
	v_fma_f32 v104, 0x3fb8aa3b, v42, -v69
	v_rndne_f32_e32 v105, v69
	v_sub_f32_e32 v66, v66, v26
	v_rndne_f32_e32 v127, v93
	v_add_f32_e32 v68, v68, v102
	s_delay_alu instid0(VALU_DEP_4)
	v_dual_fmac_f32 v104, 0x32a5705f, v42 :: v_dual_sub_f32 v69, v69, v105
	v_exp_f32_e32 v67, v67
	v_fma_f32 v125, 0x3fb8aa3b, v62, -v93
	v_cvt_i32_f32_e32 v101, v101
	v_sub_f32_e32 v93, v93, v127
	v_dual_fmac_f32 v114, 0x32a5705f, v47 :: v_dual_add_f32 v69, v69, v104
	v_add_f32_e32 v88, v88, v110
	v_exp_f32_e32 v68, v68
	v_fma_f32 v106, 0x3fb8aa3b, v43, -v70
	v_rndne_f32_e32 v107, v70
	v_fma_f32 v130, 0x3fb8aa3b, v64, -v95
	v_cvt_i32_f32_e32 v103, v103
	v_exp_f32_e32 v69, v69
	v_exp_f32_e32 v88, v88
	v_ldexp_f32 v67, v67, v101
	v_dual_mul_f32 v89, 0x3fb8aa3b, v46 :: v_dual_sub_f32 v70, v70, v107
	v_rndne_f32_e32 v115, v90
	v_mul_f32_e32 v97, 0x3fb8aa3b, v66
	v_cvt_i32_f32_e32 v105, v105
	v_dual_fmac_f32 v106, 0x32a5705f, v43 :: v_dual_fmac_f32 v125, 0x32a5705f, v62
	v_cvt_i32_f32_e32 v111, v111
	s_wait_alu 0xfffd
	v_dual_fmac_f32 v130, 0x32a5705f, v64 :: v_dual_cndmask_b32 v67, 0, v67
	v_ldexp_f32 v68, v68, v103
	v_cmp_ngt_f32_e32 vcc_lo, 0xc2ce8ed0, v41
	v_fma_f32 v108, 0x3fb8aa3b, v44, -v71
	v_rndne_f32_e32 v113, v89
	v_sub_f32_e32 v90, v90, v115
	v_fma_f32 v136, 0x3fb8aa3b, v66, -v97
	v_ldexp_f32 v69, v69, v105
	v_ldexp_f32 v88, v88, v111
	v_add_f32_e32 v70, v70, v106
	s_wait_alu 0xfffd
	v_cndmask_b32_e32 v68, 0, v68, vcc_lo
	v_cmp_ngt_f32_e32 vcc_lo, 0xc2ce8ed0, v42
	v_fma_f32 v112, 0x3fb8aa3b, v46, -v89
	v_rndne_f32_e32 v117, v91
	v_fma_f32 v118, 0x3fb8aa3b, v61, -v92
	v_rndne_f32_e32 v131, v95
	v_dual_fmac_f32 v108, 0x32a5705f, v44 :: v_dual_sub_f32 v71, v71, v109
	v_dual_sub_f32 v89, v89, v113 :: v_dual_mul_f32 v98, 0x3fb8aa3b, v74
	s_wait_alu 0xfffd
	v_dual_fmac_f32 v136, 0x32a5705f, v66 :: v_dual_cndmask_b32 v69, 0, v69
	v_exp_f32_e32 v70, v70
	v_cmp_nlt_f32_e32 vcc_lo, 0x42b17218, v40
	v_fma_f32 v116, 0x3fb8aa3b, v60, -v91
	v_cvt_i32_f32_e32 v107, v107
	v_sub_f32_e32 v91, v91, v117
	v_rndne_f32_e32 v143, v98
	v_dual_sub_f32 v95, v95, v131 :: v_dual_fmac_f32 v118, 0x32a5705f, v61
	s_wait_alu 0xfffd
	v_dual_add_f32 v71, v71, v108 :: v_dual_cndmask_b32 v100, 0x7f800000, v67
	v_cmp_nlt_f32_e32 vcc_lo, 0x42b17218, v41
	v_fma_f32 v142, 0x3fb8aa3b, v74, -v98
	v_sub_f32_e32 v98, v98, v143
	s_delay_alu instid0(VALU_DEP_4)
	v_exp_f32_e32 v71, v71
	v_ldexp_f32 v70, v70, v107
	s_wait_alu 0xfffd
	v_cndmask_b32_e32 v101, 0x7f800000, v68, vcc_lo
	v_cmp_ngt_f32_e32 vcc_lo, 0xc2ce8ed0, v43
	v_cvt_i32_f32_e32 v109, v109
	v_fma_f32 v128, 0x3fb8aa3b, v63, -v94
	v_rndne_f32_e32 v141, v97
	v_fmac_f32_e32 v112, 0x32a5705f, v46
	s_wait_alu 0xfffd
	v_cndmask_b32_e32 v40, 0, v70, vcc_lo
	v_cmp_nlt_f32_e32 vcc_lo, 0x42b17218, v42
	v_ldexp_f32 v71, v71, v109
	v_dual_sub_f32 v97, v97, v141 :: v_dual_fmac_f32 v128, 0x32a5705f, v63
	s_wait_alu 0xfffd
	v_dual_add_f32 v89, v89, v112 :: v_dual_cndmask_b32 v102, 0x7f800000, v69
	v_cmp_ngt_f32_e32 vcc_lo, 0xc2ce8ed0, v44
	v_dual_fmac_f32 v142, 0x32a5705f, v74 :: v_dual_add_f32 v41, v100, v101
	s_delay_alu instid0(VALU_DEP_3)
	v_exp_f32_e32 v89, v89
	v_cvt_i32_f32_e32 v113, v113
	s_wait_alu 0xfffd
	v_cndmask_b32_e32 v42, 0, v71, vcc_lo
	v_cmp_nlt_f32_e32 vcc_lo, 0x42b17218, v43
	v_add_f32_e32 v90, v90, v114
	v_rndne_f32_e32 v129, v94
	v_dual_fmac_f32 v116, 0x32a5705f, v60 :: v_dual_add_f32 v93, v93, v125
	s_wait_alu 0xfffd
	v_cndmask_b32_e32 v103, 0x7f800000, v40, vcc_lo
	v_cmp_ngt_f32_e32 vcc_lo, 0xc2ce8ed0, v45
	v_add_f32_e32 v40, v102, v41
	v_exp_f32_e32 v90, v90
	v_ldexp_f32 v89, v89, v113
	v_rndne_f32_e32 v119, v92
	s_wait_alu 0xfffd
	v_cndmask_b32_e32 v41, 0, v88, vcc_lo
	v_cmp_nlt_f32_e32 vcc_lo, 0x42b17218, v44
	v_cvt_i32_f32_e32 v115, v115
	v_dual_sub_f32 v94, v94, v129 :: v_dual_add_f32 v91, v91, v116
	v_dual_mul_f32 v99, 0x3fb8aa3b, v86 :: v_dual_sub_f32 v92, v92, v119
	s_wait_alu 0xfffd
	v_cndmask_b32_e32 v88, 0x7f800000, v42, vcc_lo
	v_cmp_ngt_f32_e32 vcc_lo, 0xc2ce8ed0, v46
	v_exp_f32_e32 v91, v91
	v_ldexp_f32 v90, v90, v115
	v_cvt_i32_f32_e32 v117, v117
	v_add_f32_e32 v92, v92, v118
	s_wait_alu 0xfffd
	v_dual_cndmask_b32 v42, 0, v89 :: v_dual_sub_f32 v37, v37, v26
	v_cmp_nlt_f32_e32 vcc_lo, 0x42b17218, v45
	v_fma_f32 v134, 0x3fb8aa3b, v65, -v96
	v_exp_f32_e32 v92, v92
	v_rndne_f32_e32 v135, v96
	v_ldexp_f32 v91, v91, v117
	s_wait_alu 0xfffd
	v_cndmask_b32_e32 v89, 0x7f800000, v41, vcc_lo
	v_cmp_ngt_f32_e32 vcc_lo, 0xc2ce8ed0, v47
	v_add_f32_e32 v94, v94, v128
	v_cvt_i32_f32_e32 v119, v119
	v_dual_fmac_f32 v134, 0x32a5705f, v65 :: v_dual_add_f32 v95, v95, v130
	s_wait_alu 0xfffd
	v_cndmask_b32_e32 v41, 0, v90, vcc_lo
	v_cmp_nlt_f32_e32 vcc_lo, 0x42b17218, v46
	v_dual_sub_f32 v96, v96, v135 :: v_dual_add_f32 v97, v97, v136
	v_exp_f32_e32 v93, v93
	v_ldexp_f32 v92, v92, v119
	s_wait_alu 0xfffd
	v_cndmask_b32_e32 v90, 0x7f800000, v42, vcc_lo
	v_cmp_ngt_f32_e32 vcc_lo, 0xc2ce8ed0, v60
	v_cvt_i32_f32_e32 v127, v127
	v_exp_f32_e32 v94, v94
	v_cvt_i32_f32_e32 v129, v129
	v_sub_f32_e32 v36, v36, v26
	s_wait_alu 0xfffd
	v_cndmask_b32_e32 v42, 0, v91, vcc_lo
	v_cmp_nlt_f32_e32 vcc_lo, 0x42b17218, v47
	v_ldexp_f32 v93, v93, v127
	v_exp_f32_e32 v95, v95
	v_cvt_i32_f32_e32 v131, v131
	v_cvt_i32_f32_e32 v135, v135
	s_wait_alu 0xfffd
	v_cndmask_b32_e32 v91, 0x7f800000, v41, vcc_lo
	v_cmp_ngt_f32_e32 vcc_lo, 0xc2ce8ed0, v61
	v_add_f32_e32 v96, v96, v134
	v_ldexp_f32 v94, v94, v129
	v_exp_f32_e32 v97, v97
	v_cvt_i32_f32_e32 v141, v141
	s_wait_alu 0xfffd
	v_cndmask_b32_e32 v41, 0, v92, vcc_lo
	v_cmp_nlt_f32_e32 vcc_lo, 0x42b17218, v60
	v_exp_f32_e32 v96, v96
	v_ldexp_f32 v95, v95, v131
	v_sub_f32_e32 v34, v34, v26
	v_sub_f32_e32 v35, v35, v26
	s_wait_alu 0xfffd
	v_cndmask_b32_e32 v92, 0x7f800000, v42, vcc_lo
	v_cmp_ngt_f32_e32 vcc_lo, 0xc2ce8ed0, v62
	v_ldexp_f32 v97, v97, v141
	v_sub_f32_e32 v33, v33, v26
	v_fma_f32 v144, 0x3fb8aa3b, v86, -v99
	v_rndne_f32_e32 v145, v99
	s_wait_alu 0xfffd
	v_cndmask_b32_e32 v42, 0, v93, vcc_lo
	v_cmp_nlt_f32_e32 vcc_lo, 0x42b17218, v61
	v_ldexp_f32 v96, v96, v135
	v_fmac_f32_e32 v144, 0x32a5705f, v86
	v_cvt_i32_f32_e32 v104, v143
	v_sub_f32_e32 v31, v31, v26
	s_wait_alu 0xfffd
	v_cndmask_b32_e32 v93, 0x7f800000, v41, vcc_lo
	v_cmp_ngt_f32_e32 vcc_lo, 0xc2ce8ed0, v63
	v_sub_f32_e32 v32, v32, v26
	v_sub_f32_e32 v29, v29, v26
	;; [unrolled: 1-line block ×4, first 2 shown]
	s_wait_alu 0xfffd
	v_cndmask_b32_e32 v41, 0, v94, vcc_lo
	v_cmp_nlt_f32_e32 vcc_lo, 0x42b17218, v62
	v_add3_u32 v119, 0, v235, v137
	v_sub_f32_e32 v30, v30, v26
	v_sub_f32_e32 v25, v25, v26
	s_wait_alu 0xfffd
	v_cndmask_b32_e32 v94, 0x7f800000, v42, vcc_lo
	v_cmp_ngt_f32_e32 vcc_lo, 0xc2ce8ed0, v64
	s_wait_alu 0xfffd
	v_cndmask_b32_e32 v42, 0, v95, vcc_lo
	v_cmp_nlt_f32_e32 vcc_lo, 0x42b17218, v63
	s_wait_alu 0xfffd
	v_dual_add_f32 v98, v98, v142 :: v_dual_cndmask_b32 v95, 0x7f800000, v41
	v_cmp_ngt_f32_e32 vcc_lo, 0xc2ce8ed0, v65
	s_delay_alu instid0(VALU_DEP_2)
	v_exp_f32_e32 v98, v98
	s_wait_alu 0xfffd
	v_cndmask_b32_e32 v41, 0, v96, vcc_lo
	v_cmp_nlt_f32_e32 vcc_lo, 0x42b17218, v64
	s_wait_alu 0xfffd
	v_cndmask_b32_e32 v96, 0x7f800000, v42, vcc_lo
	v_cmp_ngt_f32_e32 vcc_lo, 0xc2ce8ed0, v66
	s_wait_alu 0xfffd
	v_cndmask_b32_e32 v42, 0, v97, vcc_lo
	v_cmp_nlt_f32_e32 vcc_lo, 0x42b17218, v65
	s_wait_alu 0xfffd
	v_cndmask_b32_e32 v97, 0x7f800000, v41, vcc_lo
	v_cmp_nlt_f32_e32 vcc_lo, 0x42b17218, v66
	s_wait_alu 0xfffd
	v_dual_cndmask_b32 v105, 0x7f800000, v42 :: v_dual_add_f32 v40, v103, v40
	v_add_co_u32 v42, vcc_lo, v84, v72
	s_wait_alu 0xfffd
	v_add_co_ci_u32_e64 v43, null, v85, v73, vcc_lo
	s_delay_alu instid0(VALU_DEP_3) | instskip(NEXT) | instid1(VALU_DEP_3)
	v_add_f32_e32 v40, v88, v40
	v_add_co_u32 v44, vcc_lo, v42, v52
	s_wait_alu 0xfffd
	s_delay_alu instid0(VALU_DEP_3) | instskip(NEXT) | instid1(VALU_DEP_3)
	v_add_co_ci_u32_e64 v45, null, v43, v53, vcc_lo
	v_add_f32_e32 v40, v89, v40
	v_ldexp_f32 v73, v98, v104
	s_delay_alu instid0(VALU_DEP_2) | instskip(NEXT) | instid1(VALU_DEP_1)
	v_add_f32_e32 v40, v90, v40
	v_add_f32_e32 v40, v91, v40
	s_delay_alu instid0(VALU_DEP_1) | instskip(NEXT) | instid1(VALU_DEP_1)
	v_add_f32_e32 v40, v92, v40
	v_add_f32_e32 v40, v93, v40
	s_delay_alu instid0(VALU_DEP_1) | instskip(NEXT) | instid1(VALU_DEP_1)
	;; [unrolled: 3-line block ×3, first 2 shown]
	v_add_f32_e32 v40, v96, v40
	v_add_f32_e32 v106, v97, v40
	v_lshlrev_b64_e32 v[40:41], 2, v[76:77]
	s_delay_alu instid0(VALU_DEP_1) | instskip(SKIP_1) | instid1(VALU_DEP_2)
	v_add_co_u32 v42, vcc_lo, v84, v40
	s_wait_alu 0xfffd
	v_add_co_ci_u32_e64 v43, null, v85, v41, vcc_lo
	v_lshlrev_b64_e32 v[40:41], 2, v[78:79]
	s_delay_alu instid0(VALU_DEP_3) | instskip(SKIP_1) | instid1(VALU_DEP_3)
	v_add_co_u32 v52, vcc_lo, v42, v50
	s_wait_alu 0xfffd
	v_add_co_ci_u32_e64 v53, null, v43, v51, vcc_lo
	s_delay_alu instid0(VALU_DEP_3) | instskip(SKIP_3) | instid1(VALU_DEP_3)
	v_add_co_u32 v42, vcc_lo, v84, v40
	s_wait_alu 0xfffd
	v_add_co_ci_u32_e64 v43, null, v85, v41, vcc_lo
	v_lshlrev_b64_e32 v[40:41], 2, v[80:81]
	v_add_co_u32 v60, vcc_lo, v42, v50
	s_wait_alu 0xfffd
	s_delay_alu instid0(VALU_DEP_3) | instskip(SKIP_1) | instid1(VALU_DEP_4)
	v_add_co_ci_u32_e64 v61, null, v43, v51, vcc_lo
	v_lshlrev_b64_e32 v[42:43], 2, v[82:83]
	v_add_co_u32 v40, vcc_lo, v84, v40
	s_wait_alu 0xfffd
	v_add_co_ci_u32_e64 v41, null, v85, v41, vcc_lo
	v_mul_f32_e32 v80, 0x3fb8aa3b, v37
	s_delay_alu instid0(VALU_DEP_4)
	v_add_co_u32 v42, vcc_lo, v84, v42
	s_wait_alu 0xfffd
	v_add_co_ci_u32_e64 v43, null, v85, v43, vcc_lo
	v_add_co_u32 v64, vcc_lo, v40, v50
	s_wait_alu 0xfffd
	v_add_co_ci_u32_e64 v65, null, v41, v51, vcc_lo
	;; [unrolled: 3-line block ×3, first 2 shown]
	s_clause 0x5
	global_load_b128 v[40:43], v[48:49], off
	global_load_b128 v[44:47], v[44:45], off
	;; [unrolled: 1-line block ×6, first 2 shown]
	v_dual_sub_f32 v52, v99, v145 :: v_dual_mul_f32 v53, 0x3fb8aa3b, v87
	v_cmp_ngt_f32_e32 vcc_lo, 0xc2ce8ed0, v74
	v_cvt_f16_f32_e32 v82, v89
	v_cvt_f16_f32_e32 v84, v91
	s_delay_alu instid0(VALU_DEP_4)
	v_add_f32_e32 v52, v52, v144
	v_fma_f32 v76, 0x3fb8aa3b, v87, -v53
	v_rndne_f32_e32 v77, v53
	s_wait_alu 0xfffd
	v_cndmask_b32_e32 v73, 0, v73, vcc_lo
	v_cmp_nlt_f32_e32 vcc_lo, 0x42b17218, v74
	v_exp_f32_e32 v52, v52
	v_dual_fmac_f32 v76, 0x32a5705f, v87 :: v_dual_sub_f32 v53, v53, v77
	v_cvt_i32_f32_e32 v74, v145
	s_wait_alu 0xfffd
	v_cndmask_b32_e32 v73, 0x7f800000, v73, vcc_lo
	v_cmp_ngt_f32_e32 vcc_lo, 0xc2ce8ed0, v86
	v_cvt_i32_f32_e32 v77, v77
	v_dual_add_f32 v53, v53, v76 :: v_dual_mul_f32 v76, 0x3fb8aa3b, v39
	s_wait_loadcnt 0x5
	ds_store_b128 v54, v[40:43]
	s_wait_loadcnt 0x4
	ds_store_b128 v55, v[44:47]
	;; [unrolled: 2-line block ×6, first 2 shown]
	v_ldexp_f32 v52, v52, v74
	v_fma_f32 v74, 0x3fb8aa3b, v39, -v76
	v_rndne_f32_e32 v78, v76
	v_exp_f32_e32 v53, v53
	v_add3_u32 v50, 0, v124, v137
	s_wait_alu 0xfffd
	v_cndmask_b32_e32 v52, 0, v52, vcc_lo
	v_fmac_f32_e32 v74, 0x32a5705f, v39
	v_sub_f32_e32 v76, v76, v78
	v_cmp_nlt_f32_e32 vcc_lo, 0x42b17218, v86
	v_cvt_i32_f32_e32 v78, v78
	v_add_nc_u32_e32 v115, 0xc00, v50
	v_add_nc_u32_e32 v127, 0x2800, v50
	v_add_f32_e32 v74, v76, v74
	v_mul_f32_e32 v76, 0x3fb8aa3b, v38
	s_wait_alu 0xfffd
	v_cndmask_b32_e32 v52, 0x7f800000, v52, vcc_lo
	v_ldexp_f32 v53, v53, v77
	v_cmp_ngt_f32_e32 vcc_lo, 0xc2ce8ed0, v87
	v_exp_f32_e32 v74, v74
	v_fma_f32 v77, 0x3fb8aa3b, v38, -v76
	v_rndne_f32_e32 v79, v76
	s_wait_dscnt 0x0
	s_wait_alu 0xfffd
	v_cndmask_b32_e32 v53, 0, v53, vcc_lo
	v_cmp_nlt_f32_e32 vcc_lo, 0x42b17218, v87
	v_dual_fmac_f32 v77, 0x32a5705f, v38 :: v_dual_sub_f32 v76, v76, v79
	s_barrier_signal -1
	s_barrier_wait -1
	s_wait_alu 0xfffd
	v_cndmask_b32_e32 v53, 0x7f800000, v53, vcc_lo
	v_ldexp_f32 v74, v74, v78
	v_add_f32_e32 v76, v76, v77
	v_fma_f32 v77, 0x3fb8aa3b, v37, -v80
	v_rndne_f32_e32 v78, v80
	v_cmp_ngt_f32_e32 vcc_lo, 0xc2ce8ed0, v39
	global_inv scope:SCOPE_SE
	v_exp_f32_e32 v76, v76
	v_dual_fmac_f32 v77, 0x32a5705f, v37 :: v_dual_sub_f32 v80, v80, v78
	s_wait_alu 0xfffd
	v_cndmask_b32_e32 v74, 0, v74, vcc_lo
	v_cmp_nlt_f32_e32 vcc_lo, 0x42b17218, v39
	v_cvt_i32_f32_e32 v78, v78
	ds_load_2addr_b32 v[48:49], v50 offset1:16
	ds_load_2addr_b32 v[61:62], v50 offset0:32 offset1:52
	ds_load_2addr_b32 v[56:57], v50 offset0:104 offset1:120
	v_add_f32_e32 v77, v80, v77
	v_cvt_f16_f32_e32 v83, v90
	s_wait_alu 0xfffd
	v_cndmask_b32_e32 v39, 0x7f800000, v74, vcc_lo
	v_cvt_i32_f32_e32 v74, v79
	v_mul_f32_e32 v79, 0x3fb8aa3b, v36
	v_cmp_ngt_f32_e32 vcc_lo, 0xc2ce8ed0, v38
	v_cvt_f16_f32_e32 v47, v73
	v_cvt_f16_f32_e32 v51, v52
	v_ldexp_f32 v74, v76, v74
	v_exp_f32_e32 v76, v77
	v_fma_f32 v77, 0x3fb8aa3b, v36, -v79
	v_rndne_f32_e32 v80, v79
	v_pack_b32_f16 v40, v83, v84
	s_wait_alu 0xfffd
	v_cndmask_b32_e32 v74, 0, v74, vcc_lo
	v_cmp_nlt_f32_e32 vcc_lo, 0x42b17218, v38
	v_fmac_f32_e32 v77, 0x32a5705f, v36
	v_dual_sub_f32 v79, v79, v80 :: v_dual_add_nc_u32 v124, 0x1c00, v50
	v_cvt_f16_f32_e32 v41, v93
	s_wait_alu 0xfffd
	v_cndmask_b32_e32 v38, 0x7f800000, v74, vcc_lo
	v_ldexp_f32 v74, v76, v78
	v_dual_add_f32 v76, v79, v77 :: v_dual_mul_f32 v77, 0x3fb8aa3b, v35
	v_cmp_ngt_f32_e32 vcc_lo, 0xc2ce8ed0, v37
	v_cvt_f16_f32_e32 v45, v95
	v_cvt_f16_f32_e32 v46, v97
	s_delay_alu instid0(VALU_DEP_4)
	v_exp_f32_e32 v76, v76
	v_fma_f32 v78, 0x3fb8aa3b, v35, -v77
	s_wait_alu 0xfffd
	v_cndmask_b32_e32 v74, 0, v74, vcc_lo
	v_rndne_f32_e32 v79, v77
	v_cmp_nlt_f32_e32 vcc_lo, 0x42b17218, v37
	v_cvt_f16_f32_e32 v44, v105
	v_fmac_f32_e32 v78, 0x32a5705f, v35
	s_delay_alu instid0(VALU_DEP_4)
	v_sub_f32_e32 v77, v77, v79
	s_wait_alu 0xfffd
	v_cndmask_b32_e32 v37, 0x7f800000, v74, vcc_lo
	v_cvt_i32_f32_e32 v74, v80
	v_mul_f32_e32 v80, 0x3fb8aa3b, v34
	v_cmp_ngt_f32_e32 vcc_lo, 0xc2ce8ed0, v36
	v_cvt_f16_f32_e32 v42, v94
	v_cvt_f16_f32_e32 v55, v37
	v_ldexp_f32 v74, v76, v74
	v_add_f32_e32 v76, v77, v78
	v_fma_f32 v77, 0x3fb8aa3b, v34, -v80
	v_rndne_f32_e32 v78, v80
	v_pack_b32_f16 v44, v44, v47
	s_wait_alu 0xfffd
	v_cndmask_b32_e32 v74, 0, v74, vcc_lo
	v_exp_f32_e32 v76, v76
	v_fmac_f32_e32 v77, 0x32a5705f, v34
	v_sub_f32_e32 v80, v80, v78
	v_cmp_nlt_f32_e32 vcc_lo, 0x42b17218, v36
	v_cvt_i32_f32_e32 v78, v78
	v_pack_b32_f16 v42, v42, v45
	s_wait_alu 0xfffd
	v_dual_add_f32 v77, v80, v77 :: v_dual_cndmask_b32 v36, 0x7f800000, v74
	v_cvt_i32_f32_e32 v74, v79
	v_mul_f32_e32 v79, 0x3fb8aa3b, v33
	v_cmp_ngt_f32_e32 vcc_lo, 0xc2ce8ed0, v35
	v_cvt_f16_f32_e32 v43, v96
	v_cvt_f16_f32_e32 v60, v36
	v_ldexp_f32 v74, v76, v74
	v_exp_f32_e32 v76, v77
	v_fma_f32 v77, 0x3fb8aa3b, v33, -v79
	v_rndne_f32_e32 v80, v79
	v_add_f32_e32 v72, v105, v106
	s_wait_alu 0xfffd
	v_cndmask_b32_e32 v74, 0, v74, vcc_lo
	v_cmp_nlt_f32_e32 vcc_lo, 0x42b17218, v35
	v_fmac_f32_e32 v77, 0x32a5705f, v33
	v_sub_f32_e32 v79, v79, v80
	v_pack_b32_f16 v43, v43, v46
	v_pack_b32_f16 v47, v55, v60
	s_wait_alu 0xfffd
	v_cndmask_b32_e32 v35, 0x7f800000, v74, vcc_lo
	v_ldexp_f32 v74, v76, v78
	v_add_f32_e32 v76, v79, v77
	v_cmp_ngt_f32_e32 vcc_lo, 0xc2ce8ed0, v34
	v_mul_f32_e32 v77, 0x3fb8aa3b, v32
	v_cvt_f16_f32_e32 v111, v35
	s_delay_alu instid0(VALU_DEP_4)
	v_exp_f32_e32 v76, v76
	s_wait_alu 0xfffd
	v_cndmask_b32_e32 v74, 0, v74, vcc_lo
	v_cmp_nlt_f32_e32 vcc_lo, 0x42b17218, v34
	v_fma_f32 v78, 0x3fb8aa3b, v32, -v77
	v_rndne_f32_e32 v79, v77
	s_wait_alu 0xfffd
	v_cndmask_b32_e32 v34, 0x7f800000, v74, vcc_lo
	v_cvt_i32_f32_e32 v74, v80
	v_mul_f32_e32 v80, 0x3fb8aa3b, v31
	v_fmac_f32_e32 v78, 0x32a5705f, v32
	v_cmp_ngt_f32_e32 vcc_lo, 0xc2ce8ed0, v33
	v_cvt_f16_f32_e32 v112, v34
	v_ldexp_f32 v74, v76, v74
	v_sub_f32_e32 v76, v77, v79
	v_fma_f32 v77, 0x3fb8aa3b, v31, -v80
	v_rndne_f32_e32 v81, v80
	v_add_f32_e32 v72, v73, v72
	s_wait_alu 0xfffd
	v_cndmask_b32_e32 v74, 0, v74, vcc_lo
	v_dual_add_f32 v76, v76, v78 :: v_dual_fmac_f32 v77, 0x32a5705f, v31
	v_sub_f32_e32 v78, v80, v81
	v_mul_f32_e32 v80, 0x3fb8aa3b, v30
	v_cmp_nlt_f32_e32 vcc_lo, 0x42b17218, v33
	v_add_f32_e32 v72, v52, v72
	v_exp_f32_e32 v33, v76
	v_cvt_f16_f32_e32 v52, v53
	v_fma_f32 v76, 0x3fb8aa3b, v30, -v80
	s_wait_alu 0xfffd
	v_dual_cndmask_b32 v85, 0x7f800000, v74 :: v_dual_add_f32 v74, v78, v77
	v_rndne_f32_e32 v77, v80
	v_cvt_i32_f32_e32 v78, v79
	v_fmac_f32_e32 v76, 0x32a5705f, v30
	v_cmp_ngt_f32_e32 vcc_lo, 0xc2ce8ed0, v32
	s_delay_alu instid0(VALU_DEP_4) | instskip(NEXT) | instid1(VALU_DEP_4)
	v_dual_add_f32 v72, v53, v72 :: v_dual_sub_f32 v79, v80, v77
	v_ldexp_f32 v33, v33, v78
	v_exp_f32_e32 v74, v74
	v_mul_f32_e32 v80, 0x3fb8aa3b, v29
	v_cvt_i32_f32_e32 v78, v81
	s_wait_alu 0xfffd
	v_dual_add_f32 v76, v79, v76 :: v_dual_cndmask_b32 v33, 0, v33
	v_cmp_nlt_f32_e32 vcc_lo, 0x42b17218, v32
	v_cvt_i32_f32_e32 v32, v77
	v_fma_f32 v79, 0x3fb8aa3b, v29, -v80
	s_delay_alu instid0(VALU_DEP_4)
	v_exp_f32_e32 v76, v76
	v_rndne_f32_e32 v81, v80
	v_ldexp_f32 v74, v74, v78
	s_wait_alu 0xfffd
	v_cndmask_b32_e32 v86, 0x7f800000, v33, vcc_lo
	v_fmac_f32_e32 v79, 0x32a5705f, v29
	v_cmp_ngt_f32_e32 vcc_lo, 0xc2ce8ed0, v31
	v_sub_f32_e32 v78, v80, v81
	v_cvt_f16_f32_e32 v53, v39
	v_pack_b32_f16 v45, v51, v52
	v_ldexp_f32 v32, v76, v32
	s_wait_alu 0xfffd
	v_dual_mul_f32 v76, 0x3fb8aa3b, v25 :: v_dual_cndmask_b32 v33, 0, v74
	v_add_f32_e32 v74, v78, v79
	v_cmp_nlt_f32_e32 vcc_lo, 0x42b17218, v31
	v_mul_f32_e32 v79, 0x3fb8aa3b, v24
	s_delay_alu instid0(VALU_DEP_4)
	v_fma_f32 v77, 0x3fb8aa3b, v25, -v76
	v_add_f32_e32 v72, v39, v72
	v_exp_f32_e32 v31, v74
	s_wait_alu 0xfffd
	v_cndmask_b32_e32 v104, 0x7f800000, v33, vcc_lo
	v_cmp_ngt_f32_e32 vcc_lo, 0xc2ce8ed0, v30
	v_dual_fmac_f32 v77, 0x32a5705f, v25 :: v_dual_add_f32 v72, v38, v72
	v_sub_f32_e32 v74, v126, v26
	v_rndne_f32_e32 v78, v76
	s_wait_alu 0xfffd
	v_cndmask_b32_e32 v32, 0, v32, vcc_lo
	v_cmp_nlt_f32_e32 vcc_lo, 0x42b17218, v30
	v_add_f32_e32 v72, v37, v72
	v_mul_f32_e32 v30, 0x3fb8aa3b, v28
	v_rndne_f32_e32 v80, v79
	v_add3_u32 v126, 0, v75, v137
	s_wait_alu 0xfffd
	v_cndmask_b32_e32 v106, 0x7f800000, v32, vcc_lo
	v_add_f32_e32 v72, v36, v72
	v_cmp_ngt_f32_e32 vcc_lo, 0xc2ce8ed0, v29
	s_delay_alu instid0(VALU_DEP_2) | instskip(NEXT) | instid1(VALU_DEP_1)
	v_add_f32_e32 v72, v35, v72
	v_add_f32_e32 v72, v34, v72
	s_delay_alu instid0(VALU_DEP_1) | instskip(NEXT) | instid1(VALU_DEP_1)
	v_add_f32_e32 v72, v85, v72
	v_add_f32_e32 v72, v86, v72
	s_delay_alu instid0(VALU_DEP_1) | instskip(SKIP_2) | instid1(VALU_DEP_3)
	v_add_f32_e32 v33, v104, v72
	v_cvt_i32_f32_e32 v72, v81
	v_cvt_f16_f32_e32 v81, v88
	v_add_f32_e32 v32, v106, v33
	s_delay_alu instid0(VALU_DEP_3)
	v_ldexp_f32 v31, v31, v72
	v_fma_f32 v33, 0x3fb8aa3b, v28, -v30
	v_rndne_f32_e32 v72, v30
	v_pack_b32_f16 v39, v81, v82
	s_wait_alu 0xfffd
	v_cndmask_b32_e32 v31, 0, v31, vcc_lo
	v_cmp_nlt_f32_e32 vcc_lo, 0x42b17218, v29
	v_fmac_f32_e32 v33, 0x32a5705f, v28
	v_dual_sub_f32 v30, v30, v72 :: v_dual_mul_f32 v29, 0x3fb8aa3b, v74
	v_cvt_i32_f32_e32 v72, v72
	s_wait_alu 0xfffd
	v_cndmask_b32_e32 v107, 0x7f800000, v31, vcc_lo
	v_cmp_ngt_f32_e32 vcc_lo, 0xc2ce8ed0, v28
	v_add_f32_e32 v30, v30, v33
	v_rndne_f32_e32 v33, v29
	s_delay_alu instid0(VALU_DEP_4) | instskip(SKIP_1) | instid1(VALU_DEP_4)
	v_add_f32_e32 v31, v107, v32
	v_fma_f32 v32, 0x3fb8aa3b, v74, -v29
	v_exp_f32_e32 v30, v30
	s_delay_alu instid0(VALU_DEP_3) | instskip(SKIP_1) | instid1(VALU_DEP_3)
	v_sub_f32_e32 v29, v29, v33
	v_cvt_i32_f32_e32 v33, v33
	v_fmac_f32_e32 v32, 0x32a5705f, v74
	s_delay_alu instid0(VALU_DEP_1) | instskip(NEXT) | instid1(TRANS32_DEP_1)
	v_dual_add_f32 v29, v29, v32 :: v_dual_sub_f32 v32, v76, v78
	v_ldexp_f32 v30, v30, v72
	v_fma_f32 v76, 0x3fb8aa3b, v24, -v79
	v_sub_f32_e32 v72, v79, v80
	s_delay_alu instid0(VALU_DEP_4)
	v_exp_f32_e32 v29, v29
	v_add_f32_e32 v32, v32, v77
	s_wait_alu 0xfffd
	v_cndmask_b32_e32 v30, 0, v30, vcc_lo
	v_cmp_nlt_f32_e32 vcc_lo, 0x42b17218, v28
	v_fmac_f32_e32 v76, 0x32a5705f, v24
	v_cvt_i32_f32_e32 v28, v78
	v_exp_f32_e32 v32, v32
	v_cvt_f16_f32_e32 v77, v100
	s_wait_alu 0xfffd
	v_cndmask_b32_e32 v113, 0x7f800000, v30, vcc_lo
	v_cmp_ngt_f32_e32 vcc_lo, 0xc2ce8ed0, v74
	v_ldexp_f32 v29, v29, v33
	v_add_f32_e32 v72, v72, v76
	v_cvt_f16_f32_e32 v78, v101
	v_add_f32_e32 v31, v113, v31
	v_cvt_f16_f32_e32 v79, v102
	s_wait_alu 0xfffd
	v_cndmask_b32_e32 v29, 0, v29, vcc_lo
	v_cmp_nlt_f32_e32 vcc_lo, 0x42b17218, v74
	v_ldexp_f32 v28, v32, v28
	v_exp_f32_e32 v30, v72
	v_cvt_i32_f32_e32 v32, v80
	v_cvt_f16_f32_e32 v80, v103
	s_wait_alu 0xfffd
	v_cndmask_b32_e32 v29, 0x7f800000, v29, vcc_lo
	v_cmp_ngt_f32_e32 vcc_lo, 0xc2ce8ed0, v25
	s_wait_dscnt 0x1
	v_perm_b32 v33, v62, v48, 0x5040100
	v_cvt_f16_f32_e32 v54, v38
	v_pack_b32_f16 v38, v79, v80
	v_pack_b32_f16 v37, v77, v78
	s_wait_alu 0xfffd
	v_cndmask_b32_e32 v28, 0, v28, vcc_lo
	v_cmp_le_f32_e32 vcc_lo, 0xc1a00000, v74
	v_ldexp_f32 v30, v30, v32
	v_cvt_f16_f32_e32 v101, v92
	v_pack_b32_f16 v46, v53, v54
	s_wait_alu 0xfffd
	v_cndmask_b32_e32 v29, 0, v29, vcc_lo
	v_cmp_nlt_f32_e32 vcc_lo, 0x42b17218, v25
	v_pack_b32_f16 v41, v101, v41
	s_wait_alu 0xfffd
	v_cndmask_b32_e32 v114, 0x7f800000, v28, vcc_lo
	v_cmp_ngt_f32_e32 vcc_lo, 0xc2ce8ed0, v24
	v_cvt_f16_f32_e32 v28, v29
	s_delay_alu instid0(VALU_DEP_3)
	v_cvt_f16_f32_e32 v51, v114
	s_wait_alu 0xfffd
	v_cndmask_b32_e32 v25, 0, v30, vcc_lo
	v_cmp_nlt_f32_e32 vcc_lo, 0x42b17218, v24
	v_add_f32_e32 v30, v114, v31
	s_wait_alu 0xfffd
	s_delay_alu instid0(VALU_DEP_3) | instskip(NEXT) | instid1(VALU_DEP_1)
	v_cndmask_b32_e32 v24, 0x7f800000, v25, vcc_lo
	v_dual_add_f32 v28, v24, v30 :: v_dual_and_b32 v25, 0xffff, v28
	s_delay_alu instid0(VALU_DEP_1) | instskip(SKIP_1) | instid1(VALU_DEP_3)
	v_mul_u32_u24_e32 v30, 0x10001, v25
	v_cvt_f16_f32_e32 v24, v24
	v_dual_mov_b32 v25, 0 :: v_dual_fmac_f32 v28, v140, v29
	v_add_nc_u32_e32 v29, 0x200, v50
	ds_load_2addr_b32 v[63:64], v50 offset0:136 offset1:156
	ds_load_2addr_b32 v[58:59], v50 offset0:208 offset1:224
	;; [unrolled: 1-line block ×3, first 2 shown]
	ds_load_2addr_b32 v[67:68], v119 offset1:16
	ds_load_2addr_b32 v[69:70], v126 offset1:16
	v_pk_mul_f16 v20, v20, v30
	v_pk_mul_f16 v21, v21, v30
	;; [unrolled: 1-line block ×24, first 2 shown]
	s_wait_dscnt 0x4
	v_perm_b32 v30, v64, v56, 0x7060302
	v_perm_b32 v34, v64, v56, 0x5040100
	v_add_nc_u32_e32 v56, 0x1000, v50
	v_perm_b32 v29, v62, v48, 0x7060302
	v_add_nc_u32_e32 v48, 0xc00, v119
	s_wait_dscnt 0x2
	v_perm_b32 v31, v66, v58, 0x7060302
	v_perm_b32 v35, v66, v58, 0x5040100
	v_add_nc_u32_e32 v58, 0xc00, v126
	s_wait_dscnt 0x0
	v_perm_b32 v32, v69, v67, 0x7060302
	v_perm_b32 v36, v69, v67, 0x5040100
	ds_load_2addr_b32 v[66:67], v115 offset0:64 offset1:80
	ds_load_2addr_b32 v[71:72], v115 offset0:96 offset1:116
	;; [unrolled: 1-line block ×8, first 2 shown]
	v_add_nc_u32_e32 v69, 0x1800, v50
	v_cvt_f16_f32_e32 v62, v85
	v_cvt_f16_f32_e32 v64, v86
	v_wmma_f16_16x16x16_f16 v[16:19], v[29:32], v[37:40], v[16:19]
	v_add_nc_u32_e32 v31, 0x1800, v119
	ds_load_2addr_b32 v[85:86], v69 offset0:128 offset1:144
	ds_load_2addr_b32 v[87:88], v69 offset0:160 offset1:180
	;; [unrolled: 1-line block ×3, first 2 shown]
	v_add_nc_u32_e32 v32, 0x1800, v126
	ds_load_2addr_b32 v[91:92], v124 offset0:8 offset1:28
	ds_load_2addr_b32 v[93:94], v124 offset0:80 offset1:96
	;; [unrolled: 1-line block ×5, first 2 shown]
	v_wmma_f16_16x16x16_f16 v[20:23], v[33:36], v[37:40], v[20:23]
	v_cvt_f16_f32_e32 v58, v107
	v_pack_b32_f16 v48, v111, v112
	v_perm_b32 v60, v70, v68, 0x5040100
	v_pack_b32_f16 v52, v51, v24
	ds_bpermute_b32 v27, v27, v28
	s_wait_dscnt 0xf
	v_perm_b32 v29, v72, v66, 0x7060302
	s_wait_dscnt 0xb
	v_perm_b32 v31, v80, v77, 0x7060302
	v_perm_b32 v30, v76, v73, 0x7060302
	s_wait_dscnt 0x9
	v_perm_b32 v32, v83, v81, 0x7060302
	v_perm_b32 v36, v83, v81, 0x5040100
	;; [unrolled: 1-line block ×5, first 2 shown]
	v_wmma_f16_16x16x16_f16 v[16:19], v[29:32], v[41:44], v[16:19]
	v_add_nc_u32_e32 v32, 0x2400, v50
	ds_load_2addr_b32 v[72:73], v32 offset0:192 offset1:208
	ds_load_2addr_b32 v[76:77], v32 offset0:224 offset1:244
	v_add_nc_u32_e32 v32, 0x2400, v119
	v_wmma_f16_16x16x16_f16 v[20:23], v[33:36], v[41:44], v[20:23]
	v_add_nc_u32_e32 v33, 0x2400, v126
	v_cvt_f16_f32_e32 v66, v104
	v_cvt_f16_f32_e32 v83, v106
	ds_load_2addr_b32 v[80:81], v127 offset0:40 offset1:56
	ds_load_2addr_b32 v[101:102], v127 offset0:72 offset1:92
	;; [unrolled: 1-line block ×6, first 2 shown]
	v_add_nc_u32_e32 v32, 0x400, v50
	s_wait_dscnt 0xf
	v_perm_b32 v29, v88, v85, 0x7060302
	s_wait_dscnt 0xd
	v_perm_b32 v30, v92, v89, 0x7060302
	;; [unrolled: 2-line block ×3, first 2 shown]
	v_perm_b32 v35, v96, v93, 0x5040100
	v_perm_b32 v34, v92, v89, 0x5040100
	;; [unrolled: 1-line block ×3, first 2 shown]
	ds_load_2addr_b32 v[88:89], v50 offset0:68 offset1:84
	ds_load_2addr_b32 v[92:93], v50 offset0:172 offset1:188
	;; [unrolled: 1-line block ×3, first 2 shown]
	s_wait_dscnt 0xc
	v_perm_b32 v36, v99, v97, 0x5040100
	v_perm_b32 v32, v99, v97, 0x7060302
	v_cvt_f16_f32_e32 v50, v113
	ds_load_2addr_b32 v[96:97], v115 offset0:132 offset1:148
	ds_load_2addr_b32 v[113:114], v115 offset0:236 offset1:252
	;; [unrolled: 1-line block ×3, first 2 shown]
	v_perm_b32 v56, v70, v68, 0x7060302
	ds_load_2addr_b32 v[68:69], v69 offset0:196 offset1:212
	ds_load_2addr_b32 v[117:118], v124 offset0:44 offset1:60
	;; [unrolled: 1-line block ×3, first 2 shown]
	v_wmma_f16_16x16x16_f16 v[20:23], v[33:36], v[45:48], v[20:23]
	s_wait_dscnt 0xd
	v_perm_b32 v34, v102, v80, 0x5040100
	v_perm_b32 v33, v77, v72, 0x5040100
	s_wait_dscnt 0xa
	v_perm_b32 v36, v107, v105, 0x5040100
	s_wait_dscnt 0x9
	v_perm_b32 v35, v110, v103, 0x5040100
	v_pack_b32_f16 v51, v58, v50
	v_pack_b32_f16 v50, v66, v83
	v_wmma_f16_16x16x16_f16 v[16:19], v[29:32], v[45:48], v[16:19]
	v_perm_b32 v29, v77, v72, 0x7060302
	v_perm_b32 v30, v102, v80, 0x7060302
	s_wait_dscnt 0x8
	v_perm_b32 v53, v88, v49, 0x7060302
	s_wait_dscnt 0x7
	v_perm_b32 v54, v92, v57, 0x7060302
	s_wait_dscnt 0x6
	v_perm_b32 v55, v111, v59, 0x7060302
	v_perm_b32 v59, v111, v59, 0x5040100
	;; [unrolled: 1-line block ×4, first 2 shown]
	v_pack_b32_f16 v49, v62, v64
	v_wmma_f16_16x16x16_f16 v[8:11], v[53:56], v[37:40], v[8:11]
	s_wait_dscnt 0x5
	v_perm_b32 v53, v96, v67, 0x7060302
	s_wait_dscnt 0x4
	v_perm_b32 v54, v113, v74, 0x7060302
	;; [unrolled: 2-line block ×3, first 2 shown]
	v_perm_b32 v56, v84, v82, 0x7060302
	ds_load_b32 v24, v119 offset:128
	ds_load_b32 v62, v126 offset:128
	v_wmma_f16_16x16x16_f16 v[12:15], v[57:60], v[37:40], v[12:15]
	v_perm_b32 v60, v84, v82, 0x5040100
	v_perm_b32 v59, v115, v78, 0x5040100
	v_perm_b32 v57, v96, v67, 0x5040100
	v_wmma_f16_16x16x16_f16 v[20:23], v[33:36], v[49:52], v[20:23]
	v_wmma_f16_16x16x16_f16 v[8:11], v[53:56], v[41:44], v[8:11]
	s_wait_dscnt 0x4
	v_perm_b32 v33, v68, v86, 0x7060302
	v_perm_b32 v53, v68, v86, 0x5040100
	ds_load_2addr_b32 v[66:67], v127 offset0:4 offset1:20
	ds_load_2addr_b32 v[77:78], v127 offset0:108 offset1:124
	ds_load_2addr_b32 v[82:83], v127 offset0:212 offset1:228
	ds_load_b32 v64, v119 offset:3456
	ds_load_b32 v68, v126 offset:3456
	v_perm_b32 v58, v113, v74, 0x5040100
	ds_load_b32 v70, v119 offset:6784
	ds_load_b32 v72, v126 offset:6784
	;; [unrolled: 1-line block ×4, first 2 shown]
	v_perm_b32 v56, v100, v98, 0x5040100
	s_wait_dscnt 0xb
	v_perm_b32 v55, v124, v94, 0x5040100
	v_perm_b32 v54, v117, v90, 0x5040100
	v_wmma_f16_16x16x16_f16 v[12:15], v[57:60], v[41:44], v[12:15]
	v_perm_b32 v59, v112, v65, 0x5040100
	v_perm_b32 v58, v93, v63, 0x5040100
	s_wait_dscnt 0x9
	v_perm_b32 v60, v62, v24, 0x5040100
	v_perm_b32 v57, v89, v61, 0x5040100
	v_wmma_f16_16x16x16_f16 v[12:15], v[53:56], v[45:48], v[12:15]
	v_perm_b32 v53, v89, v61, 0x7060302
	v_perm_b32 v54, v93, v63, 0x7060302
	;; [unrolled: 1-line block ×4, first 2 shown]
	v_wmma_f16_16x16x16_f16 v[4:7], v[57:60], v[37:40], v[4:7]
	v_perm_b32 v34, v117, v90, 0x7060302
	v_perm_b32 v35, v124, v94, 0x7060302
	;; [unrolled: 1-line block ×3, first 2 shown]
	v_wmma_f16_16x16x16_f16 v[0:3], v[53:56], v[37:40], v[0:3]
	v_perm_b32 v37, v97, v71, 0x7060302
	v_perm_b32 v38, v114, v75, 0x7060302
	;; [unrolled: 1-line block ×3, first 2 shown]
	s_wait_dscnt 0x4
	v_perm_b32 v56, v68, v64, 0x5040100
	v_perm_b32 v55, v116, v79, 0x5040100
	;; [unrolled: 1-line block ×7, first 2 shown]
	v_wmma_f16_16x16x16_f16 v[8:11], v[33:36], v[45:48], v[8:11]
	v_wmma_f16_16x16x16_f16 v[4:7], v[53:56], v[41:44], v[4:7]
	;; [unrolled: 1-line block ×3, first 2 shown]
	v_perm_b32 v37, v69, v87, 0x7060302
	v_perm_b32 v38, v118, v91, 0x7060302
	;; [unrolled: 1-line block ×3, first 2 shown]
	s_wait_dscnt 0x2
	v_perm_b32 v44, v72, v70, 0x5040100
	v_perm_b32 v43, v125, v95, 0x5040100
	;; [unrolled: 1-line block ×13, first 2 shown]
	v_wmma_f16_16x16x16_f16 v[4:7], v[41:44], v[45:48], v[4:7]
	v_wmma_f16_16x16x16_f16 v[0:3], v[37:40], v[45:48], v[0:3]
	v_perm_b32 v37, v67, v76, 0x7060302
	v_perm_b32 v38, v78, v101, 0x7060302
	;; [unrolled: 1-line block ×3, first 2 shown]
	s_wait_dscnt 0x0
	v_perm_b32 v44, v74, v80, 0x5040100
	v_perm_b32 v43, v83, v109, 0x5040100
	;; [unrolled: 1-line block ×5, first 2 shown]
	v_wmma_f16_16x16x16_f16 v[16:19], v[29:32], v[49:52], v[16:19]
	v_wmma_f16_16x16x16_f16 v[12:15], v[54:57], v[49:52], v[12:15]
	;; [unrolled: 1-line block ×5, first 2 shown]
	s_wait_loadcnt 0x0
	s_barrier_signal -1
	s_barrier_wait -1
	global_inv scope:SCOPE_SE
	s_wait_loadcnt 0x0
	s_barrier_signal -1
	s_barrier_wait -1
	global_inv scope:SCOPE_SE
	v_cmpx_gt_u32_e32 16, v232
	s_cbranch_execz .LBB14_588
; %bb.587:
	v_readlane_b32 s6, v255, 1
	v_or_b32_e32 v24, v138, v232
	v_readlane_b32 s7, v255, 2
	v_add_f32_e32 v27, v28, v27
	s_add_co_i32 s0, s6, ttmp9
	v_lshlrev_b64_e32 v[29:30], 3, v[24:25]
	s_wait_alu 0xfffe
	s_lshl_b32 s0, s0, 6
	s_wait_alu 0xfffe
	s_lshl_b64 s[6:7], s[0:1], 3
	s_wait_alu 0xfffe
	s_add_nc_u64 s[6:7], s[22:23], s[6:7]
	s_wait_alu 0xfffe
	v_add_co_u32 v29, vcc_lo, s6, v29
	s_wait_alu 0xfffd
	v_add_co_ci_u32_e64 v30, null, s7, v30, vcc_lo
	global_store_b64 v[29:30], v[26:27], off
.LBB14_588:
	s_wait_alu 0xfffe
	s_or_b32 exec_lo, exec_lo, s2
	v_or_b32_e32 v24, v138, v123
	v_lshlrev_b32_e32 v26, 2, v139
	v_perm_b32 v27, v16, v20, 0x5040100
	v_perm_b32 v16, v16, v20, 0x7060302
	s_clause 0x1
	s_load_b32 s0, s[4:5], 0x0
	s_load_u16 s2, s[4:5], 0x12
	v_mul_i32_i24_e32 v20, 0xd0, v24
	v_perm_b32 v24, v17, v21, 0x5040100
	v_perm_b32 v17, v17, v21, 0x7060302
	;; [unrolled: 1-line block ×4, first 2 shown]
	v_add3_u32 v20, 0, v20, v26
	v_perm_b32 v22, v19, v23, 0x5040100
	v_perm_b32 v19, v19, v23, 0x7060302
	v_mov_b32_e32 v23, v25
	v_mov_b32_e32 v29, v25
	ds_store_2addr_b32 v20, v27, v16 offset1:1
	ds_store_2addr_b32 v20, v24, v17 offset0:2 offset1:3
	ds_store_2addr_b32 v20, v21, v18 offset0:4 offset1:5
	;; [unrolled: 1-line block ×3, first 2 shown]
	v_perm_b32 v16, v8, v12, 0x5040100
	v_perm_b32 v8, v8, v12, 0x7060302
	;; [unrolled: 1-line block ×16, first 2 shown]
	ds_store_2addr_b32 v20, v16, v8 offset0:16 offset1:17
	ds_store_2addr_b32 v20, v12, v9 offset0:18 offset1:19
	;; [unrolled: 1-line block ×8, first 2 shown]
	s_wait_storecnt 0x0
	s_wait_loadcnt_dscnt 0x0
	s_barrier_signal -1
	s_barrier_wait -1
	global_inv scope:SCOPE_SE
	ds_load_2addr_b32 v[0:1], v120 offset1:208
	v_mul_u32_u24_e32 v6, 48, v231
	s_wait_kmcnt 0x0
	s_cmp_lg_u32 s2, 0
	s_cselect_b32 s2, -1, 0
	s_delay_alu instid0(VALU_DEP_1)
	v_add_lshl_u32 v10, v6, v232, 3
	s_wait_alu 0xfffe
	s_cmp_lg_u32 s2, 0
	s_add_co_ci_u32 s0, s0, 0
	s_wait_alu 0xfffe
	s_lshl_b32 s0, s0, 7
	s_wait_alu 0xfffe
	s_lshl_b64 s[2:3], s[0:1], 3
	s_mul_i32 s0, ttmp9, 0xc00
	s_wait_alu 0xfffe
	s_add_nc_u64 s[2:3], s[22:23], s[2:3]
	s_lshl_b64 s[0:1], s[0:1], 3
	s_wait_alu 0xfffe
	s_add_nc_u64 s[0:1], s[2:3], s[0:1]
	s_wait_dscnt 0x0
	v_lshrrev_b32_e32 v4, 16, v0
	v_cvt_f32_f16_e32 v0, v0
	s_delay_alu instid0(VALU_DEP_2) | instskip(NEXT) | instid1(VALU_DEP_2)
	v_cvt_f32_f16_e32 v5, v4
	v_add_f32_e32 v4, 0, v0
	v_lshrrev_b32_e32 v0, 16, v1
	v_cvt_f32_f16_e32 v1, v1
	s_delay_alu instid0(VALU_DEP_4) | instskip(NEXT) | instid1(VALU_DEP_3)
	v_add_f32_e32 v5, 0, v5
	v_cvt_f32_f16_e32 v6, v0
	v_add_nc_u32_e32 v2, 0x600, v120
	s_delay_alu instid0(VALU_DEP_2)
	v_dual_add_f32 v0, 0, v1 :: v_dual_add_f32 v1, 0, v6
	ds_load_2addr_b32 v[2:3], v2 offset0:32 offset1:240
	s_wait_dscnt 0x0
	v_lshrrev_b32_e32 v7, 16, v2
	v_cvt_f32_f16_e32 v12, v3
	v_cvt_f32_f16_e32 v2, v2
	s_delay_alu instid0(VALU_DEP_3) | instskip(SKIP_2) | instid1(VALU_DEP_4)
	v_cvt_f32_f16_e32 v11, v7
	v_lshrrev_b32_e32 v7, 16, v3
	v_and_b32_e32 v3, 15, v122
	v_add_f32_e32 v2, 0, v2
	s_delay_alu instid0(VALU_DEP_3) | instskip(SKIP_1) | instid1(VALU_DEP_4)
	v_cvt_f32_f16_e32 v14, v7
	v_and_b32_e32 v8, 15, v231
	v_and_or_b32 v15, 0x1ff0, v228, v3
	v_and_or_b32 v16, 0x1ff0, v229, v3
	;; [unrolled: 1-line block ×3, first 2 shown]
	s_delay_alu instid0(VALU_DEP_4) | instskip(NEXT) | instid1(VALU_DEP_4)
	v_and_or_b32 v9, 0x7f0, v233, v8
	v_mad_u32_u24 v15, 0xd0, v15, v133
	s_delay_alu instid0(VALU_DEP_4) | instskip(NEXT) | instid1(VALU_DEP_4)
	v_mad_u32_u24 v16, 0xd0, v16, v133
	v_mad_u32_u24 v3, 0xd0, v3, v133
	s_delay_alu instid0(VALU_DEP_4)
	v_mad_u32_u24 v6, 0xd0, v9, v121
	v_add_nc_u32_e32 v9, 0x1000, v120
	ds_load_b32 v13, v6
	ds_load_2addr_b32 v[6:7], v9 offset0:16 offset1:224
	v_and_or_b32 v9, 0x7f0, v227, v8
	v_and_or_b32 v8, 0x7f0, v230, v8
	s_delay_alu instid0(VALU_DEP_2) | instskip(NEXT) | instid1(VALU_DEP_2)
	v_mad_u32_u24 v9, 0xd0, v9, v121
	v_mad_u32_u24 v8, 0xd0, v8, v121
	ds_load_b32 v17, v120 offset:5824
	ds_load_b32 v18, v9
	ds_load_b32 v19, v8
	ds_load_b32 v20, v132 offset:128
	ds_load_b32 v15, v15 offset:128
	;; [unrolled: 1-line block ×4, first 2 shown]
	v_dual_add_f32 v3, 0, v11 :: v_dual_add_f32 v8, 0, v12
	v_add_f32_e32 v9, 0, v14
	s_clause 0x3
	global_store_b64 v10, v[4:5], s[0:1]
	global_store_b64 v10, v[0:1], s[0:1] offset:1536
	global_store_b64 v10, v[2:3], s[0:1] offset:3072
	;; [unrolled: 1-line block ×3, first 2 shown]
	v_add_nc_u32_e32 v3, 0x1d00, v120
	v_add_nc_u32_e32 v8, 0x1800, v10
	s_wait_dscnt 0x8
	v_cvt_f32_f16_e32 v11, v13
	s_wait_dscnt 0x7
	v_lshrrev_b32_e32 v2, 16, v6
	v_lshrrev_b32_e32 v16, 16, v13
	v_cvt_f32_f16_e32 v4, v6
	v_lshrrev_b32_e32 v6, 16, v7
	v_add_f32_e32 v0, 0, v11
	v_cvt_f32_f16_e32 v5, v2
	ds_load_2addr_b32 v[2:3], v3 offset0:16 offset1:224
	v_cvt_f32_f16_e32 v12, v16
	v_cvt_f32_f16_e32 v7, v7
	;; [unrolled: 1-line block ×3, first 2 shown]
	v_dual_add_f32 v4, 0, v4 :: v_dual_add_nc_u32 v11, 0x1e00, v10
	s_delay_alu instid0(VALU_DEP_4) | instskip(NEXT) | instid1(VALU_DEP_4)
	v_add_f32_e32 v1, 0, v12
	v_dual_add_f32 v5, 0, v5 :: v_dual_add_f32 v6, 0, v7
	s_delay_alu instid0(VALU_DEP_4)
	v_add_f32_e32 v7, 0, v9
	s_wait_dscnt 0x7
	v_cvt_f32_f16_e32 v13, v17
	v_add_nc_u32_e32 v9, 0x2400, v10
	s_clause 0x2
	global_store_b64 v8, v[0:1], s[0:1]
	global_store_b64 v11, v[4:5], s[0:1]
	;; [unrolled: 1-line block ×3, first 2 shown]
	s_wait_dscnt 0x6
	v_lshrrev_b32_e32 v4, 16, v18
	ds_load_b32 v11, v120 offset:9152
	v_lshrrev_b32_e32 v12, 16, v17
	v_cvt_f32_f16_e32 v5, v18
	v_add_f32_e32 v0, 0, v13
	s_wait_dscnt 0x1
	v_lshrrev_b32_e32 v6, 16, v2
	v_cvt_f32_f16_e32 v7, v4
	v_cvt_f32_f16_e32 v2, v2
	v_add_nc_u32_e32 v9, 0x2a00, v120
	v_cvt_f32_f16_e32 v12, v12
	v_cvt_f32_f16_e32 v8, v6
	v_dual_add_f32 v4, 0, v5 :: v_dual_add_f32 v5, 0, v7
	s_delay_alu instid0(VALU_DEP_3) | instskip(NEXT) | instid1(VALU_DEP_3)
	v_dual_add_f32 v6, 0, v2 :: v_dual_add_f32 v1, 0, v12
	v_dual_add_f32 v7, 0, v8 :: v_dual_add_nc_u32 v12, 0x2a00, v10
	v_add_nc_u32_e32 v2, 0x3600, v10
	ds_load_2addr_b32 v[8:9], v9 offset0:16 offset1:224
	v_add_nc_u32_e32 v13, 0x3000, v10
	v_lshrrev_b32_e32 v14, 16, v3
	s_clause 0x2
	global_store_b64 v12, v[0:1], s[0:1]
	global_store_b64 v13, v[4:5], s[0:1]
	;; [unrolled: 1-line block ×3, first 2 shown]
	s_wait_dscnt 0x1
	v_lshrrev_b32_e32 v2, 16, v11
	v_lshrrev_b32_e32 v4, 16, v19
	v_cvt_f32_f16_e32 v0, v3
	v_cvt_f32_f16_e32 v1, v14
	ds_load_b32 v6, v120 offset:12480
	v_cvt_f32_f16_e32 v3, v11
	v_cvt_f32_f16_e32 v5, v2
	;; [unrolled: 1-line block ×4, first 2 shown]
	v_dual_add_f32 v0, 0, v0 :: v_dual_add_f32 v1, 0, v1
	v_dual_add_f32 v2, 0, v3 :: v_dual_add_nc_u32 v7, 0x3c00, v10
	s_delay_alu instid0(VALU_DEP_4)
	v_dual_add_f32 v4, 0, v11 :: v_dual_add_nc_u32 v13, 0x4200, v10
	s_wait_dscnt 0x1
	v_lshrrev_b32_e32 v14, 16, v8
	v_cvt_f32_f16_e32 v8, v8
	v_add_f32_e32 v3, 0, v5
	v_add_f32_e32 v5, 0, v12
	v_add_nc_u32_e32 v11, 0x4800, v10
	s_clause 0x2
	global_store_b64 v7, v[0:1], s[0:1]
	global_store_b64 v13, v[2:3], s[0:1]
	;; [unrolled: 1-line block ×3, first 2 shown]
	ds_load_2addr_stride64_b32 v[2:3], v132 offset0:7 offset1:20
	v_cvt_f32_f16_e32 v12, v14
	v_add_f32_e32 v0, 0, v8
	v_lshrrev_b32_e32 v4, 16, v9
	v_add_nc_u32_e32 v5, 0x4e00, v10
	s_wait_dscnt 0x1
	v_lshrrev_b32_e32 v7, 16, v6
	v_add_f32_e32 v1, 0, v12
	v_cvt_f32_f16_e32 v8, v9
	v_cvt_f32_f16_e32 v4, v4
	v_lshrrev_b32_e32 v18, 16, v21
	v_lshrrev_b32_e32 v30, 16, v28
	global_store_b64 v5, v[0:1], s[0:1]
	v_cvt_f32_f16_e32 v5, v6
	v_cvt_f32_f16_e32 v6, v7
	v_add_f32_e32 v0, 0, v8
	v_mul_u32_u24_e32 v8, 48, v122
	s_delay_alu instid0(VALU_DEP_4) | instskip(SKIP_1) | instid1(VALU_DEP_3)
	v_dual_add_f32 v1, 0, v4 :: v_dual_add_f32 v4, 0, v5
	v_cvt_f32_f16_e32 v31, v30
	v_or_b32_e32 v24, v8, v123
	v_add_f32_e32 v5, 0, v6
	v_lshrrev_b32_e32 v6, 16, v20
	s_wait_dscnt 0x0
	v_cvt_f32_f16_e32 v16, v3
	v_add_nc_u32_e32 v7, 0x5400, v10
	v_lshrrev_b32_e32 v14, 16, v3
	v_mov_b32_e32 v11, v25
	s_delay_alu instid0(VALU_DEP_4)
	v_dual_add_f32 v31, 0, v31 :: v_dual_add_f32 v16, 0, v16
	global_store_b64 v7, v[0:1], s[0:1]
	v_cvt_f32_f16_e32 v1, v6
	v_lshrrev_b32_e32 v6, 16, v2
	v_cvt_f32_f16_e32 v2, v2
	v_cvt_f32_f16_e32 v0, v20
	;; [unrolled: 1-line block ×3, first 2 shown]
	v_add_nc_u32_e32 v9, 0x5a00, v10
	v_lshrrev_b32_e32 v10, 16, v15
	v_add_f32_e32 v8, 0, v2
	v_cvt_f32_f16_e32 v2, v15
	v_dual_mov_b32 v7, v25 :: v_dual_add_f32 v20, 0, v20
	global_store_b64 v9, v[4:5], s[0:1]
	v_cvt_f32_f16_e32 v9, v6
	v_add_f32_e32 v12, 0, v2
	ds_load_2addr_stride64_b32 v[2:3], v132 offset0:33 offset1:46
	v_dual_add_f32 v1, 0, v1 :: v_dual_add_nc_u32 v6, 0x180, v24
	v_cvt_f32_f16_e32 v13, v10
	v_add_nc_u32_e32 v10, 0x300, v24
	v_lshlrev_b64_e32 v[4:5], 3, v[24:25]
	v_cvt_f32_f16_e32 v17, v14
	v_add_nc_u32_e32 v14, 0x480, v24
	v_lshlrev_b64_e32 v[6:7], 3, v[6:7]
	v_add_f32_e32 v9, 0, v9
	v_cvt_f32_f16_e32 v21, v18
	v_add_nc_u32_e32 v18, 0x600, v24
	s_wait_alu 0xfffe
	v_add_co_u32 v4, vcc_lo, s0, v4
	v_add_f32_e32 v13, 0, v13
	s_wait_alu 0xfffd
	v_add_co_ci_u32_e64 v5, null, s1, v5, vcc_lo
	v_add_co_u32 v6, vcc_lo, s0, v6
	v_add_f32_e32 v17, 0, v17
	s_wait_dscnt 0x0
	v_lshrrev_b32_e32 v22, 16, v2
	v_cvt_f32_f16_e32 v2, v2
	v_cvt_f32_f16_e32 v32, v3
	v_mov_b32_e32 v19, v25
	s_wait_alu 0xfffd
	v_add_co_ci_u32_e64 v7, null, s1, v7, vcc_lo
	v_add_f32_e32 v26, 0, v2
	v_cvt_f32_f16_e32 v2, v28
	v_mov_b32_e32 v15, v25
	v_cvt_f32_f16_e32 v27, v22
	v_add_nc_u32_e32 v22, 0x780, v24
	v_lshlrev_b64_e32 v[10:11], 3, v[10:11]
	v_add_f32_e32 v30, 0, v2
	v_lshlrev_b64_e32 v[14:15], 3, v[14:15]
	v_add_nc_u32_e32 v28, 0x900, v24
	v_lshlrev_b64_e32 v[18:19], 3, v[18:19]
	v_lshrrev_b32_e32 v2, 16, v3
	v_add_nc_u32_e32 v24, 0xa80, v24
	v_add_co_u32 v10, vcc_lo, s0, v10
	v_lshlrev_b64_e32 v[22:23], 3, v[22:23]
	s_wait_alu 0xfffd
	v_add_co_ci_u32_e64 v11, null, s1, v11, vcc_lo
	v_add_co_u32 v14, vcc_lo, s0, v14
	v_lshlrev_b64_e32 v[28:29], 3, v[28:29]
	s_wait_alu 0xfffd
	v_add_co_ci_u32_e64 v15, null, s1, v15, vcc_lo
	v_add_co_u32 v18, vcc_lo, s0, v18
	v_cvt_f32_f16_e32 v33, v2
	v_lshlrev_b64_e32 v[2:3], 3, v[24:25]
	s_wait_alu 0xfffd
	v_add_co_ci_u32_e64 v19, null, s1, v19, vcc_lo
	v_add_co_u32 v22, vcc_lo, s0, v22
	v_add_f32_e32 v0, 0, v0
	s_wait_alu 0xfffd
	v_add_co_ci_u32_e64 v23, null, s1, v23, vcc_lo
	v_add_co_u32 v24, vcc_lo, s0, v28
	s_wait_alu 0xfffd
	v_add_co_ci_u32_e64 v25, null, s1, v29, vcc_lo
	v_add_co_u32 v2, vcc_lo, s0, v2
	v_add_f32_e32 v21, 0, v21
	v_dual_add_f32 v27, 0, v27 :: v_dual_add_f32 v28, 0, v32
	v_add_f32_e32 v29, 0, v33
	s_wait_alu 0xfffd
	v_add_co_ci_u32_e64 v3, null, s1, v3, vcc_lo
	s_clause 0x7
	global_store_b64 v[4:5], v[0:1], off offset:256
	global_store_b64 v[6:7], v[8:9], off offset:256
	;; [unrolled: 1-line block ×8, first 2 shown]
.LBB14_589:
	s_nop 0
	s_sendmsg sendmsg(MSG_DEALLOC_VGPRS)
	s_endpgm
	.section	.rodata,"a",@progbits
	.p2align	6, 0x0
	.amdhsa_kernel _ZL18flash_attn_ext_f16ILi96ELi96ELi32ELi2ELb0ELb0EEvPKcS1_S1_S1_S1_PKiPfP15HIP_vector_typeIfLj2EEffffjfiS5_IjLj3EEiiiiiiiiiiiliiliiiiil
		.amdhsa_group_segment_fixed_size 0
		.amdhsa_private_segment_fixed_size 636
		.amdhsa_kernarg_size 464
		.amdhsa_user_sgpr_count 2
		.amdhsa_user_sgpr_dispatch_ptr 0
		.amdhsa_user_sgpr_queue_ptr 0
		.amdhsa_user_sgpr_kernarg_segment_ptr 1
		.amdhsa_user_sgpr_dispatch_id 0
		.amdhsa_user_sgpr_private_segment_size 0
		.amdhsa_wavefront_size32 1
		.amdhsa_uses_dynamic_stack 0
		.amdhsa_enable_private_segment 1
		.amdhsa_system_sgpr_workgroup_id_x 1
		.amdhsa_system_sgpr_workgroup_id_y 0
		.amdhsa_system_sgpr_workgroup_id_z 0
		.amdhsa_system_sgpr_workgroup_info 0
		.amdhsa_system_vgpr_workitem_id 1
		.amdhsa_next_free_vgpr 256
		.amdhsa_next_free_sgpr 105
		.amdhsa_reserve_vcc 1
		.amdhsa_float_round_mode_32 0
		.amdhsa_float_round_mode_16_64 0
		.amdhsa_float_denorm_mode_32 3
		.amdhsa_float_denorm_mode_16_64 3
		.amdhsa_fp16_overflow 0
		.amdhsa_workgroup_processor_mode 1
		.amdhsa_memory_ordered 1
		.amdhsa_forward_progress 1
		.amdhsa_inst_pref_size 255
		.amdhsa_round_robin_scheduling 0
		.amdhsa_exception_fp_ieee_invalid_op 0
		.amdhsa_exception_fp_denorm_src 0
		.amdhsa_exception_fp_ieee_div_zero 0
		.amdhsa_exception_fp_ieee_overflow 0
		.amdhsa_exception_fp_ieee_underflow 0
		.amdhsa_exception_fp_ieee_inexact 0
		.amdhsa_exception_int_div_zero 0
	.end_amdhsa_kernel
	.section	.text._ZL18flash_attn_ext_f16ILi96ELi96ELi32ELi2ELb0ELb0EEvPKcS1_S1_S1_S1_PKiPfP15HIP_vector_typeIfLj2EEffffjfiS5_IjLj3EEiiiiiiiiiiiliiliiiiil,"axG",@progbits,_ZL18flash_attn_ext_f16ILi96ELi96ELi32ELi2ELb0ELb0EEvPKcS1_S1_S1_S1_PKiPfP15HIP_vector_typeIfLj2EEffffjfiS5_IjLj3EEiiiiiiiiiiiliiliiiiil,comdat
.Lfunc_end14:
	.size	_ZL18flash_attn_ext_f16ILi96ELi96ELi32ELi2ELb0ELb0EEvPKcS1_S1_S1_S1_PKiPfP15HIP_vector_typeIfLj2EEffffjfiS5_IjLj3EEiiiiiiiiiiiliiliiiiil, .Lfunc_end14-_ZL18flash_attn_ext_f16ILi96ELi96ELi32ELi2ELb0ELb0EEvPKcS1_S1_S1_S1_PKiPfP15HIP_vector_typeIfLj2EEffffjfiS5_IjLj3EEiiiiiiiiiiiliiliiiiil
                                        ; -- End function
	.set _ZL18flash_attn_ext_f16ILi96ELi96ELi32ELi2ELb0ELb0EEvPKcS1_S1_S1_S1_PKiPfP15HIP_vector_typeIfLj2EEffffjfiS5_IjLj3EEiiiiiiiiiiiliiliiiiil.num_vgpr, 256
	.set _ZL18flash_attn_ext_f16ILi96ELi96ELi32ELi2ELb0ELb0EEvPKcS1_S1_S1_S1_PKiPfP15HIP_vector_typeIfLj2EEffffjfiS5_IjLj3EEiiiiiiiiiiiliiliiiiil.num_agpr, 0
	.set _ZL18flash_attn_ext_f16ILi96ELi96ELi32ELi2ELb0ELb0EEvPKcS1_S1_S1_S1_PKiPfP15HIP_vector_typeIfLj2EEffffjfiS5_IjLj3EEiiiiiiiiiiiliiliiiiil.numbered_sgpr, 105
	.set _ZL18flash_attn_ext_f16ILi96ELi96ELi32ELi2ELb0ELb0EEvPKcS1_S1_S1_S1_PKiPfP15HIP_vector_typeIfLj2EEffffjfiS5_IjLj3EEiiiiiiiiiiiliiliiiiil.num_named_barrier, 0
	.set _ZL18flash_attn_ext_f16ILi96ELi96ELi32ELi2ELb0ELb0EEvPKcS1_S1_S1_S1_PKiPfP15HIP_vector_typeIfLj2EEffffjfiS5_IjLj3EEiiiiiiiiiiiliiliiiiil.private_seg_size, 636
	.set _ZL18flash_attn_ext_f16ILi96ELi96ELi32ELi2ELb0ELb0EEvPKcS1_S1_S1_S1_PKiPfP15HIP_vector_typeIfLj2EEffffjfiS5_IjLj3EEiiiiiiiiiiiliiliiiiil.uses_vcc, 1
	.set _ZL18flash_attn_ext_f16ILi96ELi96ELi32ELi2ELb0ELb0EEvPKcS1_S1_S1_S1_PKiPfP15HIP_vector_typeIfLj2EEffffjfiS5_IjLj3EEiiiiiiiiiiiliiliiiiil.uses_flat_scratch, 1
	.set _ZL18flash_attn_ext_f16ILi96ELi96ELi32ELi2ELb0ELb0EEvPKcS1_S1_S1_S1_PKiPfP15HIP_vector_typeIfLj2EEffffjfiS5_IjLj3EEiiiiiiiiiiiliiliiiiil.has_dyn_sized_stack, 0
	.set _ZL18flash_attn_ext_f16ILi96ELi96ELi32ELi2ELb0ELb0EEvPKcS1_S1_S1_S1_PKiPfP15HIP_vector_typeIfLj2EEffffjfiS5_IjLj3EEiiiiiiiiiiiliiliiiiil.has_recursion, 0
	.set _ZL18flash_attn_ext_f16ILi96ELi96ELi32ELi2ELb0ELb0EEvPKcS1_S1_S1_S1_PKiPfP15HIP_vector_typeIfLj2EEffffjfiS5_IjLj3EEiiiiiiiiiiiliiliiiiil.has_indirect_call, 0
	.section	.AMDGPU.csdata,"",@progbits
; Kernel info:
; codeLenInByte = 105608
; TotalNumSgprs: 107
; NumVgprs: 256
; ScratchSize: 636
; MemoryBound: 0
; FloatMode: 240
; IeeeMode: 1
; LDSByteSize: 0 bytes/workgroup (compile time only)
; SGPRBlocks: 0
; VGPRBlocks: 31
; NumSGPRsForWavesPerEU: 107
; NumVGPRsForWavesPerEU: 256
; Occupancy: 5
; WaveLimiterHint : 1
; COMPUTE_PGM_RSRC2:SCRATCH_EN: 1
; COMPUTE_PGM_RSRC2:USER_SGPR: 2
; COMPUTE_PGM_RSRC2:TRAP_HANDLER: 0
; COMPUTE_PGM_RSRC2:TGID_X_EN: 1
; COMPUTE_PGM_RSRC2:TGID_Y_EN: 0
; COMPUTE_PGM_RSRC2:TGID_Z_EN: 0
; COMPUTE_PGM_RSRC2:TIDIG_COMP_CNT: 1
	.section	.text._ZL18flash_attn_ext_f16ILi96ELi96ELi32ELi2ELb1ELb0EEvPKcS1_S1_S1_S1_PKiPfP15HIP_vector_typeIfLj2EEffffjfiS5_IjLj3EEiiiiiiiiiiiliiliiiiil,"axG",@progbits,_ZL18flash_attn_ext_f16ILi96ELi96ELi32ELi2ELb1ELb0EEvPKcS1_S1_S1_S1_PKiPfP15HIP_vector_typeIfLj2EEffffjfiS5_IjLj3EEiiiiiiiiiiiliiliiiiil,comdat
	.globl	_ZL18flash_attn_ext_f16ILi96ELi96ELi32ELi2ELb1ELb0EEvPKcS1_S1_S1_S1_PKiPfP15HIP_vector_typeIfLj2EEffffjfiS5_IjLj3EEiiiiiiiiiiiliiliiiiil ; -- Begin function _ZL18flash_attn_ext_f16ILi96ELi96ELi32ELi2ELb1ELb0EEvPKcS1_S1_S1_S1_PKiPfP15HIP_vector_typeIfLj2EEffffjfiS5_IjLj3EEiiiiiiiiiiiliiliiiiil
	.p2align	8
	.type	_ZL18flash_attn_ext_f16ILi96ELi96ELi32ELi2ELb1ELb0EEvPKcS1_S1_S1_S1_PKiPfP15HIP_vector_typeIfLj2EEffffjfiS5_IjLj3EEiiiiiiiiiiiliiliiiiil,@function
_ZL18flash_attn_ext_f16ILi96ELi96ELi32ELi2ELb1ELb0EEvPKcS1_S1_S1_S1_PKiPfP15HIP_vector_typeIfLj2EEffffjfiS5_IjLj3EEiiiiiiiiiiiliiliiiiil: ; @_ZL18flash_attn_ext_f16ILi96ELi96ELi32ELi2ELb1ELb0EEvPKcS1_S1_S1_S1_PKiPfP15HIP_vector_typeIfLj2EEffffjfiS5_IjLj3EEiiiiiiiiiiiliiliiiiil
; %bb.0:
	v_mov_b32_e32 v0, 0x6cc
	s_add_nc_u64 s[8:9], s[0:1], 0xd0
	s_getpc_b64 s[0:1]
	s_sext_i32_i16 s1, s1
	s_add_co_u32 s0, s0, _ZL14no_device_codePKciS0_iS0_@rel32@lo+8
	s_add_co_ci_u32 s1, s1, _ZL14no_device_codePKciS0_iS0_@rel32@hi+16
	s_mov_b32 s32, 0
	s_swappc_b64 s[30:31], s[0:1]
	.section	.rodata,"a",@progbits
	.p2align	6, 0x0
	.amdhsa_kernel _ZL18flash_attn_ext_f16ILi96ELi96ELi32ELi2ELb1ELb0EEvPKcS1_S1_S1_S1_PKiPfP15HIP_vector_typeIfLj2EEffffjfiS5_IjLj3EEiiiiiiiiiiiliiliiiiil
		.amdhsa_group_segment_fixed_size 0
		.amdhsa_private_segment_fixed_size 16
		.amdhsa_kernarg_size 464
		.amdhsa_user_sgpr_count 2
		.amdhsa_user_sgpr_dispatch_ptr 0
		.amdhsa_user_sgpr_queue_ptr 0
		.amdhsa_user_sgpr_kernarg_segment_ptr 1
		.amdhsa_user_sgpr_dispatch_id 0
		.amdhsa_user_sgpr_private_segment_size 0
		.amdhsa_wavefront_size32 1
		.amdhsa_uses_dynamic_stack 0
		.amdhsa_enable_private_segment 1
		.amdhsa_system_sgpr_workgroup_id_x 1
		.amdhsa_system_sgpr_workgroup_id_y 0
		.amdhsa_system_sgpr_workgroup_id_z 0
		.amdhsa_system_sgpr_workgroup_info 0
		.amdhsa_system_vgpr_workitem_id 0
		.amdhsa_next_free_vgpr 40
		.amdhsa_next_free_sgpr 34
		.amdhsa_reserve_vcc 1
		.amdhsa_float_round_mode_32 0
		.amdhsa_float_round_mode_16_64 0
		.amdhsa_float_denorm_mode_32 3
		.amdhsa_float_denorm_mode_16_64 3
		.amdhsa_fp16_overflow 0
		.amdhsa_workgroup_processor_mode 1
		.amdhsa_memory_ordered 1
		.amdhsa_forward_progress 1
		.amdhsa_inst_pref_size 1
		.amdhsa_round_robin_scheduling 0
		.amdhsa_exception_fp_ieee_invalid_op 0
		.amdhsa_exception_fp_denorm_src 0
		.amdhsa_exception_fp_ieee_div_zero 0
		.amdhsa_exception_fp_ieee_overflow 0
		.amdhsa_exception_fp_ieee_underflow 0
		.amdhsa_exception_fp_ieee_inexact 0
		.amdhsa_exception_int_div_zero 0
	.end_amdhsa_kernel
	.section	.text._ZL18flash_attn_ext_f16ILi96ELi96ELi32ELi2ELb1ELb0EEvPKcS1_S1_S1_S1_PKiPfP15HIP_vector_typeIfLj2EEffffjfiS5_IjLj3EEiiiiiiiiiiiliiliiiiil,"axG",@progbits,_ZL18flash_attn_ext_f16ILi96ELi96ELi32ELi2ELb1ELb0EEvPKcS1_S1_S1_S1_PKiPfP15HIP_vector_typeIfLj2EEffffjfiS5_IjLj3EEiiiiiiiiiiiliiliiiiil,comdat
.Lfunc_end15:
	.size	_ZL18flash_attn_ext_f16ILi96ELi96ELi32ELi2ELb1ELb0EEvPKcS1_S1_S1_S1_PKiPfP15HIP_vector_typeIfLj2EEffffjfiS5_IjLj3EEiiiiiiiiiiiliiliiiiil, .Lfunc_end15-_ZL18flash_attn_ext_f16ILi96ELi96ELi32ELi2ELb1ELb0EEvPKcS1_S1_S1_S1_PKiPfP15HIP_vector_typeIfLj2EEffffjfiS5_IjLj3EEiiiiiiiiiiiliiliiiiil
                                        ; -- End function
	.set _ZL18flash_attn_ext_f16ILi96ELi96ELi32ELi2ELb1ELb0EEvPKcS1_S1_S1_S1_PKiPfP15HIP_vector_typeIfLj2EEffffjfiS5_IjLj3EEiiiiiiiiiiiliiliiiiil.num_vgpr, max(1, .L_ZL14no_device_codePKciS0_iS0_.num_vgpr)
	.set _ZL18flash_attn_ext_f16ILi96ELi96ELi32ELi2ELb1ELb0EEvPKcS1_S1_S1_S1_PKiPfP15HIP_vector_typeIfLj2EEffffjfiS5_IjLj3EEiiiiiiiiiiiliiliiiiil.num_agpr, max(0, .L_ZL14no_device_codePKciS0_iS0_.num_agpr)
	.set _ZL18flash_attn_ext_f16ILi96ELi96ELi32ELi2ELb1ELb0EEvPKcS1_S1_S1_S1_PKiPfP15HIP_vector_typeIfLj2EEffffjfiS5_IjLj3EEiiiiiiiiiiiliiliiiiil.numbered_sgpr, max(33, .L_ZL14no_device_codePKciS0_iS0_.numbered_sgpr)
	.set _ZL18flash_attn_ext_f16ILi96ELi96ELi32ELi2ELb1ELb0EEvPKcS1_S1_S1_S1_PKiPfP15HIP_vector_typeIfLj2EEffffjfiS5_IjLj3EEiiiiiiiiiiiliiliiiiil.num_named_barrier, max(0, .L_ZL14no_device_codePKciS0_iS0_.num_named_barrier)
	.set _ZL18flash_attn_ext_f16ILi96ELi96ELi32ELi2ELb1ELb0EEvPKcS1_S1_S1_S1_PKiPfP15HIP_vector_typeIfLj2EEffffjfiS5_IjLj3EEiiiiiiiiiiiliiliiiiil.private_seg_size, 0+max(.L_ZL14no_device_codePKciS0_iS0_.private_seg_size)
	.set _ZL18flash_attn_ext_f16ILi96ELi96ELi32ELi2ELb1ELb0EEvPKcS1_S1_S1_S1_PKiPfP15HIP_vector_typeIfLj2EEffffjfiS5_IjLj3EEiiiiiiiiiiiliiliiiiil.uses_vcc, or(1, .L_ZL14no_device_codePKciS0_iS0_.uses_vcc)
	.set _ZL18flash_attn_ext_f16ILi96ELi96ELi32ELi2ELb1ELb0EEvPKcS1_S1_S1_S1_PKiPfP15HIP_vector_typeIfLj2EEffffjfiS5_IjLj3EEiiiiiiiiiiiliiliiiiil.uses_flat_scratch, or(0, .L_ZL14no_device_codePKciS0_iS0_.uses_flat_scratch)
	.set _ZL18flash_attn_ext_f16ILi96ELi96ELi32ELi2ELb1ELb0EEvPKcS1_S1_S1_S1_PKiPfP15HIP_vector_typeIfLj2EEffffjfiS5_IjLj3EEiiiiiiiiiiiliiliiiiil.has_dyn_sized_stack, or(0, .L_ZL14no_device_codePKciS0_iS0_.has_dyn_sized_stack)
	.set _ZL18flash_attn_ext_f16ILi96ELi96ELi32ELi2ELb1ELb0EEvPKcS1_S1_S1_S1_PKiPfP15HIP_vector_typeIfLj2EEffffjfiS5_IjLj3EEiiiiiiiiiiiliiliiiiil.has_recursion, or(0, .L_ZL14no_device_codePKciS0_iS0_.has_recursion)
	.set _ZL18flash_attn_ext_f16ILi96ELi96ELi32ELi2ELb1ELb0EEvPKcS1_S1_S1_S1_PKiPfP15HIP_vector_typeIfLj2EEffffjfiS5_IjLj3EEiiiiiiiiiiiliiliiiiil.has_indirect_call, or(0, .L_ZL14no_device_codePKciS0_iS0_.has_indirect_call)
	.section	.AMDGPU.csdata,"",@progbits
; Kernel info:
; codeLenInByte = 48
; TotalNumSgprs: 36
; NumVgprs: 40
; ScratchSize: 16
; MemoryBound: 0
; FloatMode: 240
; IeeeMode: 1
; LDSByteSize: 0 bytes/workgroup (compile time only)
; SGPRBlocks: 0
; VGPRBlocks: 4
; NumSGPRsForWavesPerEU: 36
; NumVGPRsForWavesPerEU: 40
; Occupancy: 16
; WaveLimiterHint : 1
; COMPUTE_PGM_RSRC2:SCRATCH_EN: 1
; COMPUTE_PGM_RSRC2:USER_SGPR: 2
; COMPUTE_PGM_RSRC2:TRAP_HANDLER: 0
; COMPUTE_PGM_RSRC2:TGID_X_EN: 1
; COMPUTE_PGM_RSRC2:TGID_Y_EN: 0
; COMPUTE_PGM_RSRC2:TGID_Z_EN: 0
; COMPUTE_PGM_RSRC2:TIDIG_COMP_CNT: 0
	.section	.text._ZL33flash_attn_stream_k_fixup_uniformILi96ELi32ELi2EEvPfPK15HIP_vector_typeIfLj2EEiiiiiiS1_IjLj3EES5_S5_,"axG",@progbits,_ZL33flash_attn_stream_k_fixup_uniformILi96ELi32ELi2EEvPfPK15HIP_vector_typeIfLj2EEiiiiiiS1_IjLj3EES5_S5_,comdat
	.globl	_ZL33flash_attn_stream_k_fixup_uniformILi96ELi32ELi2EEvPfPK15HIP_vector_typeIfLj2EEiiiiiiS1_IjLj3EES5_S5_ ; -- Begin function _ZL33flash_attn_stream_k_fixup_uniformILi96ELi32ELi2EEvPfPK15HIP_vector_typeIfLj2EEiiiiiiS1_IjLj3EES5_S5_
	.p2align	8
	.type	_ZL33flash_attn_stream_k_fixup_uniformILi96ELi32ELi2EEvPfPK15HIP_vector_typeIfLj2EEiiiiiiS1_IjLj3EES5_S5_,@function
_ZL33flash_attn_stream_k_fixup_uniformILi96ELi32ELi2EEvPfPK15HIP_vector_typeIfLj2EEiiiiiiS1_IjLj3EES5_S5_: ; @_ZL33flash_attn_stream_k_fixup_uniformILi96ELi32ELi2EEvPfPK15HIP_vector_typeIfLj2EEiiiiiiS1_IjLj3EES5_S5_
; %bb.0:
	s_clause 0x1
	s_load_b256 s[4:11], s[0:1], 0x1c
	s_load_b128 s[12:15], s[0:1], 0x3c
	s_wait_kmcnt 0x0
	s_mul_hi_u32 s2, s7, ttmp9
	s_delay_alu instid0(SALU_CYCLE_1) | instskip(NEXT) | instid1(SALU_CYCLE_1)
	s_add_co_i32 s2, ttmp9, s2
	s_lshr_b32 s7, s2, s8
	s_delay_alu instid0(SALU_CYCLE_1) | instskip(NEXT) | instid1(SALU_CYCLE_1)
	s_mul_i32 s2, s7, s9
	s_sub_co_i32 s9, ttmp9, s2
	s_delay_alu instid0(SALU_CYCLE_1) | instskip(NEXT) | instid1(SALU_CYCLE_1)
	s_mul_hi_u32 s2, s9, s10
	s_add_co_i32 s8, s9, s2
	s_load_b64 s[2:3], s[0:1], 0x10
	s_lshr_b32 s8, s8, s11
	s_delay_alu instid0(SALU_CYCLE_1) | instskip(NEXT) | instid1(SALU_CYCLE_1)
	s_mul_i32 s10, s8, s12
	s_sub_co_i32 s9, s9, s10
	s_delay_alu instid0(SALU_CYCLE_1) | instskip(NEXT) | instid1(SALU_CYCLE_1)
	s_mul_hi_u32 s10, s9, s13
	s_add_co_i32 s10, s9, s10
	s_delay_alu instid0(SALU_CYCLE_1) | instskip(NEXT) | instid1(SALU_CYCLE_1)
	s_lshr_b32 s12, s10, s14
	s_mul_i32 s10, s12, s15
	s_lshl_b32 s12, s12, 1
	s_sub_co_i32 s11, s9, s10
	s_and_b32 s9, ttmp7, 0xffff
	s_lshl_b32 s13, s11, 5
	s_lshr_b32 s10, ttmp7, 16
	s_add_co_i32 s13, s13, s9
	s_wait_kmcnt 0x0
	s_cmp_lt_i32 s13, s2
	s_cselect_b32 s13, -1, 0
	s_add_co_i32 s12, s12, s10
	s_delay_alu instid0(SALU_CYCLE_1) | instskip(SKIP_1) | instid1(SALU_CYCLE_1)
	s_cmp_lt_i32 s12, s5
	s_cselect_b32 s14, -1, 0
	s_and_b32 s13, s13, s14
	s_delay_alu instid0(SALU_CYCLE_1)
	s_and_not1_b32 vcc_lo, exec_lo, s13
	s_cbranch_vccnz .LBB16_6
; %bb.1:
	s_mul_i32 s8, s8, s5
	s_mul_i32 s5, s3, s11
	;; [unrolled: 1-line block ×3, first 2 shown]
	s_mulk_i32 s5, 0xc00
	s_add_co_i32 s2, s2, s9
	v_or_b32_e32 v1, s5, v0
	s_mul_i32 s7, s2, s3
	s_add_co_i32 s5, s12, s8
	s_load_b128 s[0:3], s[0:1], 0x0
	s_add_co_i32 s5, s5, s7
	s_mul_i32 s8, s6, ttmp9
	s_wait_alu 0xfffe
	v_mad_co_u64_u32 v[1:2], null, 0x60, s5, v[1:2]
	s_lshl_b32 s5, s9, 1
	s_add_co_i32 s11, s8, s6
	s_delay_alu instid0(SALU_CYCLE_1) | instskip(SKIP_1) | instid1(VALU_DEP_1)
	s_add_co_i32 s7, s11, -2
	v_ashrrev_i32_e32 v2, 31, v1
	v_lshlrev_b64_e32 v[1:2], 2, v[1:2]
	s_wait_kmcnt 0x0
	s_delay_alu instid0(VALU_DEP_1) | instskip(NEXT) | instid1(VALU_DEP_1)
	v_add_co_u32 v1, vcc_lo, s0, v1
	v_add_co_ci_u32_e64 v2, null, s1, v2, vcc_lo
	s_wait_alu 0xfffe
	s_add_co_i32 s0, s5, s10
	s_lshl_b32 s1, s11, 6
	global_load_b32 v5, v[1:2], off
	s_wait_alu 0xfffe
	s_add_co_i32 s0, s0, s1
	s_wait_alu 0xfffe
	s_sub_co_i32 s0, s0, 64
	s_wait_alu 0xfffe
	s_ashr_i32 s1, s0, 31
	s_wait_alu 0xfffe
	s_lshl_b64 s[0:1], s[0:1], 3
	s_cmp_lt_i32 s7, s8
	s_wait_alu 0xfffe
	s_add_nc_u64 s[0:1], s[2:3], s[0:1]
	s_load_b32 s12, s[0:1], 0x4
	s_cbranch_scc1 .LBB16_4
; %bb.2:
	s_load_b32 s0, s[0:1], 0x0
	s_add_co_i32 s1, ttmp9, 1
	s_mulk_i32 s9, 0xc0
	s_wait_alu 0xfffe
	s_mul_i32 s1, s6, s1
	s_lshl_b32 s14, s4, 8
	s_wait_alu 0xfffe
	s_lshl_b32 s13, s1, 6
	s_mulk_i32 s1, 0x1800
	s_add_co_i32 s13, s10, s13
	s_mulk_i32 s10, 0x60
	s_lshl_b32 s4, s4, 6
	s_add_co_i32 s9, s10, s9
	s_ashr_i32 s15, s14, 31
	s_wait_alu 0xfffe
	s_add_co_i32 s9, s9, s1
	s_add_co_i32 s1, s13, s4
	v_add3_u32 v3, s9, v0, 0xffffd000
	s_wait_kmcnt 0x0
	v_mov_b32_e32 v6, s12
	s_lshl_b64 s[6:7], s[14:15], 2
	s_wait_alu 0xfffe
	s_add_co_i32 s4, s1, s5
	s_add_nc_u64 s[6:7], s[2:3], s[6:7]
	s_add_co_i32 s1, s11, -1
	s_wait_alu 0xfffe
	s_addk_co_i32 s4, 0xff80
.LBB16_3:                               ; =>This Inner Loop Header: Depth=1
	v_ashrrev_i32_e32 v4, 31, v3
	s_wait_alu 0xfffe
	s_ashr_i32 s5, s4, 31
	v_mov_b32_e32 v10, v6
	s_wait_alu 0xfffe
	s_lshl_b64 s[10:11], s[4:5], 3
	s_wait_loadcnt 0x0
	v_mov_b32_e32 v9, v5
	v_lshlrev_b64_e32 v[7:8], 2, v[3:4]
	s_wait_alu 0xfffe
	s_add_nc_u64 s[10:11], s[2:3], s[10:11]
	v_max_num_f32_e64 v4, s0, s0
	s_load_b64 s[10:11], s[10:11], 0x0
	v_add_nc_u32_e32 v3, 0xffffe800, v3
	v_add_co_u32 v7, vcc_lo, s6, v7
	s_wait_alu 0xfffd
	v_add_co_ci_u32_e64 v8, null, s7, v8, vcc_lo
	v_readfirstlane_b32 s5, v4
	global_load_b32 v0, v[7:8], off
	s_wait_kmcnt 0x0
	v_max_num_f32_e64 v4, s10, s10
	s_delay_alu instid0(VALU_DEP_1) | instskip(SKIP_2) | instid1(SALU_CYCLE_2)
	v_readfirstlane_b32 s9, v4
	s_max_num_f32 s5, s5, s9
	s_wait_alu 0xfffe
	s_sub_f32 s0, s0, s5
	s_sub_f32 s9, s10, s5
	s_wait_alu 0xfffe
	s_delay_alu instid0(SALU_CYCLE_1) | instskip(NEXT) | instid1(SALU_CYCLE_1)
	s_mul_f32 s10, s0, 0x3fb8aa3b
	s_mul_f32 s12, s9, 0x3fb8aa3b
	s_wait_alu 0xfffe
	s_delay_alu instid0(SALU_CYCLE_1)
	s_xor_b32 s13, s10, 0x80000000
	s_rndne_f32 s14, s10
	s_wait_alu 0xfffe
	s_fmamk_f32 s13, s0, 0x3fb8aa3b, s13
	s_cmp_nlt_f32 s0, 0xc2ce8ed0
	s_rndne_f32 s15, s12
	s_sub_f32 s10, s10, s14
	s_wait_alu 0xfffe
	s_fmamk_f32 s13, s0, 0x32a5705f, s13
	s_cvt_i32_f32 s14, s14
	s_cselect_b32 vcc_lo, -1, 0
	s_cmp_ngt_f32 s0, 0x42b17218
	s_wait_alu 0xfffe
	s_add_f32 s10, s10, s13
	s_sub_f32 s13, s12, s15
	s_wait_alu 0xfffe
	s_delay_alu instid0(SALU_CYCLE_1) | instskip(SKIP_1) | instid1(TRANS32_DEP_1)
	v_s_exp_f32 s10, s10
	s_wait_alu 0xf1ff
	v_ldexp_f32 v4, s10, s14
	s_cvt_i32_f32 s10, s15
	s_delay_alu instid0(VALU_DEP_1) | instskip(SKIP_3) | instid1(VALU_DEP_1)
	v_cndmask_b32_e32 v4, 0, v4, vcc_lo
	s_cselect_b32 vcc_lo, -1, 0
	s_cmp_ge_f32 s0, 0xc1a00000
	s_wait_alu 0xfffe
	v_cndmask_b32_e32 v4, 0x7f800000, v4, vcc_lo
	s_cselect_b32 vcc_lo, -1, 0
	s_xor_b32 s0, s12, 0x80000000
	s_cmp_nlt_f32 s9, 0xc2ce8ed0
	s_wait_alu 0xfffe
	s_fmamk_f32 s0, s9, 0x3fb8aa3b, s0
	s_wait_alu 0xfffe
	s_delay_alu instid0(SALU_CYCLE_2) | instskip(SKIP_1) | instid1(SALU_CYCLE_2)
	s_fmamk_f32 s0, s9, 0x32a5705f, s0
	s_wait_alu 0xfffe
	s_add_f32 s0, s13, s0
	s_wait_alu 0xfffe
	s_delay_alu instid0(SALU_CYCLE_2) | instskip(SKIP_1) | instid1(TRANS32_DEP_1)
	v_s_exp_f32 s0, s0
	s_wait_alu 0xf1ff
	v_ldexp_f32 v7, s0, s10
	s_cselect_b32 s0, -1, 0
	s_cmp_ngt_f32 s9, 0x42b17218
	s_wait_alu 0xfffe
	s_delay_alu instid0(VALU_DEP_1) | instskip(SKIP_3) | instid1(VALU_DEP_1)
	v_cndmask_b32_e64 v7, 0, v7, s0
	s_cselect_b32 s0, -1, 0
	s_cmp_ge_f32 s9, 0xc1a00000
	s_wait_alu 0xfffe
	v_cndmask_b32_e64 v7, 0x7f800000, v7, s0
	s_cselect_b32 s0, -1, 0
	s_add_co_i32 s1, s1, -1
	s_sub_co_i32 s4, s4, 64
	s_wait_alu 0xfffe
	s_cmp_le_i32 s1, s8
	v_cndmask_b32_e64 v7, 0, v7, s0
	s_mov_b32 s0, s5
	s_wait_loadcnt 0x0
	s_delay_alu instid0(VALU_DEP_1) | instskip(NEXT) | instid1(VALU_DEP_1)
	v_dual_mul_f32 v5, v0, v7 :: v_dual_cndmask_b32 v4, 0, v4
	v_dual_mul_f32 v8, s11, v7 :: v_dual_fmac_f32 v5, v9, v4
	s_delay_alu instid0(VALU_DEP_1) | instskip(NEXT) | instid1(VALU_DEP_1)
	v_mov_b32_e32 v6, v8
	v_fmac_f32_e32 v6, v10, v4
	s_cbranch_scc0 .LBB16_3
	s_branch .LBB16_5
.LBB16_4:
	s_wait_kmcnt 0x0
	v_mov_b32_e32 v6, s12
.LBB16_5:
	s_wait_loadcnt 0x0
	s_delay_alu instid0(VALU_DEP_1) | instskip(NEXT) | instid1(VALU_DEP_1)
	v_div_scale_f32 v0, null, v6, v6, v5
	v_rcp_f32_e32 v3, v0
	s_delay_alu instid0(TRANS32_DEP_1) | instskip(NEXT) | instid1(VALU_DEP_1)
	v_fma_f32 v4, -v0, v3, 1.0
	v_fmac_f32_e32 v3, v4, v3
	v_div_scale_f32 v4, vcc_lo, v5, v6, v5
	s_delay_alu instid0(VALU_DEP_1) | instskip(NEXT) | instid1(VALU_DEP_1)
	v_mul_f32_e32 v7, v4, v3
	v_fma_f32 v8, -v0, v7, v4
	s_delay_alu instid0(VALU_DEP_1) | instskip(NEXT) | instid1(VALU_DEP_1)
	v_fmac_f32_e32 v7, v8, v3
	v_fma_f32 v0, -v0, v7, v4
	s_wait_alu 0xfffd
	s_delay_alu instid0(VALU_DEP_1) | instskip(NEXT) | instid1(VALU_DEP_1)
	v_div_fmas_f32 v0, v0, v3, v7
	v_div_fixup_f32 v0, v0, v6, v5
	global_store_b32 v[1:2], v0, off
.LBB16_6:
	s_endpgm
	.section	.rodata,"a",@progbits
	.p2align	6, 0x0
	.amdhsa_kernel _ZL33flash_attn_stream_k_fixup_uniformILi96ELi32ELi2EEvPfPK15HIP_vector_typeIfLj2EEiiiiiiS1_IjLj3EES5_S5_
		.amdhsa_group_segment_fixed_size 0
		.amdhsa_private_segment_fixed_size 0
		.amdhsa_kernarg_size 76
		.amdhsa_user_sgpr_count 2
		.amdhsa_user_sgpr_dispatch_ptr 0
		.amdhsa_user_sgpr_queue_ptr 0
		.amdhsa_user_sgpr_kernarg_segment_ptr 1
		.amdhsa_user_sgpr_dispatch_id 0
		.amdhsa_user_sgpr_private_segment_size 0
		.amdhsa_wavefront_size32 1
		.amdhsa_uses_dynamic_stack 0
		.amdhsa_enable_private_segment 0
		.amdhsa_system_sgpr_workgroup_id_x 1
		.amdhsa_system_sgpr_workgroup_id_y 1
		.amdhsa_system_sgpr_workgroup_id_z 1
		.amdhsa_system_sgpr_workgroup_info 0
		.amdhsa_system_vgpr_workitem_id 0
		.amdhsa_next_free_vgpr 11
		.amdhsa_next_free_sgpr 16
		.amdhsa_reserve_vcc 1
		.amdhsa_float_round_mode_32 0
		.amdhsa_float_round_mode_16_64 0
		.amdhsa_float_denorm_mode_32 3
		.amdhsa_float_denorm_mode_16_64 3
		.amdhsa_fp16_overflow 0
		.amdhsa_workgroup_processor_mode 1
		.amdhsa_memory_ordered 1
		.amdhsa_forward_progress 1
		.amdhsa_inst_pref_size 9
		.amdhsa_round_robin_scheduling 0
		.amdhsa_exception_fp_ieee_invalid_op 0
		.amdhsa_exception_fp_denorm_src 0
		.amdhsa_exception_fp_ieee_div_zero 0
		.amdhsa_exception_fp_ieee_overflow 0
		.amdhsa_exception_fp_ieee_underflow 0
		.amdhsa_exception_fp_ieee_inexact 0
		.amdhsa_exception_int_div_zero 0
	.end_amdhsa_kernel
	.section	.text._ZL33flash_attn_stream_k_fixup_uniformILi96ELi32ELi2EEvPfPK15HIP_vector_typeIfLj2EEiiiiiiS1_IjLj3EES5_S5_,"axG",@progbits,_ZL33flash_attn_stream_k_fixup_uniformILi96ELi32ELi2EEvPfPK15HIP_vector_typeIfLj2EEiiiiiiS1_IjLj3EES5_S5_,comdat
.Lfunc_end16:
	.size	_ZL33flash_attn_stream_k_fixup_uniformILi96ELi32ELi2EEvPfPK15HIP_vector_typeIfLj2EEiiiiiiS1_IjLj3EES5_S5_, .Lfunc_end16-_ZL33flash_attn_stream_k_fixup_uniformILi96ELi32ELi2EEvPfPK15HIP_vector_typeIfLj2EEiiiiiiS1_IjLj3EES5_S5_
                                        ; -- End function
	.set _ZL33flash_attn_stream_k_fixup_uniformILi96ELi32ELi2EEvPfPK15HIP_vector_typeIfLj2EEiiiiiiS1_IjLj3EES5_S5_.num_vgpr, 11
	.set _ZL33flash_attn_stream_k_fixup_uniformILi96ELi32ELi2EEvPfPK15HIP_vector_typeIfLj2EEiiiiiiS1_IjLj3EES5_S5_.num_agpr, 0
	.set _ZL33flash_attn_stream_k_fixup_uniformILi96ELi32ELi2EEvPfPK15HIP_vector_typeIfLj2EEiiiiiiS1_IjLj3EES5_S5_.numbered_sgpr, 16
	.set _ZL33flash_attn_stream_k_fixup_uniformILi96ELi32ELi2EEvPfPK15HIP_vector_typeIfLj2EEiiiiiiS1_IjLj3EES5_S5_.num_named_barrier, 0
	.set _ZL33flash_attn_stream_k_fixup_uniformILi96ELi32ELi2EEvPfPK15HIP_vector_typeIfLj2EEiiiiiiS1_IjLj3EES5_S5_.private_seg_size, 0
	.set _ZL33flash_attn_stream_k_fixup_uniformILi96ELi32ELi2EEvPfPK15HIP_vector_typeIfLj2EEiiiiiiS1_IjLj3EES5_S5_.uses_vcc, 1
	.set _ZL33flash_attn_stream_k_fixup_uniformILi96ELi32ELi2EEvPfPK15HIP_vector_typeIfLj2EEiiiiiiS1_IjLj3EES5_S5_.uses_flat_scratch, 0
	.set _ZL33flash_attn_stream_k_fixup_uniformILi96ELi32ELi2EEvPfPK15HIP_vector_typeIfLj2EEiiiiiiS1_IjLj3EES5_S5_.has_dyn_sized_stack, 0
	.set _ZL33flash_attn_stream_k_fixup_uniformILi96ELi32ELi2EEvPfPK15HIP_vector_typeIfLj2EEiiiiiiS1_IjLj3EES5_S5_.has_recursion, 0
	.set _ZL33flash_attn_stream_k_fixup_uniformILi96ELi32ELi2EEvPfPK15HIP_vector_typeIfLj2EEiiiiiiS1_IjLj3EES5_S5_.has_indirect_call, 0
	.section	.AMDGPU.csdata,"",@progbits
; Kernel info:
; codeLenInByte = 1152
; TotalNumSgprs: 18
; NumVgprs: 11
; ScratchSize: 0
; MemoryBound: 0
; FloatMode: 240
; IeeeMode: 1
; LDSByteSize: 0 bytes/workgroup (compile time only)
; SGPRBlocks: 0
; VGPRBlocks: 1
; NumSGPRsForWavesPerEU: 18
; NumVGPRsForWavesPerEU: 11
; Occupancy: 16
; WaveLimiterHint : 0
; COMPUTE_PGM_RSRC2:SCRATCH_EN: 0
; COMPUTE_PGM_RSRC2:USER_SGPR: 2
; COMPUTE_PGM_RSRC2:TRAP_HANDLER: 0
; COMPUTE_PGM_RSRC2:TGID_X_EN: 1
; COMPUTE_PGM_RSRC2:TGID_Y_EN: 1
; COMPUTE_PGM_RSRC2:TGID_Z_EN: 1
; COMPUTE_PGM_RSRC2:TIDIG_COMP_CNT: 0
	.section	.text._ZL33flash_attn_stream_k_fixup_generalILi96ELi32ELi2EEvPfPK15HIP_vector_typeIfLj2EEiiiiS1_IjLj3EES5_S5_S5_,"axG",@progbits,_ZL33flash_attn_stream_k_fixup_generalILi96ELi32ELi2EEvPfPK15HIP_vector_typeIfLj2EEiiiiS1_IjLj3EES5_S5_S5_,comdat
	.globl	_ZL33flash_attn_stream_k_fixup_generalILi96ELi32ELi2EEvPfPK15HIP_vector_typeIfLj2EEiiiiS1_IjLj3EES5_S5_S5_ ; -- Begin function _ZL33flash_attn_stream_k_fixup_generalILi96ELi32ELi2EEvPfPK15HIP_vector_typeIfLj2EEiiiiS1_IjLj3EES5_S5_S5_
	.p2align	8
	.type	_ZL33flash_attn_stream_k_fixup_generalILi96ELi32ELi2EEvPfPK15HIP_vector_typeIfLj2EEiiiiS1_IjLj3EES5_S5_S5_,@function
_ZL33flash_attn_stream_k_fixup_generalILi96ELi32ELi2EEvPfPK15HIP_vector_typeIfLj2EEiiiiS1_IjLj3EES5_S5_S5_: ; @_ZL33flash_attn_stream_k_fixup_generalILi96ELi32ELi2EEvPfPK15HIP_vector_typeIfLj2EEiiiiS1_IjLj3EES5_S5_S5_
; %bb.0:
	s_clause 0x1
	s_load_b128 s[4:7], s[0:1], 0x10
	s_load_b32 s16, s[0:1], 0x50
	s_mov_b32 s2, ttmp9
	s_ashr_i32 s3, ttmp9, 31
	s_mov_b32 s17, 0
	s_delay_alu instid0(SALU_CYCLE_1) | instskip(SKIP_3) | instid1(SALU_CYCLE_1)
	s_mov_b32 s8, s17
	s_wait_kmcnt 0x0
	s_ashr_i32 s19, s7, 31
	s_mov_b32 s18, s7
	s_mul_u64 s[2:3], s[18:19], s[2:3]
	s_delay_alu instid0(SALU_CYCLE_1) | instskip(NEXT) | instid1(SALU_CYCLE_1)
	s_mov_b32 s9, s3
	s_cmp_lg_u64 s[8:9], 0
	s_cbranch_scc0 .LBB17_21
; %bb.1:
	s_add_nc_u64 s[8:9], s[16:17], 0
	s_mov_b32 s15, s17
	s_xor_b64 s[8:9], s[8:9], 0
	s_mov_b32 s23, s17
	s_cvt_f32_u32 s7, s8
	s_cvt_f32_u32 s10, s9
	s_sub_nc_u64 s[12:13], 0, s[8:9]
	s_delay_alu instid0(SALU_CYCLE_2) | instskip(NEXT) | instid1(SALU_CYCLE_3)
	s_fmamk_f32 s7, s10, 0x4f800000, s7
	v_s_rcp_f32 s7, s7
	s_delay_alu instid0(TRANS32_DEP_1) | instskip(SKIP_1) | instid1(SALU_CYCLE_2)
	s_mul_f32 s7, s7, 0x5f7ffffc
	s_wait_alu 0xfffe
	s_mul_f32 s10, s7, 0x2f800000
	s_delay_alu instid0(SALU_CYCLE_3) | instskip(NEXT) | instid1(SALU_CYCLE_3)
	s_trunc_f32 s10, s10
	s_fmamk_f32 s7, s10, 0xcf800000, s7
	s_cvt_u32_f32 s11, s10
	s_wait_alu 0xfffe
	s_delay_alu instid0(SALU_CYCLE_1) | instskip(NEXT) | instid1(SALU_CYCLE_3)
	s_cvt_u32_f32 s10, s7
	s_mul_u64 s[20:21], s[12:13], s[10:11]
	s_delay_alu instid0(SALU_CYCLE_1)
	s_mul_hi_u32 s25, s10, s21
	s_mul_i32 s24, s10, s21
	s_mul_hi_u32 s14, s10, s20
	s_mul_i32 s22, s11, s20
	s_add_nc_u64 s[14:15], s[14:15], s[24:25]
	s_mul_hi_u32 s7, s11, s20
	s_mul_hi_u32 s26, s11, s21
	s_add_co_u32 s14, s14, s22
	s_wait_alu 0xfffe
	s_add_co_ci_u32 s22, s15, s7
	s_mul_i32 s20, s11, s21
	s_add_co_ci_u32 s21, s26, 0
	s_delay_alu instid0(SALU_CYCLE_1)
	s_add_nc_u64 s[14:15], s[22:23], s[20:21]
	s_mov_b32 s21, s17
	s_add_co_u32 s10, s10, s14
	s_cselect_b32 s7, -1, 0
	s_wait_alu 0xfffe
	s_cmp_lg_u32 s7, 0
	s_add_co_ci_u32 s11, s11, s15
	s_mov_b32 s15, s17
	s_mul_u64 s[12:13], s[12:13], s[10:11]
	s_delay_alu instid0(SALU_CYCLE_1)
	s_mul_hi_u32 s23, s10, s13
	s_mul_i32 s22, s10, s13
	s_mul_hi_u32 s14, s10, s12
	s_mul_i32 s20, s11, s12
	s_add_nc_u64 s[14:15], s[14:15], s[22:23]
	s_mul_hi_u32 s7, s11, s12
	s_mul_hi_u32 s24, s11, s13
	s_mul_i32 s12, s11, s13
	s_add_co_u32 s13, s14, s20
	s_wait_alu 0xfffe
	s_add_co_ci_u32 s20, s15, s7
	s_add_co_ci_u32 s13, s24, 0
	s_mov_b32 s15, s17
	s_add_nc_u64 s[12:13], s[20:21], s[12:13]
	s_delay_alu instid0(SALU_CYCLE_1) | instskip(SKIP_1) | instid1(SALU_CYCLE_1)
	s_add_co_u32 s7, s10, s12
	s_cselect_b32 s10, -1, 0
	s_cmp_lg_u32 s10, 0
	s_add_co_ci_u32 s20, s11, s13
	s_ashr_i32 s10, s3, 31
	s_delay_alu instid0(SALU_CYCLE_1) | instskip(NEXT) | instid1(SALU_CYCLE_1)
	s_mov_b32 s11, s10
	s_add_nc_u64 s[12:13], s[2:3], s[10:11]
	s_delay_alu instid0(SALU_CYCLE_1) | instskip(NEXT) | instid1(SALU_CYCLE_1)
	s_xor_b64 s[12:13], s[12:13], s[10:11]
	s_mul_hi_u32 s23, s12, s20
	s_mul_i32 s22, s12, s20
	s_wait_alu 0xfffe
	s_mul_hi_u32 s14, s12, s7
	s_mul_hi_u32 s24, s13, s7
	s_mul_i32 s7, s13, s7
	s_add_nc_u64 s[14:15], s[14:15], s[22:23]
	s_mul_hi_u32 s3, s13, s20
	s_wait_alu 0xfffe
	s_add_co_u32 s7, s14, s7
	s_mul_i32 s22, s13, s20
	s_add_co_ci_u32 s20, s15, s24
	s_add_co_ci_u32 s23, s3, 0
	s_delay_alu instid0(SALU_CYCLE_1) | instskip(NEXT) | instid1(SALU_CYCLE_1)
	s_add_nc_u64 s[14:15], s[20:21], s[22:23]
	s_mul_u64 s[20:21], s[8:9], s[14:15]
	s_delay_alu instid0(SALU_CYCLE_1)
	s_sub_co_u32 s3, s12, s20
	s_cselect_b32 s7, -1, 0
	s_sub_co_i32 s12, s13, s21
	s_wait_alu 0xfffe
	s_cmp_lg_u32 s7, 0
	s_sub_co_ci_u32 s12, s12, s9
	s_sub_co_u32 s20, s3, s8
	s_cselect_b32 s22, -1, 0
	s_delay_alu instid0(SALU_CYCLE_1) | instskip(SKIP_2) | instid1(SALU_CYCLE_1)
	s_cmp_lg_u32 s22, 0
	s_add_nc_u64 s[22:23], s[14:15], 1
	s_sub_co_ci_u32 s12, s12, 0
	s_cmp_ge_u32 s12, s9
	s_cselect_b32 s24, -1, 0
	s_cmp_ge_u32 s20, s8
	s_cselect_b32 s20, -1, 0
	s_cmp_eq_u32 s12, s9
	s_cselect_b32 s12, s20, s24
	s_add_nc_u64 s[24:25], s[14:15], 2
	s_cmp_lg_u32 s12, 0
	s_cselect_b32 s12, s24, s22
	s_cselect_b32 s20, s25, s23
	s_cmp_lg_u32 s7, 0
	s_sub_co_ci_u32 s7, s13, s21
	s_wait_alu 0xfffe
	s_cmp_ge_u32 s7, s9
	s_cselect_b32 s13, -1, 0
	s_cmp_ge_u32 s3, s8
	s_cselect_b32 s3, -1, 0
	s_cmp_eq_u32 s7, s9
	s_cselect_b32 s3, s3, s13
	s_delay_alu instid0(SALU_CYCLE_1) | instskip(SKIP_4) | instid1(SALU_CYCLE_1)
	s_cmp_lg_u32 s3, 0
	s_mov_b32 s3, s17
	s_cselect_b32 s9, s20, s15
	s_cselect_b32 s8, s12, s14
	s_xor_b64 s[10:11], s[10:11], 0
	s_xor_b64 s[8:9], s[8:9], s[10:11]
	s_delay_alu instid0(SALU_CYCLE_1)
	s_sub_nc_u64 s[20:21], s[8:9], s[10:11]
	s_and_not1_b32 vcc_lo, exec_lo, s3
	s_cbranch_vccnz .LBB17_3
.LBB17_2:
	v_cvt_f32_u32_e32 v1, s16
	s_sub_co_i32 s7, 0, s16
	s_delay_alu instid0(VALU_DEP_1) | instskip(NEXT) | instid1(TRANS32_DEP_1)
	v_rcp_iflag_f32_e32 v1, v1
	v_mul_f32_e32 v1, 0x4f7ffffe, v1
	s_delay_alu instid0(VALU_DEP_1) | instskip(NEXT) | instid1(VALU_DEP_1)
	v_cvt_u32_f32_e32 v1, v1
	v_readfirstlane_b32 s3, v1
	s_wait_alu 0xfffe
	s_mul_i32 s7, s7, s3
	s_wait_alu 0xfffe
	s_mul_hi_u32 s7, s3, s7
	s_wait_alu 0xfffe
	s_add_co_i32 s3, s3, s7
	s_delay_alu instid0(SALU_CYCLE_1) | instskip(NEXT) | instid1(SALU_CYCLE_1)
	s_mul_hi_u32 s3, s2, s3
	s_mul_i32 s7, s3, s16
	s_wait_alu 0xfffe
	s_sub_co_i32 s2, s2, s7
	s_add_co_i32 s7, s3, 1
	s_sub_co_i32 s8, s2, s16
	s_cmp_ge_u32 s2, s16
	s_wait_alu 0xfffe
	s_cselect_b32 s3, s7, s3
	s_cselect_b32 s2, s8, s2
	s_add_co_i32 s7, s3, 1
	s_cmp_ge_u32 s2, s16
	s_wait_alu 0xfffe
	s_cselect_b32 s20, s7, s3
.LBB17_3:
	s_add_co_i32 s2, ttmp9, 1
	s_mov_b32 s8, 0
	s_ashr_i32 s3, s2, 31
	s_delay_alu instid0(SALU_CYCLE_1) | instskip(NEXT) | instid1(SALU_CYCLE_1)
	s_mul_u64 s[2:3], s[18:19], s[2:3]
	s_mov_b32 s9, s3
	s_delay_alu instid0(SALU_CYCLE_1)
	s_cmp_lg_u64 s[8:9], 0
	s_cbranch_scc0 .LBB17_22
; %bb.4:
	s_add_nc_u64 s[10:11], s[16:17], 0
	s_mov_b32 s23, s8
	s_xor_b64 s[10:11], s[10:11], 0
	s_mov_b32 s27, s8
	s_cvt_f32_u32 s7, s10
	s_cvt_f32_u32 s9, s11
	s_sub_nc_u64 s[14:15], 0, s[10:11]
	s_wait_alu 0xfffe
	s_delay_alu instid0(SALU_CYCLE_1) | instskip(SKIP_1) | instid1(SALU_CYCLE_2)
	s_fmamk_f32 s7, s9, 0x4f800000, s7
	s_wait_alu 0xfffe
	v_s_rcp_f32 s7, s7
	s_delay_alu instid0(TRANS32_DEP_1) | instskip(SKIP_1) | instid1(SALU_CYCLE_2)
	s_mul_f32 s7, s7, 0x5f7ffffc
	s_wait_alu 0xfffe
	s_mul_f32 s9, s7, 0x2f800000
	s_delay_alu instid0(SALU_CYCLE_3) | instskip(NEXT) | instid1(SALU_CYCLE_3)
	s_trunc_f32 s9, s9
	s_fmamk_f32 s7, s9, 0xcf800000, s7
	s_cvt_u32_f32 s13, s9
	s_wait_alu 0xfffe
	s_delay_alu instid0(SALU_CYCLE_1) | instskip(NEXT) | instid1(SALU_CYCLE_3)
	s_cvt_u32_f32 s12, s7
	s_mul_u64 s[24:25], s[14:15], s[12:13]
	s_delay_alu instid0(SALU_CYCLE_1)
	s_mul_hi_u32 s29, s12, s25
	s_mul_i32 s28, s12, s25
	s_mul_hi_u32 s22, s12, s24
	s_mul_i32 s9, s13, s24
	s_add_nc_u64 s[22:23], s[22:23], s[28:29]
	s_mul_hi_u32 s7, s13, s24
	s_mul_hi_u32 s21, s13, s25
	s_add_co_u32 s9, s22, s9
	s_wait_alu 0xfffe
	s_add_co_ci_u32 s26, s23, s7
	s_mul_i32 s24, s13, s25
	s_add_co_ci_u32 s25, s21, 0
	s_delay_alu instid0(SALU_CYCLE_1)
	s_add_nc_u64 s[22:23], s[26:27], s[24:25]
	s_mov_b32 s25, s8
	s_add_co_u32 s12, s12, s22
	s_cselect_b32 s7, -1, 0
	s_wait_alu 0xfffe
	s_cmp_lg_u32 s7, 0
	s_add_co_ci_u32 s13, s13, s23
	s_mov_b32 s23, s8
	s_mul_u64 s[14:15], s[14:15], s[12:13]
	s_delay_alu instid0(SALU_CYCLE_1)
	s_mul_hi_u32 s27, s12, s15
	s_mul_i32 s26, s12, s15
	s_mul_hi_u32 s22, s12, s14
	s_mul_i32 s9, s13, s14
	s_add_nc_u64 s[22:23], s[22:23], s[26:27]
	s_mul_hi_u32 s7, s13, s14
	s_mul_hi_u32 s21, s13, s15
	s_add_co_u32 s9, s22, s9
	s_wait_alu 0xfffe
	s_add_co_ci_u32 s24, s23, s7
	s_mul_i32 s14, s13, s15
	s_add_co_ci_u32 s15, s21, 0
	s_mov_b32 s23, s8
	s_add_nc_u64 s[14:15], s[24:25], s[14:15]
	s_delay_alu instid0(SALU_CYCLE_1) | instskip(SKIP_1) | instid1(SALU_CYCLE_1)
	s_add_co_u32 s7, s12, s14
	s_cselect_b32 s9, -1, 0
	s_cmp_lg_u32 s9, 0
	s_add_co_ci_u32 s9, s13, s15
	s_ashr_i32 s12, s3, 31
	s_delay_alu instid0(SALU_CYCLE_1) | instskip(NEXT) | instid1(SALU_CYCLE_1)
	s_mov_b32 s13, s12
	s_add_nc_u64 s[14:15], s[2:3], s[12:13]
	s_delay_alu instid0(SALU_CYCLE_1) | instskip(NEXT) | instid1(SALU_CYCLE_1)
	s_xor_b64 s[14:15], s[14:15], s[12:13]
	s_mul_hi_u32 s27, s14, s9
	s_mul_i32 s26, s14, s9
	s_wait_alu 0xfffe
	s_mul_hi_u32 s22, s14, s7
	s_mul_hi_u32 s21, s15, s7
	s_mul_i32 s7, s15, s7
	s_add_nc_u64 s[22:23], s[22:23], s[26:27]
	s_mul_hi_u32 s3, s15, s9
	s_wait_alu 0xfffe
	s_add_co_u32 s7, s22, s7
	s_add_co_ci_u32 s24, s23, s21
	s_mul_i32 s26, s15, s9
	s_add_co_ci_u32 s27, s3, 0
	s_delay_alu instid0(SALU_CYCLE_1) | instskip(NEXT) | instid1(SALU_CYCLE_1)
	s_add_nc_u64 s[22:23], s[24:25], s[26:27]
	s_mul_u64 s[24:25], s[10:11], s[22:23]
	s_add_nc_u64 s[26:27], s[22:23], 1
	s_sub_co_u32 s3, s14, s24
	s_cselect_b32 s7, -1, 0
	s_sub_co_i32 s9, s15, s25
	s_wait_alu 0xfffe
	s_cmp_lg_u32 s7, 0
	s_add_nc_u64 s[28:29], s[22:23], 2
	s_sub_co_ci_u32 s9, s9, s11
	s_sub_co_u32 s14, s3, s10
	s_cselect_b32 s21, -1, 0
	s_delay_alu instid0(SALU_CYCLE_1) | instskip(SKIP_1) | instid1(SALU_CYCLE_1)
	s_cmp_lg_u32 s21, 0
	s_sub_co_ci_u32 s9, s9, 0
	s_cmp_ge_u32 s9, s11
	s_cselect_b32 s21, -1, 0
	s_cmp_ge_u32 s14, s10
	s_cselect_b32 s14, -1, 0
	s_cmp_eq_u32 s9, s11
	s_cselect_b32 s9, s14, s21
	s_delay_alu instid0(SALU_CYCLE_1)
	s_cmp_lg_u32 s9, 0
	s_cselect_b32 s9, s28, s26
	s_cselect_b32 s14, s29, s27
	s_cmp_lg_u32 s7, 0
	s_sub_co_ci_u32 s7, s15, s25
	s_wait_alu 0xfffe
	s_cmp_ge_u32 s7, s11
	s_cselect_b32 s15, -1, 0
	s_cmp_ge_u32 s3, s10
	s_cselect_b32 s3, -1, 0
	s_cmp_eq_u32 s7, s11
	s_cselect_b32 s3, s3, s15
	s_delay_alu instid0(SALU_CYCLE_1) | instskip(SKIP_3) | instid1(SALU_CYCLE_1)
	s_cmp_lg_u32 s3, 0
	s_cselect_b32 s11, s14, s23
	s_cselect_b32 s10, s9, s22
	s_xor_b64 s[12:13], s[12:13], 0
	s_xor_b64 s[10:11], s[10:11], s[12:13]
	s_delay_alu instid0(SALU_CYCLE_1)
	s_sub_nc_u64 s[10:11], s[10:11], s[12:13]
	s_load_b96 s[12:14], s[0:1], 0x44
	s_and_not1_b32 vcc_lo, exec_lo, s8
	s_cbranch_vccnz .LBB17_6
.LBB17_5:
	v_cvt_f32_u32_e32 v1, s16
	s_sub_co_i32 s7, 0, s16
	s_delay_alu instid0(VALU_DEP_1) | instskip(NEXT) | instid1(TRANS32_DEP_1)
	v_rcp_iflag_f32_e32 v1, v1
	v_mul_f32_e32 v1, 0x4f7ffffe, v1
	s_delay_alu instid0(VALU_DEP_1) | instskip(NEXT) | instid1(VALU_DEP_1)
	v_cvt_u32_f32_e32 v1, v1
	v_readfirstlane_b32 s3, v1
	s_wait_alu 0xfffe
	s_mul_i32 s7, s7, s3
	s_wait_alu 0xfffe
	s_mul_hi_u32 s7, s3, s7
	s_wait_alu 0xfffe
	s_add_co_i32 s3, s3, s7
	s_delay_alu instid0(SALU_CYCLE_1) | instskip(NEXT) | instid1(SALU_CYCLE_1)
	s_mul_hi_u32 s3, s2, s3
	s_mul_i32 s7, s3, s16
	s_wait_alu 0xfffe
	s_sub_co_i32 s2, s2, s7
	s_add_co_i32 s7, s3, 1
	s_sub_co_i32 s8, s2, s16
	s_cmp_ge_u32 s2, s16
	s_wait_alu 0xfffe
	s_cselect_b32 s3, s7, s3
	s_cselect_b32 s2, s8, s2
	s_add_co_i32 s7, s3, 1
	s_cmp_ge_u32 s2, s16
	s_wait_alu 0xfffe
	s_cselect_b32 s10, s7, s3
.LBB17_6:
	s_mov_b32 s21, 0
	s_wait_kmcnt 0x0
	s_mov_b32 s22, s12
	s_mov_b32 s23, s21
	s_cmp_eq_u32 s20, s10
	s_mul_u64 s[2:3], s[20:21], s[22:23]
	s_cselect_b32 s7, -1, 0
	s_add_co_i32 s2, s3, s20
	s_mov_b32 s11, s21
	s_lshr_b32 s12, s2, s13
	s_mul_u64 s[2:3], s[10:11], s[22:23]
	s_mul_i32 s2, s12, s14
	s_delay_alu instid0(SALU_CYCLE_1) | instskip(SKIP_2) | instid1(SALU_CYCLE_1)
	s_cmp_eq_u32 s2, s20
	s_cselect_b32 s2, -1, 0
	s_add_co_i32 s3, s3, s10
	s_lshr_b32 s3, s3, s13
	s_delay_alu instid0(SALU_CYCLE_1)
	s_cmp_eq_u32 s12, s3
	s_mul_i32 s3, s3, s14
	s_cselect_b32 s8, -1, 0
	s_cmp_lg_u32 s3, s10
	s_cselect_b32 s3, -1, 0
	s_wait_alu 0xfffe
	s_or_b32 s2, s7, s2
	s_and_b32 s3, s8, s3
	s_delay_alu instid0(SALU_CYCLE_1) | instskip(NEXT) | instid1(SALU_CYCLE_1)
	s_or_b32 s2, s2, s3
	s_and_b32 vcc_lo, exec_lo, s2
	s_cbranch_vccnz .LBB17_24
; %bb.7:
	s_load_b256 s[24:31], s[0:1], 0x20
	s_mov_b32 s3, s21
	s_wait_kmcnt 0x0
	s_mov_b32 s2, s24
	s_delay_alu instid0(SALU_CYCLE_1) | instskip(NEXT) | instid1(SALU_CYCLE_1)
	s_mul_u64 s[2:3], s[20:21], s[2:3]
	s_add_co_i32 s2, s3, s20
	s_delay_alu instid0(SALU_CYCLE_1) | instskip(SKIP_2) | instid1(SALU_CYCLE_1)
	s_lshr_b32 s7, s2, s25
	s_load_b32 s2, s[0:1], 0x40
	s_mul_i32 s3, s7, s26
	s_sub_co_i32 s3, s20, s3
	s_delay_alu instid0(SALU_CYCLE_1) | instskip(NEXT) | instid1(SALU_CYCLE_1)
	s_mul_hi_u32 s8, s3, s27
	s_add_co_i32 s8, s3, s8
	s_delay_alu instid0(SALU_CYCLE_1) | instskip(NEXT) | instid1(SALU_CYCLE_1)
	s_lshr_b32 s15, s8, s28
	s_mul_i32 s8, s15, s29
	s_delay_alu instid0(SALU_CYCLE_1) | instskip(NEXT) | instid1(SALU_CYCLE_1)
	s_sub_co_i32 s8, s3, s8
	s_mul_hi_u32 s3, s8, s30
	s_delay_alu instid0(SALU_CYCLE_1) | instskip(NEXT) | instid1(SALU_CYCLE_1)
	s_add_co_i32 s3, s8, s3
	s_lshr_b32 s10, s3, s31
	s_mov_b32 s3, s21
	s_wait_kmcnt 0x0
	s_mul_i32 s2, s10, s2
	s_lshl_b32 s24, s10, 1
	s_sub_co_i32 s2, s8, s2
	s_delay_alu instid0(SALU_CYCLE_1) | instskip(SKIP_2) | instid1(SALU_CYCLE_1)
	s_mul_u64 s[8:9], s[2:3], s[22:23]
	s_lshr_b32 s3, ttmp7, 16
	s_add_co_i32 s2, s2, s9
	s_lshr_b32 s21, s2, s13
	s_and_b32 s2, ttmp7, 0xffff
	s_lshl_b32 s8, s21, 5
	s_delay_alu instid0(SALU_CYCLE_1) | instskip(NEXT) | instid1(SALU_CYCLE_1)
	s_add_co_i32 s8, s8, s2
	s_cmp_lt_i32 s8, s4
	s_cselect_b32 s8, -1, 0
	s_add_co_i32 s24, s24, s3
	s_delay_alu instid0(SALU_CYCLE_1) | instskip(SKIP_1) | instid1(SALU_CYCLE_1)
	s_cmp_lt_i32 s24, s6
	s_cselect_b32 s9, -1, 0
	s_and_b32 s8, s8, s9
	s_delay_alu instid0(SALU_CYCLE_1)
	s_and_not1_b32 vcc_lo, exec_lo, s8
	s_cbranch_vccnz .LBB17_24
; %bb.8:
	s_mul_i32 s4, s7, s4
	s_load_b128 s[8:11], s[0:1], 0x0
	s_add_co_i32 s0, s4, s2
	s_mul_i32 s15, s15, s6
	s_mul_i32 s0, s0, s5
	s_add_co_i32 s1, s24, s15
	s_mul_i32 s4, s5, s21
	s_add_co_i32 s0, s1, s0
	s_mulk_i32 s4, 0xc00
	s_mulk_i32 s0, 0x60
	s_lshl_b32 s15, s2, 1
	v_add3_u32 v1, s4, s0, v0
	s_add_nc_u64 s[0:1], s[16:17], 0
	s_add_co_i32 s15, s15, s3
	s_wait_alu 0xfffe
	s_xor_b64 s[6:7], s[0:1], 0
	s_lshl_b32 s0, ttmp9, 6
	v_ashrrev_i32_e32 v2, 31, v1
	s_wait_alu 0xfffe
	s_cvt_f32_u32 s1, s6
	s_cvt_f32_u32 s2, s7
	s_add_co_i32 s0, s15, s0
	v_cvt_f32_u32_e32 v3, s16
	v_lshlrev_b64_e32 v[1:2], 2, v[1:2]
	s_wait_alu 0xfffe
	s_fmamk_f32 s2, s2, 0x4f800000, s1
	s_ashr_i32 s1, s0, 31
	s_add_co_i32 s34, ttmp9, -1
	s_wait_alu 0xfffe
	s_lshl_b64 s[0:1], s[0:1], 3
	v_s_rcp_f32 s2, s2
	s_wait_kmcnt 0x0
	v_add_co_u32 v1, vcc_lo, s8, v1
	s_delay_alu instid0(VALU_DEP_1)
	v_add_co_ci_u32_e64 v2, null, s9, v2, vcc_lo
	s_wait_alu 0xfffe
	s_add_nc_u64 s[0:1], s[10:11], s[0:1]
	v_rcp_iflag_f32_e32 v3, v3
	s_load_b64 s[26:27], s[0:1], 0x0
	global_load_b32 v5, v[1:2], off
	s_mul_f32 s2, s2, 0x5f7ffffc
	s_mov_b32 s8, 0
	s_lshl_b32 s0, s16, 8
	s_wait_alu 0xfffe
	s_mov_b32 s1, s8
	s_mul_f32 s3, s2, 0x2f800000
	s_wait_alu 0xfffe
	s_lshl_b64 s[0:1], s[0:1], 2
	s_sub_nc_u64 s[30:31], 0, s[6:7]
	v_mul_f32_e32 v6, 0x4f7ffffe, v3
	s_trunc_f32 s3, s3
	s_wait_alu 0xfffe
	s_add_nc_u64 s[24:25], s[10:11], s[0:1]
	v_mad_co_u64_u32 v[3:4], null, 0x60, s15, v[0:1]
	s_fmamk_f32 s0, s3, 0xcf800000, s2
	v_cvt_u32_f32_e32 v0, v6
	s_cvt_u32_f32 s29, s3
	s_wait_alu 0xfffe
	s_cvt_u32_f32 s28, s0
	s_wait_kmcnt 0x0
	v_mov_b32_e32 v4, s27
.LBB17_9:                               ; =>This Inner Loop Header: Depth=1
	s_wait_alu 0xfffe
	s_ashr_i32 s35, s34, 31
	s_mov_b32 s2, -1
	s_wait_alu 0xfffe
	s_mul_u64 s[0:1], s[34:35], s[18:19]
                                        ; implicit-def: $sgpr38_sgpr39
	s_wait_alu 0xfffe
	s_mov_b32 s9, s1
	s_wait_alu 0xfffe
	s_cmp_lg_u64 s[8:9], 0
	s_cbranch_scc0 .LBB17_11
; %bb.10:                               ;   in Loop: Header=BB17_9 Depth=1
	s_mul_u64 s[2:3], s[30:31], s[28:29]
	s_mov_b32 s37, s8
	s_wait_alu 0xfffe
	s_mul_hi_u32 s5, s28, s3
	s_mul_i32 s4, s28, s3
	s_mul_hi_u32 s36, s28, s2
	s_mul_hi_u32 s9, s29, s2
	s_wait_alu 0xfffe
	s_add_nc_u64 s[4:5], s[36:37], s[4:5]
	s_mul_i32 s2, s29, s2
	s_mul_hi_u32 s17, s29, s3
	s_wait_alu 0xfffe
	s_add_co_u32 s2, s4, s2
	s_add_co_ci_u32 s2, s5, s9
	s_add_co_ci_u32 s5, s17, 0
	s_mul_i32 s4, s29, s3
	s_mov_b32 s3, s8
	s_mov_b32 s39, s8
	s_wait_alu 0xfffe
	s_add_nc_u64 s[2:3], s[2:3], s[4:5]
	s_wait_alu 0xfffe
	s_add_co_u32 s2, s28, s2
	s_cselect_b32 s4, -1, 0
	s_wait_alu 0xfffe
	s_cmp_lg_u32 s4, 0
	s_add_co_ci_u32 s3, s29, s3
	s_wait_alu 0xfffe
	s_mul_u64 s[4:5], s[30:31], s[2:3]
	s_wait_alu 0xfffe
	s_mul_hi_u32 s37, s2, s5
	s_mul_i32 s36, s2, s5
	s_mul_hi_u32 s38, s2, s4
	s_mul_hi_u32 s9, s3, s4
	s_mul_i32 s4, s3, s4
	s_wait_alu 0xfffe
	s_add_nc_u64 s[36:37], s[38:39], s[36:37]
	s_mul_hi_u32 s17, s3, s5
	s_wait_alu 0xfffe
	s_add_co_u32 s4, s36, s4
	s_add_co_ci_u32 s4, s37, s9
	s_add_co_ci_u32 s37, s17, 0
	s_mul_i32 s36, s3, s5
	s_mov_b32 s5, s8
	s_wait_alu 0xfffe
	s_add_nc_u64 s[4:5], s[4:5], s[36:37]
	s_mov_b32 s37, s8
	s_wait_alu 0xfffe
	s_add_co_u32 s9, s2, s4
	s_cselect_b32 s2, -1, 0
	s_wait_alu 0xfffe
	s_cmp_lg_u32 s2, 0
	s_add_co_ci_u32 s17, s3, s5
	s_ashr_i32 s2, s1, 31
	s_wait_alu 0xfffe
	s_mov_b32 s3, s2
	s_wait_alu 0xfffe
	s_add_nc_u64 s[4:5], s[0:1], s[2:3]
	s_wait_alu 0xfffe
	s_xor_b64 s[4:5], s[4:5], s[2:3]
	s_wait_alu 0xfffe
	s_mul_hi_u32 s39, s4, s17
	s_mul_i32 s38, s4, s17
	s_mul_hi_u32 s36, s4, s9
	s_mul_i32 s21, s5, s9
	s_wait_alu 0xfffe
	s_add_nc_u64 s[36:37], s[36:37], s[38:39]
	s_mul_hi_u32 s9, s5, s9
	s_mul_hi_u32 s1, s5, s17
	s_wait_alu 0xfffe
	s_add_co_u32 s21, s36, s21
	s_add_co_ci_u32 s36, s37, s9
	s_add_co_ci_u32 s39, s1, 0
	s_mul_i32 s38, s5, s17
	s_mov_b32 s37, s8
	s_wait_alu 0xfffe
	s_add_nc_u64 s[36:37], s[36:37], s[38:39]
	s_wait_alu 0xfffe
	s_mul_u64 s[38:39], s[6:7], s[36:37]
	s_add_nc_u64 s[40:41], s[36:37], 1
	s_sub_co_u32 s1, s4, s38
	s_cselect_b32 s4, -1, 0
	s_sub_co_i32 s9, s5, s39
	s_wait_alu 0xfffe
	s_cmp_lg_u32 s4, 0
	s_add_nc_u64 s[42:43], s[36:37], 2
	s_sub_co_ci_u32 s9, s9, s7
	s_sub_co_u32 s17, s1, s6
	s_cselect_b32 s21, -1, 0
	s_delay_alu instid0(SALU_CYCLE_1)
	s_cmp_lg_u32 s21, 0
	s_wait_alu 0xfffe
	s_sub_co_ci_u32 s9, s9, 0
	s_wait_alu 0xfffe
	s_cmp_ge_u32 s9, s7
	s_cselect_b32 s21, -1, 0
	s_cmp_ge_u32 s17, s6
	s_cselect_b32 s17, -1, 0
	s_cmp_eq_u32 s9, s7
	s_wait_alu 0xfffe
	s_cselect_b32 s9, s17, s21
	s_wait_alu 0xfffe
	s_cmp_lg_u32 s9, 0
	s_cselect_b32 s9, s42, s40
	s_cselect_b32 s17, s43, s41
	s_cmp_lg_u32 s4, 0
	s_sub_co_ci_u32 s4, s5, s39
	s_wait_alu 0xfffe
	s_cmp_ge_u32 s4, s7
	s_cselect_b32 s5, -1, 0
	s_cmp_ge_u32 s1, s6
	s_cselect_b32 s1, -1, 0
	s_cmp_eq_u32 s4, s7
	s_wait_alu 0xfffe
	s_cselect_b32 s1, s1, s5
	s_wait_alu 0xfffe
	s_cmp_lg_u32 s1, 0
	s_cselect_b32 s5, s17, s37
	s_cselect_b32 s4, s9, s36
	s_xor_b64 s[2:3], s[2:3], 0
	s_wait_alu 0xfffe
	s_xor_b64 s[4:5], s[4:5], s[2:3]
	s_wait_alu 0xfffe
	s_sub_nc_u64 s[38:39], s[4:5], s[2:3]
	s_mov_b32 s2, 0
.LBB17_11:                              ;   in Loop: Header=BB17_9 Depth=1
	s_wait_alu 0xfffe
	s_and_not1_b32 vcc_lo, exec_lo, s2
	s_wait_alu 0xfffe
	s_cbranch_vccnz .LBB17_13
; %bb.12:                               ;   in Loop: Header=BB17_9 Depth=1
	v_readfirstlane_b32 s1, v0
	s_sub_co_i32 s2, 0, s16
	s_wait_alu 0xfffe
	s_mul_i32 s2, s2, s1
	s_wait_alu 0xfffe
	s_mul_hi_u32 s2, s1, s2
	s_wait_alu 0xfffe
	s_add_co_i32 s1, s1, s2
	s_wait_alu 0xfffe
	s_mul_hi_u32 s1, s0, s1
	s_wait_alu 0xfffe
	s_mul_i32 s2, s1, s16
	s_wait_alu 0xfffe
	s_sub_co_i32 s0, s0, s2
	s_add_co_i32 s2, s1, 1
	s_wait_alu 0xfffe
	s_sub_co_i32 s3, s0, s16
	s_cmp_ge_u32 s0, s16
	s_cselect_b32 s1, s2, s1
	s_wait_alu 0xfffe
	s_cselect_b32 s0, s3, s0
	s_add_co_i32 s2, s1, 1
	s_wait_alu 0xfffe
	s_cmp_ge_u32 s0, s16
	s_cselect_b32 s38, s2, s1
.LBB17_13:                              ;   in Loop: Header=BB17_9 Depth=1
	v_readfirstlane_b32 s9, v0
	s_cmp_lg_u32 s20, s38
	s_mov_b32 s0, -1
                                        ; implicit-def: $sgpr21
                                        ; implicit-def: $vgpr6
                                        ; implicit-def: $vgpr7
                                        ; implicit-def: $sgpr17
                                        ; implicit-def: $sgpr27
	s_cbranch_scc1 .LBB17_16
; %bb.14:                               ;   in Loop: Header=BB17_9 Depth=1
	s_wait_alu 0xfffe
	s_and_not1_b32 vcc_lo, exec_lo, s0
	s_wait_alu 0xfffe
	s_cbranch_vccz .LBB17_19
.LBB17_15:                              ;   in Loop: Header=BB17_9 Depth=1
	s_and_not1_b32 vcc_lo, exec_lo, s21
	s_wait_alu 0xfffe
	s_cbranch_vccnz .LBB17_20
	s_branch .LBB17_23
.LBB17_16:                              ;   in Loop: Header=BB17_9 Depth=1
	s_add_co_i32 s0, s34, s16
	s_mov_b32 s1, s8
	s_wait_alu 0xfffe
	s_lshl_b32 s0, s0, 6
	v_max_num_f32_e64 v6, s26, s26
	s_wait_alu 0xfffe
	s_add_co_i32 s0, s0, s15
	s_mov_b32 s39, s8
	s_wait_alu 0xfffe
	s_lshl_b64 s[0:1], s[0:1], 3
	s_mul_u64 s[40:41], s[38:39], s[22:23]
	s_wait_alu 0xfffe
	s_add_nc_u64 s[0:1], s[10:11], s[0:1]
	s_mov_b32 s27, s20
	s_load_b64 s[36:37], s[0:1], 0x0
	v_readfirstlane_b32 s0, v6
	s_wait_kmcnt 0x0
	v_max_num_f32_e64 v7, s36, s36
	s_delay_alu instid0(VALU_DEP_1) | instskip(SKIP_2) | instid1(SALU_CYCLE_2)
	v_readfirstlane_b32 s1, v7
	s_max_num_f32 s9, s0, s1
	s_wait_alu 0xfffe
	s_sub_f32 s33, s26, s9
	s_sub_f32 s35, s36, s9
	s_wait_alu 0xfffe
	s_delay_alu instid0(SALU_CYCLE_1)
	s_cmp_nlt_f32 s33, 0xc2ce8ed0
	s_cselect_b32 s0, -1, 0
	s_cmp_ngt_f32 s33, 0x42b17218
	s_cselect_b32 s1, -1, 0
	s_cmp_ge_f32 s33, 0xc1a00000
	s_cselect_b32 s2, -1, 0
	s_cmp_nlt_f32 s35, 0xc2ce8ed0
	s_cselect_b32 s3, -1, 0
	s_cmp_ngt_f32 s35, 0x42b17218
	s_cselect_b32 s4, -1, 0
	s_cmp_ge_f32 s35, 0xc1a00000
	s_cselect_b32 s5, -1, 0
	s_add_co_i32 s17, s41, s38
	s_wait_alu 0xfffe
	s_lshr_b32 s17, s17, s13
	s_wait_alu 0xfffe
	s_mul_i32 s21, s17, s14
	s_delay_alu instid0(SALU_CYCLE_1)
	s_cmp_eq_u32 s21, s38
	s_cselect_b32 s21, -1, 0
	s_cmp_lt_u32 s17, s12
	s_cselect_b32 s17, -1, 0
	s_wait_alu 0xfffe
	s_or_b32 s17, s17, s21
	s_mov_b32 s21, -1
	s_wait_alu 0xfffe
	s_and_b32 vcc_lo, exec_lo, s17
	s_mov_b32 s17, s34
	s_wait_alu 0xfffe
	s_cbranch_vccnz .LBB17_18
; %bb.17:                               ;   in Loop: Header=BB17_9 Depth=1
	s_add_co_i32 s17, s34, -1
	s_mov_b32 s21, 0
	s_mov_b32 s27, s38
.LBB17_18:                              ;   in Loop: Header=BB17_9 Depth=1
	v_mad_co_u64_u32 v[6:7], null, 0x1800, s34, v[3:4]
	s_mul_f32 s36, s35, 0x3fb8aa3b
	s_mul_f32 s38, s33, 0x3fb8aa3b
	s_wait_alu 0xfffe
	s_delay_alu instid0(SALU_CYCLE_1)
	s_xor_b32 s39, s36, 0x80000000
	s_rndne_f32 s40, s36
	v_ashrrev_i32_e32 v7, 31, v6
	s_fmamk_f32 s39, s35, 0x3fb8aa3b, s39
	s_xor_b32 s41, s38, 0x80000000
	s_sub_f32 s36, s36, s40
	s_rndne_f32 s42, s38
	v_lshlrev_b64_e32 v[6:7], 2, v[6:7]
	s_fmamk_f32 s35, s35, 0x32a5705f, s39
	s_fmamk_f32 s39, s33, 0x3fb8aa3b, s41
	s_sub_f32 s38, s38, s42
	s_wait_alu 0xfffe
	s_add_f32 s35, s36, s35
	v_add_co_u32 v6, vcc_lo, s24, v6
	s_wait_alu 0xfffd
	v_add_co_ci_u32_e64 v7, null, s25, v7, vcc_lo
	s_fmamk_f32 s33, s33, 0x32a5705f, s39
	s_wait_alu 0xfffe
	v_s_exp_f32 s35, s35
	s_cvt_i32_f32 s36, s40
	global_load_b32 v6, v[6:7], off
	s_add_f32 s33, s38, s33
	s_wait_alu 0xfffe
	s_delay_alu instid0(SALU_CYCLE_2) | instskip(SKIP_2) | instid1(VALU_DEP_1)
	v_s_exp_f32 s33, s33
	v_ldexp_f32 v7, s35, s36
	s_cvt_i32_f32 s35, s42
	v_cndmask_b32_e64 v7, 0, v7, s3
	s_wait_alu 0xf1fe
	s_delay_alu instid0(TRANS32_DEP_1) | instid1(SALU_CYCLE_1)
	v_ldexp_f32 v8, s33, s35
	s_delay_alu instid0(VALU_DEP_2) | instskip(NEXT) | instid1(VALU_DEP_2)
	v_cndmask_b32_e64 v7, 0x7f800000, v7, s4
	v_cndmask_b32_e64 v8, 0, v8, s0
	s_delay_alu instid0(VALU_DEP_2) | instskip(NEXT) | instid1(VALU_DEP_2)
	v_cndmask_b32_e64 v7, 0, v7, s5
	v_cndmask_b32_e64 v8, 0x7f800000, v8, s1
	s_delay_alu instid0(VALU_DEP_1) | instskip(SKIP_1) | instid1(VALU_DEP_3)
	v_cndmask_b32_e64 v8, 0, v8, s2
	s_wait_loadcnt 0x0
	v_mul_f32_e32 v6, v6, v7
	v_mul_f32_e32 v7, s37, v7
	s_delay_alu instid0(VALU_DEP_1) | instskip(NEXT) | instid1(VALU_DEP_3)
	v_fmac_f32_e32 v7, v4, v8
	v_fmac_f32_e32 v6, v5, v8
	s_cbranch_execnz .LBB17_15
.LBB17_19:                              ;   in Loop: Header=BB17_9 Depth=1
	s_wait_loadcnt 0x0
	v_dual_mov_b32 v7, v4 :: v_dual_mov_b32 v6, v5
	s_add_co_i32 s17, s34, -1
	s_mov_b32 s27, s20
	s_mov_b32 s9, s26
	s_cbranch_execz .LBB17_23
.LBB17_20:                              ;   in Loop: Header=BB17_9 Depth=1
	s_wait_loadcnt 0x0
	v_dual_mov_b32 v4, v7 :: v_dual_mov_b32 v5, v6
	s_wait_alu 0xfffe
	s_mov_b32 s20, s27
	s_mov_b32 s34, s17
	;; [unrolled: 1-line block ×3, first 2 shown]
	s_branch .LBB17_9
.LBB17_21:
                                        ; implicit-def: $sgpr20_sgpr21
	s_branch .LBB17_2
.LBB17_22:
                                        ; implicit-def: $sgpr10_sgpr11
	s_load_b96 s[12:14], s[0:1], 0x44
	s_branch .LBB17_5
.LBB17_23:
	v_div_scale_f32 v0, null, v7, v7, v6
	s_delay_alu instid0(VALU_DEP_1) | instskip(NEXT) | instid1(TRANS32_DEP_1)
	v_rcp_f32_e32 v3, v0
	v_fma_f32 v4, -v0, v3, 1.0
	s_delay_alu instid0(VALU_DEP_1) | instskip(SKIP_2) | instid1(VALU_DEP_1)
	v_fmac_f32_e32 v3, v4, v3
	v_div_scale_f32 v4, vcc_lo, v6, v7, v6
	s_wait_loadcnt 0x0
	v_mul_f32_e32 v5, v4, v3
	s_delay_alu instid0(VALU_DEP_1) | instskip(NEXT) | instid1(VALU_DEP_1)
	v_fma_f32 v8, -v0, v5, v4
	v_fmac_f32_e32 v5, v8, v3
	s_delay_alu instid0(VALU_DEP_1) | instskip(SKIP_1) | instid1(VALU_DEP_1)
	v_fma_f32 v0, -v0, v5, v4
	s_wait_alu 0xfffd
	v_div_fmas_f32 v0, v0, v3, v5
	s_delay_alu instid0(VALU_DEP_1)
	v_div_fixup_f32 v0, v0, v7, v6
	global_store_b32 v[1:2], v0, off
.LBB17_24:
	s_endpgm
	.section	.rodata,"a",@progbits
	.p2align	6, 0x0
	.amdhsa_kernel _ZL33flash_attn_stream_k_fixup_generalILi96ELi32ELi2EEvPfPK15HIP_vector_typeIfLj2EEiiiiS1_IjLj3EES5_S5_S5_
		.amdhsa_group_segment_fixed_size 0
		.amdhsa_private_segment_fixed_size 0
		.amdhsa_kernarg_size 336
		.amdhsa_user_sgpr_count 2
		.amdhsa_user_sgpr_dispatch_ptr 0
		.amdhsa_user_sgpr_queue_ptr 0
		.amdhsa_user_sgpr_kernarg_segment_ptr 1
		.amdhsa_user_sgpr_dispatch_id 0
		.amdhsa_user_sgpr_private_segment_size 0
		.amdhsa_wavefront_size32 1
		.amdhsa_uses_dynamic_stack 0
		.amdhsa_enable_private_segment 0
		.amdhsa_system_sgpr_workgroup_id_x 1
		.amdhsa_system_sgpr_workgroup_id_y 1
		.amdhsa_system_sgpr_workgroup_id_z 1
		.amdhsa_system_sgpr_workgroup_info 0
		.amdhsa_system_vgpr_workitem_id 0
		.amdhsa_next_free_vgpr 9
		.amdhsa_next_free_sgpr 44
		.amdhsa_reserve_vcc 1
		.amdhsa_float_round_mode_32 0
		.amdhsa_float_round_mode_16_64 0
		.amdhsa_float_denorm_mode_32 3
		.amdhsa_float_denorm_mode_16_64 3
		.amdhsa_fp16_overflow 0
		.amdhsa_workgroup_processor_mode 1
		.amdhsa_memory_ordered 1
		.amdhsa_forward_progress 1
		.amdhsa_inst_pref_size 28
		.amdhsa_round_robin_scheduling 0
		.amdhsa_exception_fp_ieee_invalid_op 0
		.amdhsa_exception_fp_denorm_src 0
		.amdhsa_exception_fp_ieee_div_zero 0
		.amdhsa_exception_fp_ieee_overflow 0
		.amdhsa_exception_fp_ieee_underflow 0
		.amdhsa_exception_fp_ieee_inexact 0
		.amdhsa_exception_int_div_zero 0
	.end_amdhsa_kernel
	.section	.text._ZL33flash_attn_stream_k_fixup_generalILi96ELi32ELi2EEvPfPK15HIP_vector_typeIfLj2EEiiiiS1_IjLj3EES5_S5_S5_,"axG",@progbits,_ZL33flash_attn_stream_k_fixup_generalILi96ELi32ELi2EEvPfPK15HIP_vector_typeIfLj2EEiiiiS1_IjLj3EES5_S5_S5_,comdat
.Lfunc_end17:
	.size	_ZL33flash_attn_stream_k_fixup_generalILi96ELi32ELi2EEvPfPK15HIP_vector_typeIfLj2EEiiiiS1_IjLj3EES5_S5_S5_, .Lfunc_end17-_ZL33flash_attn_stream_k_fixup_generalILi96ELi32ELi2EEvPfPK15HIP_vector_typeIfLj2EEiiiiS1_IjLj3EES5_S5_S5_
                                        ; -- End function
	.set _ZL33flash_attn_stream_k_fixup_generalILi96ELi32ELi2EEvPfPK15HIP_vector_typeIfLj2EEiiiiS1_IjLj3EES5_S5_S5_.num_vgpr, 9
	.set _ZL33flash_attn_stream_k_fixup_generalILi96ELi32ELi2EEvPfPK15HIP_vector_typeIfLj2EEiiiiS1_IjLj3EES5_S5_S5_.num_agpr, 0
	.set _ZL33flash_attn_stream_k_fixup_generalILi96ELi32ELi2EEvPfPK15HIP_vector_typeIfLj2EEiiiiS1_IjLj3EES5_S5_S5_.numbered_sgpr, 44
	.set _ZL33flash_attn_stream_k_fixup_generalILi96ELi32ELi2EEvPfPK15HIP_vector_typeIfLj2EEiiiiS1_IjLj3EES5_S5_S5_.num_named_barrier, 0
	.set _ZL33flash_attn_stream_k_fixup_generalILi96ELi32ELi2EEvPfPK15HIP_vector_typeIfLj2EEiiiiS1_IjLj3EES5_S5_S5_.private_seg_size, 0
	.set _ZL33flash_attn_stream_k_fixup_generalILi96ELi32ELi2EEvPfPK15HIP_vector_typeIfLj2EEiiiiS1_IjLj3EES5_S5_S5_.uses_vcc, 1
	.set _ZL33flash_attn_stream_k_fixup_generalILi96ELi32ELi2EEvPfPK15HIP_vector_typeIfLj2EEiiiiS1_IjLj3EES5_S5_S5_.uses_flat_scratch, 0
	.set _ZL33flash_attn_stream_k_fixup_generalILi96ELi32ELi2EEvPfPK15HIP_vector_typeIfLj2EEiiiiS1_IjLj3EES5_S5_S5_.has_dyn_sized_stack, 0
	.set _ZL33flash_attn_stream_k_fixup_generalILi96ELi32ELi2EEvPfPK15HIP_vector_typeIfLj2EEiiiiS1_IjLj3EES5_S5_S5_.has_recursion, 0
	.set _ZL33flash_attn_stream_k_fixup_generalILi96ELi32ELi2EEvPfPK15HIP_vector_typeIfLj2EEiiiiS1_IjLj3EES5_S5_S5_.has_indirect_call, 0
	.section	.AMDGPU.csdata,"",@progbits
; Kernel info:
; codeLenInByte = 3540
; TotalNumSgprs: 46
; NumVgprs: 9
; ScratchSize: 0
; MemoryBound: 0
; FloatMode: 240
; IeeeMode: 1
; LDSByteSize: 0 bytes/workgroup (compile time only)
; SGPRBlocks: 0
; VGPRBlocks: 1
; NumSGPRsForWavesPerEU: 46
; NumVGPRsForWavesPerEU: 9
; Occupancy: 16
; WaveLimiterHint : 0
; COMPUTE_PGM_RSRC2:SCRATCH_EN: 0
; COMPUTE_PGM_RSRC2:USER_SGPR: 2
; COMPUTE_PGM_RSRC2:TRAP_HANDLER: 0
; COMPUTE_PGM_RSRC2:TGID_X_EN: 1
; COMPUTE_PGM_RSRC2:TGID_Y_EN: 1
; COMPUTE_PGM_RSRC2:TGID_Z_EN: 1
; COMPUTE_PGM_RSRC2:TIDIG_COMP_CNT: 0
	.section	.text._ZL26flash_attn_combine_resultsILi96EEvPKfPK15HIP_vector_typeIfLj2EEPfi,"axG",@progbits,_ZL26flash_attn_combine_resultsILi96EEvPKfPK15HIP_vector_typeIfLj2EEPfi,comdat
	.globl	_ZL26flash_attn_combine_resultsILi96EEvPKfPK15HIP_vector_typeIfLj2EEPfi ; -- Begin function _ZL26flash_attn_combine_resultsILi96EEvPKfPK15HIP_vector_typeIfLj2EEPfi
	.p2align	8
	.type	_ZL26flash_attn_combine_resultsILi96EEvPKfPK15HIP_vector_typeIfLj2EEPfi,@function
_ZL26flash_attn_combine_resultsILi96EEvPKfPK15HIP_vector_typeIfLj2EEPfi: ; @_ZL26flash_attn_combine_resultsILi96EEvPKfPK15HIP_vector_typeIfLj2EEPfi
; %bb.0:
	s_clause 0x2
	s_load_b64 s[2:3], s[0:1], 0x20
	s_load_b96 s[12:14], s[0:1], 0x10
	s_load_b128 s[8:11], s[0:1], 0x0
	s_lshr_b32 s0, ttmp7, 16
	v_lshlrev_b32_e32 v7, 2, v0
	s_mov_b32 s4, exec_lo
	s_wait_kmcnt 0x0
	s_mul_i32 s0, s2, s0
	s_and_b32 s2, ttmp7, 0xffff
	s_add_co_i32 s0, s0, ttmp9
	s_lshl_b32 s1, s14, 1
	s_mul_i32 s7, s0, s3
	s_delay_alu instid0(SALU_CYCLE_1) | instskip(NEXT) | instid1(SALU_CYCLE_1)
	s_add_co_i32 s7, s7, s2
	s_mul_i32 s2, s7, s14
	v_cmpx_gt_i32_e64 s1, v0
	s_cbranch_execz .LBB18_3
; %bb.1:
	s_ashr_i32 s3, s2, 31
	v_dual_mov_b32 v4, v0 :: v_dual_add_nc_u32 v3, 0, v7
	s_lshl_b64 s[16:17], s[2:3], 3
	s_mov_b32 s3, 0
	s_add_nc_u64 s[10:11], s[10:11], s[16:17]
	s_delay_alu instid0(SALU_CYCLE_1)
	v_add_co_u32 v1, s0, s10, v7
	s_wait_alu 0xf1ff
	v_add_co_ci_u32_e64 v2, null, s11, 0, s0
.LBB18_2:                               ; =>This Inner Loop Header: Depth=1
	global_load_b32 v5, v[1:2], off
	v_add_nc_u32_e32 v4, 0x60, v4
	v_add_co_u32 v1, vcc_lo, 0x180, v1
	s_wait_alu 0xfffd
	v_add_co_ci_u32_e64 v2, null, 0, v2, vcc_lo
	s_delay_alu instid0(VALU_DEP_3)
	v_cmp_le_i32_e64 s0, s1, v4
	s_or_b32 s3, s0, s3
	s_wait_loadcnt 0x0
	ds_store_b32 v3, v5
	v_add_nc_u32_e32 v3, 0x180, v3
	s_and_not1_b32 exec_lo, exec_lo, s3
	s_cbranch_execnz .LBB18_2
.LBB18_3:
	s_or_b32 exec_lo, exec_lo, s4
	v_mov_b32_e32 v1, 0
	s_wait_dscnt 0x0
	s_barrier_signal -1
	s_barrier_wait -1
	global_inv scope:SCOPE_SE
	ds_load_b32 v8, v1
	s_cmp_lt_i32 s14, 2
	s_cbranch_scc1 .LBB18_11
; %bb.4:
	s_add_co_i32 s1, s14, -2
	s_add_co_i32 s0, s14, -1
	s_wait_alu 0xfffe
	s_cmp_lt_u32 s1, 7
	s_cbranch_scc1 .LBB18_8
; %bb.5:
	s_mov_b32 s3, 0
	s_add_co_i32 s1, 0, 8
	s_and_b32 s4, s0, -8
.LBB18_6:                               ; =>This Inner Loop Header: Depth=1
	s_wait_alu 0xfffe
	v_mov_b32_e32 v9, s1
	s_mov_b32 s5, s3
	s_add_co_i32 s3, s3, 8
	s_add_co_i32 s1, s1, 64
	s_cmp_eq_u32 s4, s3
	ds_load_2addr_b32 v[1:2], v9 offset1:2
	ds_load_2addr_b32 v[3:4], v9 offset0:4 offset1:6
	ds_load_2addr_b32 v[5:6], v9 offset0:8 offset1:10
	;; [unrolled: 1-line block ×3, first 2 shown]
	s_wait_dscnt 0x3
	v_max3_num_f32 v1, v8, v1, v2
	s_wait_dscnt 0x2
	s_delay_alu instid0(VALU_DEP_1) | instskip(SKIP_1) | instid1(VALU_DEP_1)
	v_max3_num_f32 v1, v1, v3, v4
	s_wait_dscnt 0x1
	v_max3_num_f32 v1, v1, v5, v6
	s_wait_dscnt 0x0
	s_delay_alu instid0(VALU_DEP_1)
	v_max3_num_f32 v8, v1, v9, v10
	s_cbranch_scc0 .LBB18_6
; %bb.7:
	s_add_co_i32 s1, s5, 9
	s_and_b32 s0, s0, 7
	s_wait_alu 0xfffe
	s_cmp_eq_u32 s0, 0
	s_cbranch_scc0 .LBB18_9
	s_branch .LBB18_11
.LBB18_8:
	s_mov_b32 s1, 1
	s_and_b32 s0, s0, 7
	s_wait_alu 0xfffe
	s_cmp_eq_u32 s0, 0
	s_cbranch_scc1 .LBB18_11
.LBB18_9:
	s_lshl_b32 s1, s1, 3
	s_wait_alu 0xfffe
	s_add_co_i32 s1, s1, 0
.LBB18_10:                              ; =>This Inner Loop Header: Depth=1
	s_wait_dscnt 0x0
	s_wait_alu 0xfffe
	s_delay_alu instid0(VALU_DEP_1)
	v_dual_mov_b32 v1, s1 :: v_dual_max_num_f32 v2, v8, v8
	s_add_co_i32 s0, s0, -1
	s_add_co_i32 s1, s1, 8
	s_wait_alu 0xfffe
	s_cmp_lg_u32 s0, 0
	ds_load_b32 v1, v1
	s_wait_dscnt 0x0
	v_max_num_f32_e32 v1, v1, v1
	s_delay_alu instid0(VALU_DEP_1)
	v_max_num_f32_e32 v8, v2, v1
	s_cbranch_scc1 .LBB18_10
.LBB18_11:
	s_cmp_lt_i32 s14, 1
	s_cbranch_scc1 .LBB18_16
; %bb.12:
	s_mul_i32 s10, s2, 0x60
	s_wait_alu 0xfffe
	s_ashr_i32 s11, s10, 31
	s_cmp_lt_u32 s14, 8
	s_cbranch_scc1 .LBB18_17
; %bb.13:
	s_wait_alu 0xfffe
	s_lshl_b64 s[0:1], s[10:11], 2
	v_dual_mov_b32 v2, 0 :: v_dual_add_nc_u32 v5, 0x2a0, v0
	s_wait_alu 0xfffe
	s_add_nc_u64 s[16:17], s[8:9], s[0:1]
	v_dual_mov_b32 v9, 0 :: v_dual_mov_b32 v10, 0
	v_add_co_u32 v1, s0, s16, v7
	s_wait_alu 0xf1ff
	v_add_co_ci_u32_e64 v4, null, s17, 0, s0
	s_and_b32 s15, s14, 0x7ffffff8
	v_add_co_u32 v3, vcc_lo, 0x180, v1
	s_wait_alu 0xfffd
	v_add_co_ci_u32_e64 v4, null, 0, v4, vcc_lo
	s_mov_b32 s18, 0
	s_mov_b32 s19, 0
.LBB18_14:                              ; =>This Inner Loop Header: Depth=1
	v_dual_mov_b32 v6, v2 :: v_dual_add_nc_u32 v1, 0xfffffd60, v5
	global_load_b32 v27, v[3:4], off
	v_mov_b32_e32 v23, s19
	s_add_co_i32 s18, s18, 8
	v_lshlrev_b64_e32 v[11:12], 2, v[1:2]
	v_lshlrev_b64_e32 v[13:14], 2, v[5:6]
	v_add_nc_u32_e32 v1, 0xfffffe20, v5
	s_add_co_i32 s19, s19, 64
	s_wait_alu 0xfffe
	s_cmp_eq_u32 s15, s18
	v_add_co_u32 v11, vcc_lo, s16, v11
	s_wait_alu 0xfffd
	v_add_co_ci_u32_e64 v12, null, s17, v12, vcc_lo
	v_lshlrev_b64_e32 v[15:16], 2, v[1:2]
	v_add_nc_u32_e32 v1, 0xfffffe80, v5
	global_load_b32 v6, v[11:12], off
	v_lshlrev_b64_e32 v[17:18], 2, v[1:2]
	v_add_co_u32 v11, vcc_lo, s16, v15
	s_wait_alu 0xfffd
	v_add_co_ci_u32_e64 v12, null, s17, v16, vcc_lo
	v_add_nc_u32_e32 v1, 0xfffffee0, v5
	s_delay_alu instid0(VALU_DEP_4)
	v_add_co_u32 v17, vcc_lo, s16, v17
	s_wait_alu 0xfffd
	v_add_co_ci_u32_e64 v18, null, s17, v18, vcc_lo
	global_load_b32 v28, v[11:12], off
	v_lshlrev_b64_e32 v[15:16], 2, v[1:2]
	v_add_nc_u32_e32 v1, 0xffffff40, v5
	global_load_b32 v29, v[17:18], off
	v_lshlrev_b64_e32 v[11:12], 2, v[1:2]
	v_add_co_u32 v15, vcc_lo, s16, v15
	s_wait_alu 0xfffd
	v_add_co_ci_u32_e64 v16, null, s17, v16, vcc_lo
	v_add_nc_u32_e32 v1, 0xffffffa0, v5
	s_delay_alu instid0(VALU_DEP_4) | instskip(SKIP_2) | instid1(VALU_DEP_3)
	v_add_co_u32 v11, vcc_lo, s16, v11
	s_wait_alu 0xfffd
	v_add_co_ci_u32_e64 v12, null, s17, v12, vcc_lo
	v_lshlrev_b64_e32 v[17:18], 2, v[1:2]
	s_clause 0x1
	global_load_b32 v1, v[15:16], off
	global_load_b32 v30, v[11:12], off
	v_add_nc_u32_e32 v5, 0x300, v5
	v_add_co_u32 v11, vcc_lo, s16, v17
	s_wait_alu 0xfffd
	v_add_co_ci_u32_e64 v12, null, s17, v18, vcc_lo
	v_add_co_u32 v13, vcc_lo, s16, v13
	s_wait_alu 0xfffd
	v_add_co_ci_u32_e64 v14, null, s17, v14, vcc_lo
	s_clause 0x1
	global_load_b32 v31, v[11:12], off
	global_load_b32 v32, v[13:14], off
	ds_load_2addr_b64 v[11:14], v23 offset1:1
	ds_load_2addr_b64 v[15:18], v23 offset0:2 offset1:3
	ds_load_2addr_b64 v[19:22], v23 offset0:4 offset1:5
	;; [unrolled: 1-line block ×3, first 2 shown]
	s_wait_dscnt 0x2
	v_sub_f32_e32 v17, v17, v8
	v_sub_f32_e32 v11, v11, v8
	s_wait_dscnt 0x0
	v_sub_f32_e32 v25, v25, v8
	s_delay_alu instid0(VALU_DEP_3) | instskip(NEXT) | instid1(VALU_DEP_2)
	v_dual_sub_f32 v15, v15, v8 :: v_dual_mul_f32 v36, 0x3fb8aa3b, v17
	v_dual_mul_f32 v33, 0x3fb8aa3b, v11 :: v_dual_mul_f32 v40, 0x3fb8aa3b, v25
	v_cmp_ngt_f32_e64 s6, 0xc2ce8ed0, v11
	s_delay_alu instid0(VALU_DEP_3) | instskip(NEXT) | instid1(VALU_DEP_4)
	v_cmp_ngt_f32_e64 s0, 0xc2ce8ed0, v15
	v_xor_b32_e32 v47, 0x80000000, v36
	s_delay_alu instid0(VALU_DEP_4)
	v_xor_b32_e32 v41, 0x80000000, v33
	v_xor_b32_e32 v55, 0x80000000, v40
	v_rndne_f32_e32 v56, v40
	v_rndne_f32_e32 v42, v33
	;; [unrolled: 1-line block ×3, first 2 shown]
	v_fmac_f32_e32 v41, 0x3fb8aa3b, v11
	s_delay_alu instid0(VALU_DEP_4) | instskip(NEXT) | instid1(VALU_DEP_4)
	v_dual_fmac_f32 v55, 0x3fb8aa3b, v25 :: v_dual_sub_f32 v40, v40, v56
	v_sub_f32_e32 v33, v33, v42
	v_cvt_i32_f32_e32 v42, v42
	s_delay_alu instid0(VALU_DEP_4) | instskip(NEXT) | instid1(VALU_DEP_4)
	v_fmac_f32_e32 v41, 0x32a5705f, v11
	v_fmac_f32_e32 v55, 0x32a5705f, v25
	v_sub_f32_e32 v21, v21, v8
	v_dual_fmac_f32 v47, 0x3fb8aa3b, v17 :: v_dual_sub_f32 v36, v36, v48
	s_delay_alu instid0(VALU_DEP_3) | instskip(NEXT) | instid1(VALU_DEP_3)
	v_dual_add_f32 v33, v33, v41 :: v_dual_add_f32 v40, v40, v55
	v_dual_sub_f32 v13, v13, v8 :: v_dual_mul_f32 v38, 0x3fb8aa3b, v21
	s_delay_alu instid0(VALU_DEP_3) | instskip(NEXT) | instid1(VALU_DEP_3)
	v_fmac_f32_e32 v47, 0x32a5705f, v17
	v_exp_f32_e32 v33, v33
	v_cvt_i32_f32_e32 v48, v48
	s_delay_alu instid0(VALU_DEP_3)
	v_mul_f32_e32 v34, 0x3fb8aa3b, v13
	v_cmp_ngt_f32_e32 vcc_lo, 0xc2ce8ed0, v13
	v_add_f32_e32 v36, v36, v47
	v_xor_b32_e32 v51, 0x80000000, v38
	v_cmp_ngt_f32_e64 s1, 0xc2ce8ed0, v17
	v_xor_b32_e32 v43, 0x80000000, v34
	v_rndne_f32_e32 v44, v34
	v_exp_f32_e32 v36, v36
	v_ldexp_f32 v33, v33, v42
	v_rndne_f32_e32 v52, v38
	s_delay_alu instid0(VALU_DEP_3)
	v_dual_fmac_f32 v43, 0x3fb8aa3b, v13 :: v_dual_sub_f32 v34, v34, v44
	v_cvt_i32_f32_e32 v44, v44
	s_wait_alu 0xf1ff
	v_cndmask_b32_e64 v33, 0, v33, s6
	v_fmac_f32_e32 v51, 0x3fb8aa3b, v21
	v_dual_fmac_f32 v43, 0x32a5705f, v13 :: v_dual_sub_f32 v38, v38, v52
	s_delay_alu instid0(TRANS32_DEP_1) | instskip(SKIP_1) | instid1(VALU_DEP_3)
	v_ldexp_f32 v36, v36, v48
	v_cvt_i32_f32_e32 v52, v52
	v_dual_fmac_f32 v51, 0x32a5705f, v21 :: v_dual_add_f32 v34, v34, v43
	v_sub_f32_e32 v19, v19, v8
	s_delay_alu instid0(VALU_DEP_4) | instskip(SKIP_1) | instid1(VALU_DEP_4)
	v_cndmask_b32_e64 v36, 0, v36, s1
	v_cmp_ngt_f32_e64 s3, 0xc2ce8ed0, v21
	v_add_f32_e32 v38, v38, v51
	v_exp_f32_e32 v34, v34
	v_cmp_ngt_f32_e64 s2, 0xc2ce8ed0, v19
	v_exp_f32_e32 v40, v40
	v_cvt_i32_f32_e32 v56, v56
	v_exp_f32_e32 v38, v38
	s_delay_alu instid0(TRANS32_DEP_3)
	v_ldexp_f32 v34, v34, v44
	v_sub_f32_e32 v23, v23, v8
	s_delay_alu instid0(TRANS32_DEP_2) | instid1(VALU_DEP_3)
	v_ldexp_f32 v40, v40, v56
	s_delay_alu instid0(TRANS32_DEP_1)
	v_ldexp_f32 v38, v38, v52
	s_wait_alu 0xfffd
	v_cndmask_b32_e32 v34, 0, v34, vcc_lo
	v_cmp_nlt_f32_e32 vcc_lo, 0x42b17218, v11
	v_cmp_ngt_f32_e64 s4, 0xc2ce8ed0, v23
	s_wait_alu 0xf1ff
	v_cndmask_b32_e64 v38, 0, v38, s3
	s_wait_alu 0xfffd
	v_cndmask_b32_e32 v11, 0x7f800000, v33, vcc_lo
	v_cmp_nlt_f32_e32 vcc_lo, 0x42b17218, v13
	s_delay_alu instid0(VALU_DEP_2) | instskip(SKIP_4) | instid1(VALU_DEP_2)
	v_fmac_f32_e32 v9, v11, v12
	s_wait_alu 0xfffd
	v_cndmask_b32_e32 v13, 0x7f800000, v34, vcc_lo
	v_cmp_nlt_f32_e32 vcc_lo, 0x42b17218, v15
	s_wait_loadcnt 0x6
	v_dual_fmac_f32 v9, v13, v14 :: v_dual_fmac_f32 v10, v6, v11
	v_cmp_ngt_f32_e64 s5, 0xc2ce8ed0, v25
	s_delay_alu instid0(VALU_DEP_2) | instskip(SKIP_1) | instid1(VALU_DEP_2)
	v_dual_fmac_f32 v10, v27, v13 :: v_dual_mul_f32 v35, 0x3fb8aa3b, v15
	s_wait_alu 0xf1ff
	v_cndmask_b32_e64 v40, 0, v40, s5
	s_delay_alu instid0(VALU_DEP_2) | instskip(SKIP_1) | instid1(VALU_DEP_2)
	v_xor_b32_e32 v45, 0x80000000, v35
	v_rndne_f32_e32 v46, v35
	v_fmac_f32_e32 v45, 0x3fb8aa3b, v15
	s_delay_alu instid0(VALU_DEP_2) | instskip(SKIP_1) | instid1(VALU_DEP_3)
	v_sub_f32_e32 v35, v35, v46
	v_cvt_i32_f32_e32 v46, v46
	v_fmac_f32_e32 v45, 0x32a5705f, v15
	s_delay_alu instid0(VALU_DEP_1) | instskip(NEXT) | instid1(VALU_DEP_1)
	v_add_f32_e32 v35, v35, v45
	v_exp_f32_e32 v35, v35
	s_delay_alu instid0(TRANS32_DEP_1) | instskip(NEXT) | instid1(VALU_DEP_1)
	v_ldexp_f32 v35, v35, v46
	v_cndmask_b32_e64 v35, 0, v35, s0
	v_cmp_nlt_f32_e64 s0, 0x42b17218, v25
	s_wait_alu 0xfffd
	s_delay_alu instid0(VALU_DEP_2) | instskip(SKIP_3) | instid1(VALU_DEP_2)
	v_cndmask_b32_e32 v6, 0x7f800000, v35, vcc_lo
	v_cmp_nlt_f32_e32 vcc_lo, 0x42b17218, v17
	s_wait_loadcnt 0x5
	s_wait_alu 0xfffd
	v_dual_fmac_f32 v10, v28, v6 :: v_dual_cndmask_b32 v11, 0x7f800000, v36
	v_cmp_nlt_f32_e32 vcc_lo, 0x42b17218, v19
	s_wait_loadcnt 0x4
	s_delay_alu instid0(VALU_DEP_2) | instskip(SKIP_1) | instid1(VALU_DEP_2)
	v_dual_fmac_f32 v9, v6, v16 :: v_dual_fmac_f32 v10, v29, v11
	v_mul_f32_e32 v37, 0x3fb8aa3b, v19
	v_fmac_f32_e32 v9, v11, v18
	s_delay_alu instid0(VALU_DEP_2) | instskip(SKIP_1) | instid1(VALU_DEP_2)
	v_xor_b32_e32 v49, 0x80000000, v37
	v_rndne_f32_e32 v50, v37
	v_fmac_f32_e32 v49, 0x3fb8aa3b, v19
	s_delay_alu instid0(VALU_DEP_2) | instskip(SKIP_1) | instid1(VALU_DEP_3)
	v_sub_f32_e32 v37, v37, v50
	v_cvt_i32_f32_e32 v50, v50
	v_fmac_f32_e32 v49, 0x32a5705f, v19
	s_delay_alu instid0(VALU_DEP_1) | instskip(NEXT) | instid1(VALU_DEP_1)
	v_add_f32_e32 v37, v37, v49
	v_exp_f32_e32 v37, v37
	s_delay_alu instid0(TRANS32_DEP_1) | instskip(NEXT) | instid1(VALU_DEP_1)
	v_ldexp_f32 v37, v37, v50
	v_cndmask_b32_e64 v37, 0, v37, s2
	s_wait_alu 0xfffd
	s_delay_alu instid0(VALU_DEP_1) | instskip(SKIP_2) | instid1(VALU_DEP_2)
	v_cndmask_b32_e32 v6, 0x7f800000, v37, vcc_lo
	v_cmp_nlt_f32_e32 vcc_lo, 0x42b17218, v21
	s_wait_loadcnt 0x3
	v_fmac_f32_e32 v10, v1, v6
	s_wait_alu 0xfffd
	v_cndmask_b32_e32 v11, 0x7f800000, v38, vcc_lo
	v_fmac_f32_e32 v9, v6, v20
	v_cmp_nlt_f32_e32 vcc_lo, 0x42b17218, v23
	s_wait_alu 0xf1ff
	v_cndmask_b32_e64 v6, 0x7f800000, v40, s0
	s_wait_loadcnt 0x2
	v_fmac_f32_e32 v10, v30, v11
	v_mul_f32_e32 v39, 0x3fb8aa3b, v23
	v_fmac_f32_e32 v9, v11, v22
	s_delay_alu instid0(VALU_DEP_2) | instskip(SKIP_1) | instid1(VALU_DEP_2)
	v_xor_b32_e32 v53, 0x80000000, v39
	v_rndne_f32_e32 v54, v39
	v_fmac_f32_e32 v53, 0x3fb8aa3b, v23
	s_delay_alu instid0(VALU_DEP_2) | instskip(SKIP_1) | instid1(VALU_DEP_3)
	v_sub_f32_e32 v39, v39, v54
	v_cvt_i32_f32_e32 v54, v54
	v_fmac_f32_e32 v53, 0x32a5705f, v23
	s_delay_alu instid0(VALU_DEP_1) | instskip(NEXT) | instid1(VALU_DEP_1)
	v_add_f32_e32 v39, v39, v53
	v_exp_f32_e32 v39, v39
	s_delay_alu instid0(TRANS32_DEP_1) | instskip(NEXT) | instid1(VALU_DEP_1)
	v_ldexp_f32 v39, v39, v54
	v_cndmask_b32_e64 v39, 0, v39, s4
	s_wait_alu 0xfffd
	s_delay_alu instid0(VALU_DEP_1)
	v_cndmask_b32_e32 v1, 0x7f800000, v39, vcc_lo
	v_add_co_u32 v3, vcc_lo, 0xc00, v3
	s_wait_alu 0xfffd
	v_add_co_ci_u32_e64 v4, null, 0, v4, vcc_lo
	s_wait_loadcnt 0x1
	v_dual_fmac_f32 v9, v1, v24 :: v_dual_fmac_f32 v10, v31, v1
	s_delay_alu instid0(VALU_DEP_1) | instskip(SKIP_1) | instid1(VALU_DEP_2)
	v_fmac_f32_e32 v9, v6, v26
	s_wait_loadcnt 0x0
	v_fmac_f32_e32 v10, v32, v6
	s_cbranch_scc0 .LBB18_14
; %bb.15:
	s_and_b32 s1, s14, 7
	s_wait_alu 0xfffe
	s_cmp_eq_u32 s1, 0
	s_cbranch_scc0 .LBB18_18
	s_branch .LBB18_20
.LBB18_16:
	v_mov_b32_e32 v0, 0x7fc00000
	s_branch .LBB18_21
.LBB18_17:
	v_dual_mov_b32 v10, 0 :: v_dual_mov_b32 v9, 0
	s_mov_b32 s15, 0
	s_and_b32 s1, s14, 7
	s_wait_alu 0xfffe
	s_cmp_eq_u32 s1, 0
	s_cbranch_scc1 .LBB18_20
.LBB18_18:
	v_mad_co_u64_u32 v[0:1], null, 0x60, s15, v[0:1]
	v_mov_b32_e32 v1, 0
	s_lshl_b64 s[2:3], s[10:11], 2
	s_lshl_b32 s0, s15, 3
	s_wait_alu 0xfffe
	s_add_nc_u64 s[2:3], s[8:9], s[2:3]
	s_delay_alu instid0(VALU_DEP_2) | instskip(SKIP_1) | instid1(VALU_DEP_1)
	v_lshlrev_b64_e32 v[0:1], 2, v[0:1]
	s_wait_alu 0xfffe
	v_add_co_u32 v0, vcc_lo, s2, v0
	s_wait_alu 0xfffd
	s_delay_alu instid0(VALU_DEP_2)
	v_add_co_ci_u32_e64 v1, null, s3, v1, vcc_lo
	s_add_co_i32 s2, s0, 0
.LBB18_19:                              ; =>This Inner Loop Header: Depth=1
	global_load_b32 v4, v[0:1], off
	s_wait_alu 0xfffe
	v_mov_b32_e32 v2, s2
	s_add_co_i32 s1, s1, -1
	s_add_co_i32 s2, s2, 8
	s_wait_alu 0xfffe
	s_cmp_lg_u32 s1, 0
	ds_load_b64 v[2:3], v2
	s_wait_dscnt 0x0
	v_sub_f32_e32 v2, v2, v8
	s_delay_alu instid0(VALU_DEP_1) | instskip(NEXT) | instid1(VALU_DEP_1)
	v_mul_f32_e32 v5, 0x3fb8aa3b, v2
	v_xor_b32_e32 v6, 0x80000000, v5
	v_rndne_f32_e32 v11, v5
	s_delay_alu instid0(VALU_DEP_1) | instskip(NEXT) | instid1(VALU_DEP_1)
	v_dual_fmac_f32 v6, 0x3fb8aa3b, v2 :: v_dual_sub_f32 v5, v5, v11
	v_fmac_f32_e32 v6, 0x32a5705f, v2
	s_delay_alu instid0(VALU_DEP_1) | instskip(SKIP_3) | instid1(VALU_DEP_4)
	v_add_f32_e32 v5, v5, v6
	v_cvt_i32_f32_e32 v6, v11
	v_cmp_ngt_f32_e32 vcc_lo, 0xc2ce8ed0, v2
	v_cmp_nlt_f32_e64 s0, 0x42b17218, v2
	v_exp_f32_e32 v5, v5
	s_delay_alu instid0(TRANS32_DEP_1) | instskip(SKIP_1) | instid1(VALU_DEP_1)
	v_ldexp_f32 v5, v5, v6
	s_wait_alu 0xfffd
	v_cndmask_b32_e32 v5, 0, v5, vcc_lo
	v_add_co_u32 v0, vcc_lo, 0x180, v0
	s_wait_alu 0xfffd
	v_add_co_ci_u32_e64 v1, null, 0, v1, vcc_lo
	s_wait_alu 0xf1ff
	v_cndmask_b32_e64 v2, 0x7f800000, v5, s0
	s_wait_loadcnt 0x0
	s_delay_alu instid0(VALU_DEP_1)
	v_dual_fmac_f32 v9, v2, v3 :: v_dual_fmac_f32 v10, v4, v2
	s_cbranch_scc1 .LBB18_19
.LBB18_20:
	s_delay_alu instid0(VALU_DEP_1) | instskip(NEXT) | instid1(VALU_DEP_1)
	v_div_scale_f32 v0, null, v9, v9, v10
	v_rcp_f32_e32 v1, v0
	s_delay_alu instid0(TRANS32_DEP_1) | instskip(NEXT) | instid1(VALU_DEP_1)
	v_fma_f32 v2, -v0, v1, 1.0
	v_fmac_f32_e32 v1, v2, v1
	v_div_scale_f32 v2, vcc_lo, v10, v9, v10
	s_delay_alu instid0(VALU_DEP_1) | instskip(NEXT) | instid1(VALU_DEP_1)
	v_mul_f32_e32 v3, v2, v1
	v_fma_f32 v4, -v0, v3, v2
	s_delay_alu instid0(VALU_DEP_1) | instskip(NEXT) | instid1(VALU_DEP_1)
	v_fmac_f32_e32 v3, v4, v1
	v_fma_f32 v0, -v0, v3, v2
	s_wait_alu 0xfffd
	s_delay_alu instid0(VALU_DEP_1) | instskip(NEXT) | instid1(VALU_DEP_1)
	v_div_fmas_f32 v0, v0, v1, v3
	v_div_fixup_f32 v0, v0, v9, v10
.LBB18_21:
	s_mul_i32 s0, s7, 0x60
	s_wait_alu 0xfffe
	s_ashr_i32 s1, s0, 31
	s_wait_alu 0xfffe
	s_lshl_b64 s[0:1], s[0:1], 2
	s_wait_alu 0xfffe
	s_add_nc_u64 s[0:1], s[12:13], s[0:1]
	global_store_b32 v7, v0, s[0:1]
	s_endpgm
	.section	.rodata,"a",@progbits
	.p2align	6, 0x0
	.amdhsa_kernel _ZL26flash_attn_combine_resultsILi96EEvPKfPK15HIP_vector_typeIfLj2EEPfi
		.amdhsa_group_segment_fixed_size 0
		.amdhsa_private_segment_fixed_size 0
		.amdhsa_kernarg_size 288
		.amdhsa_user_sgpr_count 2
		.amdhsa_user_sgpr_dispatch_ptr 0
		.amdhsa_user_sgpr_queue_ptr 0
		.amdhsa_user_sgpr_kernarg_segment_ptr 1
		.amdhsa_user_sgpr_dispatch_id 0
		.amdhsa_user_sgpr_private_segment_size 0
		.amdhsa_wavefront_size32 1
		.amdhsa_uses_dynamic_stack 0
		.amdhsa_enable_private_segment 0
		.amdhsa_system_sgpr_workgroup_id_x 1
		.amdhsa_system_sgpr_workgroup_id_y 1
		.amdhsa_system_sgpr_workgroup_id_z 1
		.amdhsa_system_sgpr_workgroup_info 0
		.amdhsa_system_vgpr_workitem_id 0
		.amdhsa_next_free_vgpr 57
		.amdhsa_next_free_sgpr 20
		.amdhsa_reserve_vcc 1
		.amdhsa_float_round_mode_32 0
		.amdhsa_float_round_mode_16_64 0
		.amdhsa_float_denorm_mode_32 3
		.amdhsa_float_denorm_mode_16_64 3
		.amdhsa_fp16_overflow 0
		.amdhsa_workgroup_processor_mode 1
		.amdhsa_memory_ordered 1
		.amdhsa_forward_progress 1
		.amdhsa_inst_pref_size 21
		.amdhsa_round_robin_scheduling 0
		.amdhsa_exception_fp_ieee_invalid_op 0
		.amdhsa_exception_fp_denorm_src 0
		.amdhsa_exception_fp_ieee_div_zero 0
		.amdhsa_exception_fp_ieee_overflow 0
		.amdhsa_exception_fp_ieee_underflow 0
		.amdhsa_exception_fp_ieee_inexact 0
		.amdhsa_exception_int_div_zero 0
	.end_amdhsa_kernel
	.section	.text._ZL26flash_attn_combine_resultsILi96EEvPKfPK15HIP_vector_typeIfLj2EEPfi,"axG",@progbits,_ZL26flash_attn_combine_resultsILi96EEvPKfPK15HIP_vector_typeIfLj2EEPfi,comdat
.Lfunc_end18:
	.size	_ZL26flash_attn_combine_resultsILi96EEvPKfPK15HIP_vector_typeIfLj2EEPfi, .Lfunc_end18-_ZL26flash_attn_combine_resultsILi96EEvPKfPK15HIP_vector_typeIfLj2EEPfi
                                        ; -- End function
	.set _ZL26flash_attn_combine_resultsILi96EEvPKfPK15HIP_vector_typeIfLj2EEPfi.num_vgpr, 57
	.set _ZL26flash_attn_combine_resultsILi96EEvPKfPK15HIP_vector_typeIfLj2EEPfi.num_agpr, 0
	.set _ZL26flash_attn_combine_resultsILi96EEvPKfPK15HIP_vector_typeIfLj2EEPfi.numbered_sgpr, 20
	.set _ZL26flash_attn_combine_resultsILi96EEvPKfPK15HIP_vector_typeIfLj2EEPfi.num_named_barrier, 0
	.set _ZL26flash_attn_combine_resultsILi96EEvPKfPK15HIP_vector_typeIfLj2EEPfi.private_seg_size, 0
	.set _ZL26flash_attn_combine_resultsILi96EEvPKfPK15HIP_vector_typeIfLj2EEPfi.uses_vcc, 1
	.set _ZL26flash_attn_combine_resultsILi96EEvPKfPK15HIP_vector_typeIfLj2EEPfi.uses_flat_scratch, 0
	.set _ZL26flash_attn_combine_resultsILi96EEvPKfPK15HIP_vector_typeIfLj2EEPfi.has_dyn_sized_stack, 0
	.set _ZL26flash_attn_combine_resultsILi96EEvPKfPK15HIP_vector_typeIfLj2EEPfi.has_recursion, 0
	.set _ZL26flash_attn_combine_resultsILi96EEvPKfPK15HIP_vector_typeIfLj2EEPfi.has_indirect_call, 0
	.section	.AMDGPU.csdata,"",@progbits
; Kernel info:
; codeLenInByte = 2660
; TotalNumSgprs: 22
; NumVgprs: 57
; ScratchSize: 0
; MemoryBound: 0
; FloatMode: 240
; IeeeMode: 1
; LDSByteSize: 0 bytes/workgroup (compile time only)
; SGPRBlocks: 0
; VGPRBlocks: 7
; NumSGPRsForWavesPerEU: 22
; NumVGPRsForWavesPerEU: 57
; Occupancy: 16
; WaveLimiterHint : 0
; COMPUTE_PGM_RSRC2:SCRATCH_EN: 0
; COMPUTE_PGM_RSRC2:USER_SGPR: 2
; COMPUTE_PGM_RSRC2:TRAP_HANDLER: 0
; COMPUTE_PGM_RSRC2:TGID_X_EN: 1
; COMPUTE_PGM_RSRC2:TGID_Y_EN: 1
; COMPUTE_PGM_RSRC2:TGID_Z_EN: 1
; COMPUTE_PGM_RSRC2:TIDIG_COMP_CNT: 0
	.section	.text._ZL18flash_attn_ext_f16ILi112ELi112ELi32ELi2ELb0ELb0EEvPKcS1_S1_S1_S1_PKiPfP15HIP_vector_typeIfLj2EEffffjfiS5_IjLj3EEiiiiiiiiiiiliiliiiiil,"axG",@progbits,_ZL18flash_attn_ext_f16ILi112ELi112ELi32ELi2ELb0ELb0EEvPKcS1_S1_S1_S1_PKiPfP15HIP_vector_typeIfLj2EEffffjfiS5_IjLj3EEiiiiiiiiiiiliiliiiiil,comdat
	.globl	_ZL18flash_attn_ext_f16ILi112ELi112ELi32ELi2ELb0ELb0EEvPKcS1_S1_S1_S1_PKiPfP15HIP_vector_typeIfLj2EEffffjfiS5_IjLj3EEiiiiiiiiiiiliiliiiiil ; -- Begin function _ZL18flash_attn_ext_f16ILi112ELi112ELi32ELi2ELb0ELb0EEvPKcS1_S1_S1_S1_PKiPfP15HIP_vector_typeIfLj2EEffffjfiS5_IjLj3EEiiiiiiiiiiiliiliiiiil
	.p2align	8
	.type	_ZL18flash_attn_ext_f16ILi112ELi112ELi32ELi2ELb0ELb0EEvPKcS1_S1_S1_S1_PKiPfP15HIP_vector_typeIfLj2EEffffjfiS5_IjLj3EEiiiiiiiiiiiliiliiiiil,@function
_ZL18flash_attn_ext_f16ILi112ELi112ELi32ELi2ELb0ELb0EEvPKcS1_S1_S1_S1_PKiPfP15HIP_vector_typeIfLj2EEffffjfiS5_IjLj3EEiiiiiiiiiiiliiliiiiil: ; @_ZL18flash_attn_ext_f16ILi112ELi112ELi32ELi2ELb0ELb0EEvPKcS1_S1_S1_S1_PKiPfP15HIP_vector_typeIfLj2EEffffjfiS5_IjLj3EEiiiiiiiiiiiliiliiiiil
; %bb.0:
	s_mov_b64 s[10:11], s[0:1]
	s_clause 0x1
	s_load_b64 s[0:1], s[0:1], 0x80
	s_load_b128 s[24:27], s[10:11], 0x64
                                        ; implicit-def: $vgpr255 : SGPR spill to VGPR lane
	s_mov_b32 s22, ttmp9
	s_mov_b32 s23, 0
	s_mov_b64 s[96:97], s[10:11]
	s_wait_kmcnt 0x0
	s_abs_i32 s2, s1
	s_abs_i32 s5, s25
	s_cvt_f32_u32 s3, s2
	s_sub_co_i32 s4, 0, s2
	s_delay_alu instid0(SALU_CYCLE_2) | instskip(NEXT) | instid1(TRANS32_DEP_1)
	v_rcp_iflag_f32_e32 v1, s3
	v_readfirstlane_b32 s3, v1
	s_mul_f32 s3, s3, 0x4f7ffffe
	s_wait_alu 0xfffe
	s_delay_alu instid0(SALU_CYCLE_2) | instskip(SKIP_1) | instid1(SALU_CYCLE_2)
	s_cvt_u32_f32 s3, s3
	s_wait_alu 0xfffe
	s_mul_i32 s4, s4, s3
	s_delay_alu instid0(SALU_CYCLE_1) | instskip(NEXT) | instid1(SALU_CYCLE_1)
	s_mul_hi_u32 s4, s3, s4
	s_add_co_i32 s3, s3, s4
	s_xor_b32 s4, s25, s1
	s_wait_alu 0xfffe
	s_mul_hi_u32 s3, s5, s3
	s_ashr_i32 s4, s4, 31
	s_wait_alu 0xfffe
	s_mul_i32 s6, s3, s2
	s_delay_alu instid0(SALU_CYCLE_1)
	s_sub_co_i32 s5, s5, s6
	s_add_co_i32 s6, s3, 1
	s_sub_co_i32 s7, s5, s2
	s_cmp_ge_u32 s5, s2
	s_cselect_b32 s3, s6, s3
	s_cselect_b32 s5, s7, s5
	s_wait_alu 0xfffe
	s_add_co_i32 s6, s3, 1
	s_cmp_ge_u32 s5, s2
	s_cselect_b32 s2, s6, s3
	s_add_co_i32 s0, s0, 63
	s_wait_alu 0xfffe
	s_xor_b32 s2, s2, s4
	s_ashr_i32 s5, s0, 31
	s_add_co_i32 s3, s24, 31
	s_wait_alu 0xfffe
	s_sub_co_i32 s33, s2, s4
	s_lshr_b32 s2, s5, 26
	s_lshr_b32 s6, s3, 5
	s_add_co_i32 s3, s33, 1
	s_wait_alu 0xfffe
	s_add_co_i32 s0, s0, s2
	v_writelane_b32 v255, s6, 0
	s_lshr_b32 s2, s3, 31
	s_ashr_i32 s98, s0, 6
	s_wait_alu 0xfffe
	s_add_co_i32 s3, s3, s2
	s_mul_i32 s2, s6, s98
	s_wait_alu 0xfffe
	s_ashr_i32 s0, s3, 1
	v_writelane_b32 v255, s2, 1
	s_mul_i32 s0, s2, s0
	s_delay_alu instid0(SALU_CYCLE_1)
	v_writelane_b32 v255, s0, 2
	s_mul_i32 s0, s0, s1
	s_wait_alu 0xfffe
	s_mul_i32 s2, s0, s26
	s_wait_alu 0xfffe
	s_ashr_i32 s3, s2, 31
	v_writelane_b32 v255, s0, 3
	s_wait_alu 0xfffe
	s_mul_u64 s[8:9], s[2:3], s[22:23]
	s_load_b32 s22, s[10:11], 0xd0
	s_mov_b32 s0, s23
	s_mov_b32 s1, s9
	s_wait_alu 0xfffe
	s_cmp_lg_u64 s[0:1], 0
	s_wait_kmcnt 0x0
	s_add_nc_u64 s[4:5], s[22:23], 0
	s_cbranch_scc0 .LBB19_648
; %bb.1:
	s_xor_b64 s[10:11], s[4:5], 0
	s_mov_b32 s13, s23
	s_cvt_f32_u32 s0, s10
	s_cvt_f32_u32 s1, s11
	s_sub_nc_u64 s[6:7], 0, s[10:11]
	s_mov_b32 s17, s23
	s_wait_alu 0xfffe
	s_fmamk_f32 s0, s1, 0x4f800000, s0
	s_wait_alu 0xfffe
	s_delay_alu instid0(SALU_CYCLE_2) | instskip(NEXT) | instid1(TRANS32_DEP_1)
	v_s_rcp_f32 s0, s0
	s_mul_f32 s0, s0, 0x5f7ffffc
	s_wait_alu 0xfffe
	s_delay_alu instid0(SALU_CYCLE_2) | instskip(SKIP_1) | instid1(SALU_CYCLE_2)
	s_mul_f32 s1, s0, 0x2f800000
	s_wait_alu 0xfffe
	s_trunc_f32 s1, s1
	s_wait_alu 0xfffe
	s_delay_alu instid0(SALU_CYCLE_2) | instskip(SKIP_2) | instid1(SALU_CYCLE_1)
	s_fmamk_f32 s0, s1, 0xcf800000, s0
	s_cvt_u32_f32 s1, s1
	s_wait_alu 0xfffe
	s_cvt_u32_f32 s0, s0
	s_wait_alu 0xfffe
	s_delay_alu instid0(SALU_CYCLE_2) | instskip(NEXT) | instid1(SALU_CYCLE_1)
	s_mul_u64 s[14:15], s[6:7], s[0:1]
	s_mul_hi_u32 s19, s0, s15
	s_mul_i32 s18, s0, s15
	s_mul_hi_u32 s12, s0, s14
	s_mul_i32 s20, s1, s14
	s_add_nc_u64 s[12:13], s[12:13], s[18:19]
	s_mul_hi_u32 s16, s1, s14
	s_mul_hi_u32 s21, s1, s15
	s_add_co_u32 s12, s12, s20
	s_add_co_ci_u32 s16, s13, s16
	s_mul_i32 s14, s1, s15
	s_add_co_ci_u32 s15, s21, 0
	s_delay_alu instid0(SALU_CYCLE_1) | instskip(SKIP_3) | instid1(SALU_CYCLE_1)
	s_add_nc_u64 s[12:13], s[16:17], s[14:15]
	s_mov_b32 s15, s23
	s_add_co_u32 s0, s0, s12
	s_cselect_b32 s12, -1, 0
	s_cmp_lg_u32 s12, 0
	s_add_co_ci_u32 s1, s1, s13
	s_mov_b32 s13, s23
	s_wait_alu 0xfffe
	s_mul_u64 s[6:7], s[6:7], s[0:1]
	s_wait_alu 0xfffe
	s_mul_hi_u32 s17, s0, s7
	s_mul_i32 s16, s0, s7
	s_mul_hi_u32 s12, s0, s6
	s_mul_i32 s18, s1, s6
	s_add_nc_u64 s[12:13], s[12:13], s[16:17]
	s_mul_hi_u32 s14, s1, s6
	s_mul_hi_u32 s19, s1, s7
	s_mul_i32 s6, s1, s7
	s_add_co_u32 s7, s12, s18
	s_add_co_ci_u32 s14, s13, s14
	s_add_co_ci_u32 s7, s19, 0
	s_mov_b32 s13, s23
	s_wait_alu 0xfffe
	s_add_nc_u64 s[6:7], s[14:15], s[6:7]
	s_wait_alu 0xfffe
	s_add_co_u32 s14, s0, s6
	s_cselect_b32 s0, -1, 0
	s_wait_alu 0xfffe
	s_cmp_lg_u32 s0, 0
	s_add_co_ci_u32 s18, s1, s7
	s_ashr_i32 s0, s9, 31
	s_wait_alu 0xfffe
	s_mov_b32 s1, s0
	s_wait_alu 0xfffe
	s_add_nc_u64 s[6:7], s[8:9], s[0:1]
	s_wait_alu 0xfffe
	s_xor_b64 s[6:7], s[6:7], s[0:1]
	s_wait_alu 0xfffe
	s_mul_hi_u32 s17, s6, s18
	s_mul_i32 s16, s6, s18
	s_mul_hi_u32 s12, s6, s14
	s_mul_hi_u32 s19, s7, s14
	s_mul_i32 s14, s7, s14
	s_add_nc_u64 s[12:13], s[12:13], s[16:17]
	s_mul_hi_u32 s9, s7, s18
	s_add_co_u32 s12, s12, s14
	s_add_co_ci_u32 s14, s13, s19
	s_mul_i32 s16, s7, s18
	s_add_co_ci_u32 s17, s9, 0
	s_delay_alu instid0(SALU_CYCLE_1) | instskip(NEXT) | instid1(SALU_CYCLE_1)
	s_add_nc_u64 s[12:13], s[14:15], s[16:17]
	s_mul_u64 s[14:15], s[10:11], s[12:13]
	s_delay_alu instid0(SALU_CYCLE_1)
	s_sub_co_u32 s6, s6, s14
	s_cselect_b32 s9, -1, 0
	s_sub_co_i32 s14, s7, s15
	s_cmp_lg_u32 s9, 0
	s_sub_co_ci_u32 s14, s14, s11
	s_wait_alu 0xfffe
	s_sub_co_u32 s16, s6, s10
	s_cselect_b32 s17, -1, 0
	s_delay_alu instid0(SALU_CYCLE_1) | instskip(SKIP_1) | instid1(SALU_CYCLE_1)
	s_cmp_lg_u32 s17, 0
	s_sub_co_ci_u32 s14, s14, 0
	s_cmp_ge_u32 s14, s11
	s_cselect_b32 s18, -1, 0
	s_cmp_ge_u32 s16, s10
	s_add_nc_u64 s[16:17], s[12:13], 1
	s_cselect_b32 s19, -1, 0
	s_cmp_eq_u32 s14, s11
	s_cselect_b32 s14, s19, s18
	s_add_nc_u64 s[18:19], s[12:13], 2
	s_cmp_lg_u32 s14, 0
	s_cselect_b32 s14, s18, s16
	s_cselect_b32 s16, s19, s17
	s_cmp_lg_u32 s9, 0
	s_sub_co_ci_u32 s7, s7, s15
	s_wait_alu 0xfffe
	s_cmp_ge_u32 s7, s11
	s_cselect_b32 s9, -1, 0
	s_cmp_ge_u32 s6, s10
	s_cselect_b32 s6, -1, 0
	s_cmp_eq_u32 s7, s11
	s_wait_alu 0xfffe
	s_cselect_b32 s6, s6, s9
	s_wait_alu 0xfffe
	s_cmp_lg_u32 s6, 0
	s_cselect_b32 s7, s16, s13
	s_cselect_b32 s6, s14, s12
	s_xor_b64 s[0:1], s[0:1], 0
	s_wait_alu 0xfffe
	s_xor_b64 s[6:7], s[6:7], s[0:1]
	s_wait_alu 0xfffe
	s_sub_nc_u64 s[48:49], s[6:7], s[0:1]
	s_load_b64 s[46:47], s[96:97], 0x74
	v_cvt_f32_u32_e32 v1, s22
	s_and_not1_b32 vcc_lo, exec_lo, s23
	s_cbranch_vccnz .LBB19_3
.LBB19_2:
	s_delay_alu instid0(VALU_DEP_1) | instskip(SKIP_1) | instid1(TRANS32_DEP_1)
	v_rcp_iflag_f32_e32 v2, v1
	s_sub_co_i32 s1, 0, s22
	v_mul_f32_e32 v2, 0x4f7ffffe, v2
	s_delay_alu instid0(VALU_DEP_1) | instskip(NEXT) | instid1(VALU_DEP_1)
	v_cvt_u32_f32_e32 v2, v2
	v_readfirstlane_b32 s0, v2
	s_wait_alu 0xfffe
	s_mul_i32 s1, s1, s0
	s_wait_alu 0xfffe
	s_mul_hi_u32 s1, s0, s1
	s_wait_alu 0xfffe
	s_add_co_i32 s0, s0, s1
	s_wait_alu 0xfffe
	s_mul_hi_u32 s0, s8, s0
	s_wait_alu 0xfffe
	s_mul_i32 s1, s0, s22
	s_add_co_i32 s6, s0, 1
	s_wait_alu 0xfffe
	s_sub_co_i32 s1, s8, s1
	s_wait_alu 0xfffe
	s_sub_co_i32 s7, s1, s22
	s_cmp_ge_u32 s1, s22
	s_cselect_b32 s0, s6, s0
	s_wait_alu 0xfffe
	s_cselect_b32 s1, s7, s1
	s_add_co_i32 s6, s0, 1
	s_wait_alu 0xfffe
	s_cmp_ge_u32 s1, s22
	s_cselect_b32 s48, s6, s0
.LBB19_3:
	s_add_co_i32 s8, ttmp9, 1
	s_mov_b32 s9, 0
	s_delay_alu instid0(SALU_CYCLE_1)
	s_mul_u64 s[2:3], s[2:3], s[8:9]
	s_mov_b32 s0, s9
	s_wait_alu 0xfffe
	s_mov_b32 s1, s3
	s_wait_alu 0xfffe
	s_cmp_lg_u64 s[0:1], 0
	s_cbranch_scc0 .LBB19_649
; %bb.4:
	s_xor_b64 s[4:5], s[4:5], 0
	s_delay_alu instid0(SALU_CYCLE_1) | instskip(SKIP_3) | instid1(SALU_CYCLE_1)
	s_cvt_f32_u32 s0, s4
	s_cvt_f32_u32 s1, s5
	s_sub_nc_u64 s[6:7], 0, s[4:5]
	s_wait_alu 0xfffe
	s_fmamk_f32 s0, s1, 0x4f800000, s0
	s_wait_alu 0xfffe
	s_delay_alu instid0(SALU_CYCLE_2) | instskip(NEXT) | instid1(TRANS32_DEP_1)
	v_s_rcp_f32 s0, s0
	s_mul_f32 s0, s0, 0x5f7ffffc
	s_wait_alu 0xfffe
	s_delay_alu instid0(SALU_CYCLE_2) | instskip(SKIP_1) | instid1(SALU_CYCLE_2)
	s_mul_f32 s1, s0, 0x2f800000
	s_wait_alu 0xfffe
	s_trunc_f32 s1, s1
	s_wait_alu 0xfffe
	s_delay_alu instid0(SALU_CYCLE_2) | instskip(SKIP_2) | instid1(SALU_CYCLE_1)
	s_fmamk_f32 s0, s1, 0xcf800000, s0
	s_cvt_u32_f32 s1, s1
	s_wait_alu 0xfffe
	s_cvt_u32_f32 s0, s0
	s_wait_alu 0xfffe
	s_delay_alu instid0(SALU_CYCLE_2) | instskip(NEXT) | instid1(SALU_CYCLE_1)
	s_mul_u64 s[10:11], s[6:7], s[0:1]
	s_mul_hi_u32 s13, s0, s11
	s_mul_i32 s12, s0, s11
	s_mul_hi_u32 s8, s0, s10
	s_mul_i32 s15, s1, s10
	s_add_nc_u64 s[12:13], s[8:9], s[12:13]
	s_mul_hi_u32 s14, s1, s10
	s_mul_hi_u32 s16, s1, s11
	s_add_co_u32 s8, s12, s15
	s_add_co_ci_u32 s8, s13, s14
	s_mul_i32 s10, s1, s11
	s_add_co_ci_u32 s11, s16, 0
	s_delay_alu instid0(SALU_CYCLE_1) | instskip(NEXT) | instid1(SALU_CYCLE_1)
	s_add_nc_u64 s[10:11], s[8:9], s[10:11]
	s_add_co_u32 s0, s0, s10
	s_cselect_b32 s8, -1, 0
	s_delay_alu instid0(SALU_CYCLE_1)
	s_cmp_lg_u32 s8, 0
	s_add_co_ci_u32 s1, s1, s11
	s_wait_alu 0xfffe
	s_mul_u64 s[6:7], s[6:7], s[0:1]
	s_wait_alu 0xfffe
	s_mul_hi_u32 s11, s0, s7
	s_mul_i32 s10, s0, s7
	s_mul_hi_u32 s8, s0, s6
	s_mul_i32 s13, s1, s6
	s_add_nc_u64 s[10:11], s[8:9], s[10:11]
	s_mul_hi_u32 s12, s1, s6
	s_mul_hi_u32 s14, s1, s7
	s_mul_i32 s6, s1, s7
	s_add_co_u32 s7, s10, s13
	s_add_co_ci_u32 s8, s11, s12
	s_add_co_ci_u32 s7, s14, 0
	s_wait_alu 0xfffe
	s_add_nc_u64 s[6:7], s[8:9], s[6:7]
	s_wait_alu 0xfffe
	s_add_co_u32 s12, s0, s6
	s_cselect_b32 s0, -1, 0
	s_wait_alu 0xfffe
	s_cmp_lg_u32 s0, 0
	s_add_co_ci_u32 s13, s1, s7
	s_ashr_i32 s0, s3, 31
	s_wait_alu 0xfffe
	s_mov_b32 s1, s0
	s_wait_alu 0xfffe
	s_add_nc_u64 s[6:7], s[2:3], s[0:1]
	s_wait_alu 0xfffe
	s_xor_b64 s[6:7], s[6:7], s[0:1]
	s_wait_alu 0xfffe
	s_mul_hi_u32 s11, s6, s13
	s_mul_i32 s10, s6, s13
	s_mul_hi_u32 s8, s6, s12
	s_mul_i32 s15, s7, s12
	s_add_nc_u64 s[10:11], s[8:9], s[10:11]
	s_mul_hi_u32 s14, s7, s12
	s_mul_hi_u32 s3, s7, s13
	s_add_co_u32 s8, s10, s15
	s_add_co_ci_u32 s8, s11, s14
	s_mul_i32 s12, s7, s13
	s_wait_alu 0xfffe
	s_add_co_ci_u32 s13, s3, 0
	s_delay_alu instid0(SALU_CYCLE_1) | instskip(NEXT) | instid1(SALU_CYCLE_1)
	s_add_nc_u64 s[10:11], s[8:9], s[12:13]
	s_mul_u64 s[12:13], s[4:5], s[10:11]
	s_delay_alu instid0(SALU_CYCLE_1)
	s_sub_co_u32 s3, s6, s12
	s_cselect_b32 s6, -1, 0
	s_sub_co_i32 s8, s7, s13
	s_wait_alu 0xfffe
	s_cmp_lg_u32 s6, 0
	s_sub_co_ci_u32 s8, s8, s5
	s_sub_co_u32 s12, s3, s4
	s_cselect_b32 s14, -1, 0
	s_delay_alu instid0(SALU_CYCLE_1) | instskip(SKIP_2) | instid1(SALU_CYCLE_1)
	s_cmp_lg_u32 s14, 0
	s_add_nc_u64 s[14:15], s[10:11], 1
	s_sub_co_ci_u32 s8, s8, 0
	s_cmp_ge_u32 s8, s5
	s_cselect_b32 s16, -1, 0
	s_cmp_ge_u32 s12, s4
	s_cselect_b32 s12, -1, 0
	s_cmp_eq_u32 s8, s5
	s_cselect_b32 s8, s12, s16
	s_add_nc_u64 s[16:17], s[10:11], 2
	s_cmp_lg_u32 s8, 0
	s_cselect_b32 s8, s16, s14
	s_cselect_b32 s12, s17, s15
	s_cmp_lg_u32 s6, 0
	s_sub_co_ci_u32 s6, s7, s13
	s_wait_alu 0xfffe
	s_cmp_ge_u32 s6, s5
	s_cselect_b32 s7, -1, 0
	s_cmp_ge_u32 s3, s4
	s_cselect_b32 s3, -1, 0
	s_cmp_eq_u32 s6, s5
	s_wait_alu 0xfffe
	s_cselect_b32 s3, s3, s7
	s_wait_alu 0xfffe
	s_cmp_lg_u32 s3, 0
	s_cselect_b32 s5, s12, s11
	s_cselect_b32 s4, s8, s10
	s_xor_b64 s[0:1], s[0:1], 0
	s_wait_alu 0xfffe
	s_xor_b64 s[4:5], s[4:5], s[0:1]
	s_delay_alu instid0(SALU_CYCLE_1)
	s_sub_nc_u64 s[54:55], s[4:5], s[0:1]
	s_load_b64 s[36:37], s[96:97], 0x5c
	s_and_not1_b32 vcc_lo, exec_lo, s9
	s_cbranch_vccnz .LBB19_6
.LBB19_5:
	v_rcp_iflag_f32_e32 v1, v1
	s_sub_co_i32 s1, 0, s22
	s_delay_alu instid0(TRANS32_DEP_1) | instskip(NEXT) | instid1(VALU_DEP_1)
	v_mul_f32_e32 v1, 0x4f7ffffe, v1
	v_cvt_u32_f32_e32 v1, v1
	s_delay_alu instid0(VALU_DEP_1)
	v_readfirstlane_b32 s0, v1
	s_wait_alu 0xfffe
	s_mul_i32 s1, s1, s0
	s_wait_alu 0xfffe
	s_mul_hi_u32 s1, s0, s1
	s_wait_alu 0xfffe
	s_add_co_i32 s0, s0, s1
	s_wait_alu 0xfffe
	s_mul_hi_u32 s0, s2, s0
	s_wait_alu 0xfffe
	s_mul_i32 s1, s0, s22
	s_wait_alu 0xfffe
	s_sub_co_i32 s1, s2, s1
	s_add_co_i32 s2, s0, 1
	s_wait_alu 0xfffe
	s_sub_co_i32 s3, s1, s22
	s_cmp_ge_u32 s1, s22
	s_cselect_b32 s0, s2, s0
	s_wait_alu 0xfffe
	s_cselect_b32 s1, s3, s1
	s_add_co_i32 s2, s0, 1
	s_wait_alu 0xfffe
	s_cmp_ge_u32 s1, s22
	s_cselect_b32 s54, s2, s0
.LBB19_6:
	s_clause 0x3
	s_load_b32 s1, s[96:97], 0x40
	s_load_b64 s[34:35], s[96:97], 0x8c
	s_load_b128 s[28:31], s[96:97], 0x98
	s_load_b64 s[2:3], s[96:97], 0xa8
	v_writelane_b32 v255, s22, 4
	s_abs_i32 s55, s98
	s_ashr_i32 s7, s27, 3
	s_cvt_f32_u32 s0, s55
	s_sub_co_i32 s4, 0, s55
	v_writelane_b32 v255, s23, 5
	s_wait_kmcnt 0x0
	s_ashr_i32 s44, s46, 3
	s_wait_alu 0xfffe
	v_rcp_iflag_f32_e32 v1, s0
	s_ashr_i32 s0, s48, 31
	s_load_b512 s[8:23], s[96:97], 0x0
	v_bfe_u32 v140, v0, 10, 10
	v_and_b32_e32 v141, 0x3ff, v0
	v_bfe_u32 v132, v0, 10, 1
	v_lshrrev_b32_e32 v143, 10, v0
	s_mov_b32 s57, 0
	v_mad_u32_u24 v131, 0xf00, v140, 0
	s_cvt_f16_f32 s1, s1
	s_mov_b32 s5, s35
	s_ashr_i32 s26, s34, 2
	v_writelane_b32 v255, s2, 6
	s_ashr_i32 s34, s30, 2
	v_add_nc_u32_e32 v197, 4, v140
	v_add_nc_u32_e32 v182, 8, v140
	;; [unrolled: 1-line block ×3, first 2 shown]
	v_writelane_b32 v255, s3, 7
	s_clause 0x1
	s_load_b64 s[42:43], s[96:97], 0xb8
	s_load_b64 s[2:3], s[96:97], 0xc8
	v_add_nc_u32_e32 v181, 16, v140
	v_add_nc_u32_e32 v191, 20, v140
	;; [unrolled: 1-line block ×12, first 2 shown]
	s_mov_b32 s53, s57
	scratch_store_b32 off, v140, off offset:264 ; 4-byte Folded Spill
	s_wait_kmcnt 0x0
	s_ashr_i32 s38, s43, 1
	v_writelane_b32 v255, s2, 8
	v_writelane_b32 v255, s3, 9
	v_readfirstlane_b32 s2, v1
	s_ashr_i32 s3, s98, 31
	v_mov_b32_e32 v1, v141
	s_clause 0x1
	scratch_store_b64 off, v[1:2], off offset:268
	scratch_store_b32 off, v181, off offset:276
	s_mul_f32 s2, s2, 0x4f7ffffe
	s_wait_alu 0xfffe
	v_writelane_b32 v255, s3, 10
	s_abs_i32 s3, s48
	s_cvt_u32_f32 s2, s2
	s_wait_alu 0xfffe
	s_delay_alu instid0(SALU_CYCLE_2) | instskip(NEXT) | instid1(SALU_CYCLE_1)
	s_mul_i32 s4, s4, s2
	s_mul_hi_u32 s4, s2, s4
	s_delay_alu instid0(SALU_CYCLE_1)
	s_add_co_i32 s52, s2, s4
	v_writelane_b32 v255, s4, 11
	s_mul_hi_u32 s2, s3, s52
	s_wait_alu 0xfffe
	s_mul_i32 s2, s2, s55
	s_wait_alu 0xfffe
	s_sub_co_i32 s2, s3, s2
	v_writelane_b32 v255, s5, 12
	s_wait_alu 0xfffe
	s_sub_co_i32 s3, s2, s55
	s_cmp_ge_u32 s2, s55
	s_wait_alu 0xfffe
	s_cselect_b32 s2, s3, s2
	v_writelane_b32 v255, s44, 13
	s_wait_alu 0xfffe
	s_sub_co_i32 s3, s2, s55
	s_cmp_ge_u32 s2, s55
	s_wait_alu 0xfffe
	s_cselect_b32 s2, s3, s2
	s_sub_co_i32 s3, s54, s48
	s_wait_alu 0xfffe
	s_xor_b32 s2, s2, s0
	v_writelane_b32 v255, s42, 14
	s_wait_alu 0xfffe
	s_sub_co_i32 s94, s2, s0
	s_delay_alu instid0(SALU_CYCLE_1)
	s_add_co_i32 s3, s3, s94
	s_wait_alu 0xfffe
	s_min_i32 s49, s98, s3
	s_cmp_gt_i32 s54, s48
	v_writelane_b32 v255, s43, 15
	s_cselect_b32 s0, -1, 0
	s_cmp_le_i32 s54, s48
	s_cselect_b32 s2, -1, 0
	s_cmp_gt_i32 s98, s3
	v_writelane_b32 v255, s1, 16
	s_cselect_b32 s3, -1, 0
	s_wait_alu 0xfffe
	s_or_b32 s2, s3, s2
	s_wait_alu 0xfffe
	s_and_b32 vcc_lo, exec_lo, s2
	s_cbranch_vccnz .LBB19_531
; %bb.7:
	v_bfe_u32 v16, v0, 2, 8
	v_lshlrev_b32_e32 v33, 2, v140
	v_bfe_u32 v35, v0, 3, 7
	v_lshlrev_b32_e32 v34, 4, v140
	v_bfe_u32 v1, v0, 1, 9
	v_lshl_add_u32 v14, v140, 3, v16
	s_cmp_eq_u64 s[16:17], 0
	v_add_nc_u32_e32 v38, v33, v35
	s_cselect_b32 s0, -1, 0
	s_cmp_lg_u64 s[18:19], 0
	v_mul_lo_u32 v26, s34, v14
	s_wait_alu 0xfffe
	v_writelane_b32 v255, s0, 17
	s_cselect_b32 s0, -1, 0
	s_and_b32 s100, 0xffff, s1
	s_lshl_b32 s1, s26, 4
	v_mul_lo_u32 v15, s34, v38
	v_dual_mov_b32 v179, 0 :: v_dual_lshlrev_b32 v198, 2, v141
	v_lshl_add_u32 v30, s34, 5, v26
	s_wait_alu 0xfffe
	v_writelane_b32 v255, s0, 18
	v_mul_u32_u24_e32 v41, 0xf0, v14
	v_and_b32_e32 v24, 12, v198
	v_and_b32_e32 v23, 4, v198
	v_ashrrev_i32_e32 v31, 31, v30
	v_lshlrev_b32_e32 v32, 1, v140
	v_bfe_u32 v36, v0, 4, 6
	v_lshlrev_b32_e32 v47, 2, v24
	v_and_b32_e32 v25, 28, v198
	v_lshlrev_b64_e32 v[229:230], 2, v[30:31]
	v_bfe_u32 v30, v141, 4, 1
	v_add_nc_u32_e32 v37, v1, v34
	v_mul_lo_u32 v1, s26, v38
	v_and_or_b32 v18, v0, 14, v34
	v_lshlrev_b32_e32 v48, 2, v23
	v_mad_u32_u24 v49, 0xf0, v38, 0
	v_mul_lo_u32 v9, s26, v37
	v_mul_lo_u32 v28, s34, v37
	v_mad_u32_u24 v37, 0xf0, v37, 0
	v_add3_u32 v41, 0, v41, v47
	v_add_nc_u32_e32 v5, s1, v1
	v_add_nc_u32_e32 v40, v32, v36
	v_lshrrev_b32_e32 v42, 1, v18
	v_or_b32_e32 v43, 12, v141
	v_add3_u32 v204, v37, v48, 0xc0
	v_add_nc_u32_e32 v7, s1, v5
	v_lshlrev_b32_e32 v37, 2, v25
	v_add_nc_u32_e32 v47, 0xf00, v49
	v_add_nc_u32_e32 v205, 0x80, v41
	;; [unrolled: 1-line block ×4, first 2 shown]
	s_lshl_b32 s1, s34, 4
	v_add_nc_u32_e32 v206, 0x1e80, v41
	s_wait_alu 0xfffe
	v_add_nc_u32_e32 v17, s1, v15
	v_add_nc_u32_e32 v41, 0x2d00, v49
	v_add_nc_u16 v32, v32, v36
	v_add_nc_u32_e32 v36, 8, v40
	v_add_nc_u32_e32 v207, v49, v37
	;; [unrolled: 1-line block ×5, first 2 shown]
	v_mad_u32_u24 v42, 0x90, v42, 0
	v_and_b32_e32 v43, 0x7c, v43
	v_add_nc_u32_e32 v21, s1, v19
	v_cmp_gt_u32_e64 s1, 16, v141
	v_add_nc_u32_e32 v211, v41, v37
	v_add_nc_u16 v33, v33, v35
	v_bfe_u32 v31, v141, 3, 1
	v_and_b32_e32 v39, 0x70, v0
	s_wait_alu 0xf1ff
	v_writelane_b32 v255, s1, 19
	v_lshrrev_b32_e32 v156, 1, v36
	s_abs_i32 s104, s42
	v_and_b32_e32 v144, 15, v0
	v_add_nc_u32_e32 v213, v42, v39
	v_readlane_b32 s50, v255, 2
	v_readlane_b32 s51, v255, 3
	;; [unrolled: 1-line block ×3, first 2 shown]
	v_add_nc_u32_e32 v214, v42, v43
	v_lshrrev_b16 v32, 1, v32
	s_abs_i32 s102, s50
	s_abs_i32 s101, s51
	s_cvt_f32_u32 s41, s102
	s_cvt_f32_u32 s40, s101
	s_abs_i32 s103, s45
	v_lshrrev_b16 v33, 1, v33
	v_rcp_iflag_f32_e32 v37, s41
	v_rcp_iflag_f32_e32 v36, s40
	s_cvt_f32_u32 s40, s103
	v_and_b32_e32 v210, 7, v0
	s_cvt_f32_u32 s41, s104
	v_mul_u32_u24_e32 v2, 0xf0, v144
	s_wait_alu 0xfffe
	v_rcp_iflag_f32_e32 v42, s40
	v_lshlrev_b32_e32 v44, 1, v16
	v_and_b32_e32 v150, 0xffff, v32
	v_add_nc_u32_e32 v32, 16, v40
	v_rcp_iflag_f32_e32 v35, s41
	v_readfirstlane_b32 s41, v37
	v_and_b32_e32 v37, 15, v40
	v_and_b32_e32 v220, 0xffff, v33
	v_lshlrev_b32_e32 v33, 2, v210
	v_add3_u32 v145, v131, v2, v39
	v_and_b32_e32 v45, 56, v44
	v_or_b32_e32 v46, 6, v44
	v_lshl_add_u32 v148, v144, 1, 0
	v_add_nc_u32_e32 v149, 0, v39
	v_add_nc_u32_e32 v39, 24, v40
	v_lshrrev_b32_e32 v158, 1, v32
	v_readfirstlane_b32 s42, v42
	v_and_or_b32 v32, 0x3f0, v32, v37
	v_add_nc_u32_e32 v42, v47, v33
	v_mul_u32_u24_e32 v146, 0xf0, v46
	v_mad_u32_u24 v215, 0xf0, v45, v148
	v_mad_u32_u24 v216, 0xf0, v46, v148
	;; [unrolled: 1-line block ×3, first 2 shown]
	v_readfirstlane_b32 s40, v36
	v_lshrrev_b32_e32 v183, 1, v39
	v_add_nc_u32_e32 v36, 32, v40
	v_readfirstlane_b32 s43, v35
	v_add_nc_u32_e32 v35, 48, v40
	v_add_nc_u32_e32 v39, 56, v40
	v_mad_u32_u24 v46, 0xf0, v32, 0
	scratch_store_b32 off, v42, off offset:420 ; 4-byte Folded Spill
	v_add_nc_u32_e32 v42, v48, v33
	v_mul_u32_u24_e32 v155, 0xf0, v40
	v_add_nc_u32_e32 v43, 40, v40
	v_lshrrev_b32_e32 v186, 1, v36
	v_and_or_b32 v36, 0x3f0, v36, v37
	v_and_or_b32 v37, 0x3f0, v35, v37
	v_lshrrev_b32_e32 v212, 1, v35
	v_lshrrev_b32_e32 v218, 1, v39
	v_mul_u32_u24_e32 v222, 0xf0, v38
	v_add_nc_u32_e32 v35, 16, v38
	v_add_nc_u32_e32 v39, 32, v38
	v_and_b32_e32 v40, 15, v38
	v_add_nc_u32_e32 v38, 48, v38
	v_add_nc_u32_e32 v48, 0x780, v45
	scratch_store_b32 off, v42, off offset:424 ; 4-byte Folded Spill
	v_or_b32_e32 v42, v34, v141
	s_lshl_b32 s56, ttmp9, 6
	v_lshrrev_b32_e32 v223, 1, v35
	v_and_or_b32 v35, 0x7f0, v35, v40
	v_lshrrev_b32_e32 v224, 1, v39
	v_and_or_b32 v39, 0x7f0, v39, v40
	v_and_or_b32 v40, 0x7f0, v38, v40
	v_lshrrev_b32_e32 v225, 1, v38
	v_lshlrev_b32_e32 v38, 3, v42
	s_lshl_b64 s[2:3], s[56:57], 3
	v_or_b32_e32 v44, 7, v44
	s_wait_alu 0xfffe
	s_add_nc_u64 s[4:5], s[22:23], s[2:3]
	v_lshrrev_b32_e32 v185, 1, v43
	s_wait_alu 0xfffe
	v_add_co_u32 v43, s4, s4, v38
	v_mul_u32_u24_e32 v147, 0xf0, v44
	v_mad_u32_u24 v217, 0xf0, v44, v148
	s_wait_alu 0xf1ff
	v_add_co_ci_u32_e64 v44, null, s5, 0, s4
	v_add_nc_u32_e32 v41, v41, v33
	v_or_b32_e32 v34, v34, v144
	s_clause 0x1
	scratch_store_b32 off, v46, off offset:768
	scratch_store_b64 off, v[43:44], off offset:524
	v_lshlrev_b32_e32 v44, 2, v144
	v_mad_u32_u24 v47, 0xf0, v36, 0
	v_mul_u32_u24_e32 v226, 0xf0, v34
	scratch_store_b32 off, v48, off offset:744 ; 4-byte Folded Spill
	v_add_nc_u32_e32 v51, 0x2580, v45
	v_add_nc_u32_e32 v50, v45, v44
	scratch_store_b32 off, v41, off offset:440 ; 4-byte Folded Spill
	v_bfe_u32 v41, v0, 10, 4
	v_add_nc_u32_e32 v46, v46, v44
	v_add_nc_u32_e32 v227, 0, v44
	scratch_store_b32 off, v50, off offset:248 ; 4-byte Folded Spill
	v_add_nc_u32_e32 v50, 0x1680, v45
	v_and_or_b32 v38, 0xf0, v181, v41
	v_and_or_b32 v34, 0xf0, v139, v41
	;; [unrolled: 1-line block ×3, first 2 shown]
	v_add_nc_u32_e32 v48, v48, v44
	v_add_nc_u32_e32 v228, 0, v33
	v_mul_u32_u24_e32 v43, 0xf0, v38
	v_mad_u32_u24 v38, 0xf0, v38, 0
	v_ashrrev_i32_e32 v29, 31, v28
	v_ashrrev_i32_e32 v27, 31, v26
	;; [unrolled: 1-line block ×3, first 2 shown]
	v_mul_lo_u32 v3, s26, v14
	scratch_store_b32 off, v38, off offset:820 ; 4-byte Folded Spill
	v_mul_u32_u24_e32 v38, 0xf0, v34
	v_mad_u32_u24 v34, 0xf0, v34, 0
	v_lshlrev_b64_e32 v[242:243], 2, v[28:29]
	v_lshlrev_b64_e32 v[244:245], 2, v[26:27]
	;; [unrolled: 1-line block ×3, first 2 shown]
	v_add_nc_u32_e32 v219, 0, v198
	scratch_store_b32 off, v34, off offset:876 ; 4-byte Folded Spill
	v_mul_u32_u24_e32 v34, 0xf0, v41
	v_mad_u32_u24 v41, 0xf0, v41, 0
	v_lshl_add_u32 v11, s26, 5, v3
	v_ashrrev_i32_e32 v4, 31, v3
	v_mul_u32_u24_e32 v42, 0xf0, v42
	v_ashrrev_i32_e32 v2, 31, v1
	s_clause 0x2
	scratch_store_b32 off, v41, off offset:896
	scratch_store_b32 off, v46, off offset:772
	;; [unrolled: 1-line block ×3, first 2 shown]
	v_add_nc_u32_e32 v46, v50, v44
	s_clause 0x2
	scratch_store_b32 off, v50, off offset:792
	scratch_store_b32 off, v46, off offset:796
	;; [unrolled: 1-line block ×3, first 2 shown]
	v_add_nc_u32_e32 v46, v47, v44
	v_mul_u32_u24_e32 v41, 0xf0, v32
	v_mul_u32_u24_e32 v32, 0xf0, v36
	;; [unrolled: 1-line block ×3, first 2 shown]
	v_mad_u32_u24 v37, 0xf0, v37, 0
	s_clause 0x1
	scratch_store_b32 off, v46, off offset:828
	scratch_store_b32 off, v51, off offset:832
	v_add_nc_u32_e32 v46, v51, v44
	v_add_nc_u32_e32 v45, 0x3480, v45
	s_clause 0x1
	scratch_store_b32 off, v46, off offset:836
	scratch_store_b32 off, v37, off offset:848
	v_add_nc_u32_e32 v37, v37, v44
	s_clause 0x1
	scratch_store_b32 off, v37, off offset:852
	scratch_store_b32 off, v45, off offset:860
	v_add_nc_u32_e32 v37, v45, v44
	v_mad_u32_u24 v44, 0xf0, v35, 0
	v_add_nc_u32_e32 v46, v49, v33
	v_mad_u32_u24 v45, 0xf0, v39, 0
	s_clause 0x1
	scratch_store_b32 off, v49, off offset:532
	scratch_store_b32 off, v37, off offset:864
	v_mul_u32_u24_e32 v37, 0xf0, v35
	v_mul_u32_u24_e32 v35, 0xf0, v39
	;; [unrolled: 1-line block ×3, first 2 shown]
	v_mad_u32_u24 v40, 0xf0, v40, 0
	s_clause 0x1
	scratch_store_b32 off, v46, off offset:252
	scratch_store_b32 off, v44, off offset:748
	v_add_nc_u32_e32 v44, v44, v33
	s_clause 0x1
	scratch_store_b32 off, v44, off offset:752
	scratch_store_b32 off, v45, off offset:776
	v_add_nc_u32_e32 v44, v45, v33
	v_add_nc_u32_e32 v33, v40, v33
	s_clause 0x2
	scratch_store_b32 off, v44, off offset:780
	scratch_store_b32 off, v40, off offset:800
	;; [unrolled: 1-line block ×3, first 2 shown]
	v_and_b32_e32 v33, 1, v0
	v_and_b32_e32 v0, 3, v0
	v_ashrrev_i32_e32 v12, 31, v11
	v_lshlrev_b64_e32 v[200:201], 2, v[3:4]
	v_lshlrev_b64_e32 v[238:239], 2, v[1:2]
	v_lshlrev_b32_e32 v28, 4, v33
	scratch_store_b32 off, v33, off offset:256 ; 4-byte Folded Spill
	v_lshlrev_b32_e32 v250, 4, v0
	v_lshlrev_b64_e32 v[189:190], 2, v[11:12]
	v_add_nc_u32_e32 v2, 0x1680, v48
	v_add_co_u32 v29, vcc_lo, v28, v242
	s_delay_alu instid0(VALU_DEP_1) | instskip(SKIP_1) | instid1(VALU_DEP_3)
	v_add_co_ci_u32_e64 v33, null, 0, v243, vcc_lo
	v_lshrrev_b32_e32 v1, 1, v142
	v_add_co_u32 v29, vcc_lo, s12, v29
	s_wait_alu 0xfffd
	s_delay_alu instid0(VALU_DEP_3)
	v_add_co_ci_u32_e64 v33, null, s13, v33, vcc_lo
	s_movk_i32 s6, 0xb40
	v_add_co_u32 v26, vcc_lo, 0xc0, v29
	s_movk_i32 s0, 0xf0
	s_movk_i32 s2, 0x12c0
	v_ashrrev_i32_e32 v16, 31, v15
	scratch_store_b32 off, v26, off offset:540 ; 4-byte Folded Spill
	s_wait_alu 0xfffd
	v_add_co_ci_u32_e64 v26, null, 0, v33, vcc_lo
	v_add_co_u32 v0, vcc_lo, s12, v244
	v_lshlrev_b64_e32 v[151:152], 2, v[15:16]
	scratch_store_b32 off, v26, off offset:544 ; 4-byte Folded Spill
	s_wait_alu 0xfffd
	v_add_co_ci_u32_e64 v26, null, s13, v245, vcc_lo
	v_add_co_u32 v0, vcc_lo, 0x80, v0
	v_ashrrev_i32_e32 v18, 31, v17
	v_ashrrev_i32_e32 v20, 31, v19
	;; [unrolled: 1-line block ×3, first 2 shown]
	scratch_store_b32 off, v0, off offset:556 ; 4-byte Folded Spill
	s_wait_alu 0xfffd
	v_add_co_ci_u32_e64 v0, null, 0, v26, vcc_lo
	v_lshlrev_b64_e32 v[177:178], 2, v[17:18]
	v_lshlrev_b64_e32 v[246:247], 2, v[19:20]
	;; [unrolled: 1-line block ×3, first 2 shown]
	scratch_store_b32 off, v0, off offset:560 ; 4-byte Folded Spill
	v_add_co_u32 v0, vcc_lo, s12, v229
	s_wait_alu 0xfffd
	v_add_co_ci_u32_e64 v26, null, s13, v230, vcc_lo
	v_ashrrev_i32_e32 v6, 31, v5
	s_delay_alu instid0(VALU_DEP_3)
	v_add_co_u32 v0, vcc_lo, 0x80, v0
	s_mul_f32 s4, s40, 0x4f7ffffe
	v_ashrrev_i32_e32 v8, 31, v7
	v_lshlrev_b64_e32 v[248:249], 2, v[5:6]
	scratch_store_b32 off, v0, off offset:572 ; 4-byte Folded Spill
	s_wait_alu 0xfffd
	v_add_co_ci_u32_e64 v0, null, 0, v26, vcc_lo
	s_wait_alu 0xfffe
	s_cvt_u32_f32 s4, s4
	s_sub_co_i32 s5, 0, s101
	v_lshlrev_b64_e32 v[193:194], 2, v[7:8]
	scratch_store_b32 off, v0, off offset:576 ; 4-byte Folded Spill
	v_add_co_u32 v0, vcc_lo, v28, v231
	s_wait_alu 0xfffd
	v_add_co_ci_u32_e64 v9, null, 0, v232, vcc_lo
	s_mul_f32 s40, s41, 0x4f7ffffe
	v_add_co_u32 v0, vcc_lo, s10, v0
	s_wait_alu 0xfffd
	v_add_co_ci_u32_e64 v9, null, s11, v9, vcc_lo
	s_ashr_i32 s41, s51, 31
	v_add_co_u32 v0, vcc_lo, 0xc0, v0
	s_wait_alu 0xfffe
	s_mul_i32 s5, s5, s4
	v_writelane_b32 v255, s41, 20
	s_wait_alu 0xfffe
	s_mul_hi_u32 s5, s4, s5
	scratch_store_b32 off, v0, off offset:620 ; 4-byte Folded Spill
	s_wait_alu 0xfffd
	v_add_co_ci_u32_e64 v0, null, 0, v9, vcc_lo
	v_ashrrev_i32_e32 v14, 31, v13
	s_wait_alu 0xfffe
	s_add_co_i32 s58, s4, s5
	s_mov_b32 s59, s57
	scratch_store_b32 off, v0, off offset:624 ; 4-byte Folded Spill
	v_add_co_u32 v0, vcc_lo, s10, v200
	s_wait_alu 0xfffd
	v_add_co_ci_u32_e64 v3, null, s11, v201, vcc_lo
	v_add_co_u32 v4, vcc_lo, s10, v189
	s_wait_alu 0xfffd
	v_add_co_ci_u32_e64 v9, null, s11, v190, vcc_lo
	v_add_co_u32 v0, vcc_lo, 0x80, v0
	scratch_store_b32 off, v2, off offset:488 ; 4-byte Folded Spill
	v_add_nc_u32_e32 v2, 0x1e00, v48
	v_writelane_b32 v255, s58, 21
	scratch_store_b32 off, v0, off offset:636 ; 4-byte Folded Spill
	s_wait_alu 0xfffd
	v_add_co_ci_u32_e64 v0, null, 0, v3, vcc_lo
	scratch_store_b32 off, v1, off offset:180 ; 4-byte Folded Spill
	v_lshrrev_b32_e32 v1, 1, v137
	v_lshlrev_b64_e32 v[153:154], 2, v[13:14]
	scratch_store_b32 off, v0, off offset:640 ; 4-byte Folded Spill
	v_add_co_u32 v0, vcc_lo, 0x80, v4
	scratch_store_b32 off, v2, off offset:492 ; 4-byte Folded Spill
	v_add_nc_u32_e32 v2, 0x2580, v48
	s_cvt_u32_f32 s40, s40
	scratch_store_b32 off, v0, off offset:644 ; 4-byte Folded Spill
	s_wait_alu 0xfffd
	v_add_co_ci_u32_e64 v0, null, 0, v9, vcc_lo
	scratch_store_b32 off, v1, off offset:184 ; 4-byte Folded Spill
	v_lshrrev_b32_e32 v1, 1, v136
	v_writelane_b32 v255, s59, 22
	scratch_store_b32 off, v0, off offset:648 ; 4-byte Folded Spill
	v_add_nc_u32_e32 v0, v219, v43
	s_sub_co_i32 s4, 0, s102
	scratch_store_b32 off, v1, off offset:188 ; 4-byte Folded Spill
	v_lshrrev_b32_e32 v1, 1, v138
	s_ashr_i32 s5, s50, 31
	scratch_store_b32 off, v0, off offset:812 ; 4-byte Folded Spill
	v_add_nc_u32_e32 v0, v219, v38
	s_wait_alu 0xfffe
	s_mul_i32 s4, s4, s40
	scratch_store_b32 off, v1, off offset:192 ; 4-byte Folded Spill
	v_lshrrev_b32_e32 v1, 1, v135
	v_writelane_b32 v255, s5, 23
	scratch_store_b32 off, v0, off offset:872 ; 4-byte Folded Spill
	v_add_nc_u32_e32 v0, v219, v34
	s_wait_alu 0xfffe
	s_mul_hi_u32 s4, s40, s4
	scratch_store_b32 off, v1, off offset:196 ; 4-byte Folded Spill
	v_lshrrev_b32_e32 v1, 1, v134
	s_wait_alu 0xfffe
	s_add_co_i32 s40, s40, s4
	scratch_store_b32 off, v0, off offset:892 ; 4-byte Folded Spill
	v_add_nc_u32_e32 v0, v227, v41
	s_mov_b32 s41, s57
	scratch_store_b32 off, v1, off offset:200 ; 4-byte Folded Spill
	v_lshrrev_b32_e32 v1, 1, v133
	s_wait_alu 0xfffe
	v_writelane_b32 v255, s40, 24
	scratch_store_b32 off, v0, off offset:760 ; 4-byte Folded Spill
	v_add_nc_u32_e32 v0, v227, v32
	s_mul_f32 s5, s42, 0x4f7ffffe
	s_mul_f32 s4, s43, 0x4f7ffffe
	v_writelane_b32 v255, s41, 25
	s_ashr_i32 s40, s45, 31
	scratch_store_b32 off, v0, off offset:816 ; 4-byte Folded Spill
	v_add_nc_u32_e32 v0, v227, v36
	s_wait_alu 0xfffe
	s_cvt_u32_f32 s5, s5
	v_writelane_b32 v255, s40, 26
	s_sub_co_i32 s40, 0, s103
	s_movk_i32 s30, 0x3c0
	scratch_store_b32 off, v0, off offset:844 ; 4-byte Folded Spill
	v_add_nc_u32_e32 v0, v228, v37
	s_movk_i32 s3, 0x780
	s_cvt_u32_f32 s4, s4
	s_wait_alu 0xfffe
	s_mul_i32 s40, s40, s5
	s_sub_co_i32 s41, 0, s104
	scratch_store_b32 off, v0, off offset:740 ; 4-byte Folded Spill
	v_add_nc_u32_e32 v0, v228, v35
	v_bfe_u32 v184, v143, 1, 9
	v_mul_u32_u24_e32 v203, 0xf0, v140
	v_lshrrev_b32_e32 v221, 1, v197
	v_mad_u32_u24 v240, 0xf0, v140, s30
	scratch_store_b32 off, v0, off offset:764 ; 4-byte Folded Spill
	v_add_nc_u32_e32 v0, v228, v39
	v_lshrrev_b32_e32 v241, 1, v182
	v_mad_u32_u24 v254, 0xf0, v140, s3
	s_wait_alu 0xfffe
	s_mul_hi_u32 s40, s5, s40
	s_mul_i32 s41, s41, s4
	scratch_store_b32 off, v0, off offset:788 ; 4-byte Folded Spill
	v_add_nc_u32_e32 v0, 0, v42
	s_wait_alu 0xfffe
	s_add_co_i32 s40, s5, s40
	s_mul_hi_u32 s5, s4, s41
	s_mov_b32 s41, s57
	s_wait_alu 0xfffe
	v_writelane_b32 v255, s40, 27
	scratch_store_b32 off, v0, off offset:668 ; 4-byte Folded Spill
	v_lshlrev_b32_e32 v0, 1, v141
	v_mad_co_u64_u32 v[35:36], null, v132, s44, v[141:142]
	v_writelane_b32 v255, s41, 28
	s_add_co_i32 s4, s4, s5
	scratch_store_b32 off, v0, off offset:28 ; 4-byte Folded Spill
	v_mul_u32_u24_e32 v0, 0x90, v140
	s_mov_b32 s5, s57
	s_wait_alu 0xfffe
	v_writelane_b32 v255, s4, 29
	s_movk_i32 s1, 0x1680
	v_lshlrev_b32_e32 v195, 2, v24
	scratch_store_b32 off, v0, off offset:24 ; 4-byte Folded Spill
	v_lshrrev_b32_e32 v0, 1, v192
	v_writelane_b32 v255, s5, 30
	v_lshlrev_b32_e32 v196, 2, v25
	v_mad_u32_u24 v252, 0xf0, v144, v149
	v_add_nc_u32_e32 v251, 0x60, v213
	scratch_store_b32 off, v0, off offset:140 ; 4-byte Folded Spill
	v_mad_u32_u24 v0, 0xf0, v140, s6
	v_add_nc_u32_e32 v253, 0x68, v213
	s_wait_alu 0xfffe
	v_mad_u32_u24 v157, 0xf0, v140, s1
	v_lshlrev_b32_e32 v202, 4, v210
	s_ashr_i32 s39, s38, 31
	scratch_store_b32 off, v0, off offset:136 ; 4-byte Folded Spill
	v_lshrrev_b32_e32 v0, 1, v181
	s_ashr_i32 s27, s26, 31
	s_ashr_i32 s35, s34, 31
	s_mul_i32 s100, s100, 0x10001
	s_lshl_b64 s[66:67], s[38:39], 1
	scratch_store_b32 off, v0, off offset:144 ; 4-byte Folded Spill
	v_mad_u32_u24 v0, v140, s0, 0xf00
	s_wait_alu 0xfffe
	s_lshl_b64 s[68:69], s[34:35], 8
	s_lshl_b64 s[70:71], s[26:27], 8
	scratch_store_b32 off, v0, off offset:148 ; 4-byte Folded Spill
	v_lshrrev_b32_e32 v0, 1, v191
	scratch_store_b32 off, v0, off offset:152 ; 4-byte Folded Spill
	v_mad_u32_u24 v0, 0xf0, v140, s2
	scratch_store_b32 off, v0, off offset:156 ; 4-byte Folded Spill
	v_lshrrev_b32_e32 v0, 1, v188
	scratch_store_b32 off, v0, off offset:168 ; 4-byte Folded Spill
	v_lshrrev_b32_e32 v0, 1, v187
	;; [unrolled: 2-line block ×3, first 2 shown]
	scratch_store_b32 off, v0, off offset:176 ; 4-byte Folded Spill
	v_mul_lo_u32 v0, v30, s44
	s_delay_alu instid0(VALU_DEP_1)
	v_add3_u32 v32, v0, v144, 32
	v_add_nc_u32_e32 v0, 0x780, v48
	scratch_store_b32 off, v1, off offset:212 ; 4-byte Folded Spill
	v_mad_u32_u24 v1, 0xf0, v140, 0
	scratch_store_b32 off, v0, off offset:480 ; 4-byte Folded Spill
	v_add_nc_u32_e32 v0, 0xf00, v48
	scratch_store_b32 off, v0, off offset:484 ; 4-byte Folded Spill
	v_mul_lo_u32 v0, v31, s44
	s_clause 0x1
	scratch_store_b32 off, v2, off offset:496
	scratch_store_b32 off, v48, off offset:260
	v_add_nc_u32_e32 v2, 0x2d00, v48
	v_add3_u32 v33, v0, v210, 48
	v_add_nc_u32_e32 v0, 0xb40, v1
	scratch_store_b32 off, v2, off offset:500 ; 4-byte Folded Spill
	v_add_nc_u32_e32 v2, 0x3c0, v1
	scratch_store_b32 off, v0, off offset:808 ; 4-byte Folded Spill
	;; [unrolled: 2-line block ×4, first 2 shown]
	v_add_nc_u32_e32 v0, 0x1680, v1
	s_clause 0x1
	scratch_store_b32 off, v2, off offset:784
	scratch_store_b32 off, v0, off offset:856
	v_add_nc_u32_e32 v0, 0x1a40, v1
	scratch_store_b32 off, v0, off offset:868 ; 4-byte Folded Spill
	v_add_nc_u32_e32 v0, 0x21c0, v1
	scratch_store_b32 off, v0, off offset:880 ; 4-byte Folded Spill
	;; [unrolled: 2-line block ×5, first 2 shown]
	v_add_nc_u32_e32 v0, 0x3480, v1
	s_clause 0x1
	scratch_store_b32 off, v0, off offset:904
	scratch_store_b32 off, v1, off offset:672
	v_add_nc_u32_e32 v0, 0x3840, v1
	scratch_store_b32 off, v0, off offset:908 ; 4-byte Folded Spill
	v_add_co_u32 v0, vcc_lo, s12, v151
	scratch_store_b32 off, v0, off offset:676 ; 4-byte Folded Spill
	s_wait_alu 0xfffd
	v_add_co_ci_u32_e64 v0, null, s13, v152, vcc_lo
	scratch_store_b32 off, v0, off offset:680 ; 4-byte Folded Spill
	v_add_co_u32 v0, vcc_lo, s12, v177
	scratch_store_b32 off, v0, off offset:684 ; 4-byte Folded Spill
	s_wait_alu 0xfffd
	v_add_co_ci_u32_e64 v0, null, s13, v178, vcc_lo
	;; [unrolled: 5-line block ×8, first 2 shown]
	scratch_store_b32 off, v0, off offset:736 ; 4-byte Folded Spill
	v_mbcnt_lo_u32_b32 v0, -1, 0
	scratch_store_b32 off, v0, off offset:16 ; 4-byte Folded Spill
	v_mov_b32_e32 v0, v132
	s_clause 0x1f
	scratch_store_b32 off, v187, off offset:284
	scratch_store_b32 off, v188, off offset:288
	;; [unrolled: 1-line block ×7, first 2 shown]
	scratch_store_b64 off, v[0:1], off offset:312
	scratch_store_b32 off, v133, off offset:320
	scratch_store_b32 off, v134, off offset:324
	;; [unrolled: 1-line block ×24, first 2 shown]
	s_clause 0xe
	scratch_store_b32 off, v222, off offset:416
	scratch_store_b32 off, v223, off offset:428
	;; [unrolled: 1-line block ×7, first 2 shown]
	scratch_store_b64 off, v[242:243], off
	scratch_store_b64 off, v[244:245], off offset:8
	scratch_store_b32 off, v184, off offset:456
	scratch_store_b32 off, v203, off offset:460
	;; [unrolled: 1-line block ×6, first 2 shown]
	v_mov_b32_e32 v0, v30
	scratch_store_b64 off, v[0:1], off offset:160 ; 8-byte Folded Spill
	v_mov_b32_e32 v0, v31
	scratch_store_b64 off, v[0:1], off offset:204 ; 8-byte Folded Spill
	v_dual_mov_b32 v0, v32 :: v_dual_lshlrev_b32 v159, 2, v23
	scratch_store_b64 off, v[0:1], off offset:216 ; 8-byte Folded Spill
	v_mov_b32_e32 v0, v33
	scratch_store_b64 off, v[0:1], off offset:224 ; 8-byte Folded Spill
	v_mov_b32_e32 v0, v35
	s_clause 0xa
	scratch_store_b64 off, v[0:1], off offset:232
	scratch_store_b64 off, v[229:230], off offset:548
	;; [unrolled: 1-line block ×11, first 2 shown]
	s_branch .LBB19_9
.LBB19_8:                               ;   in Loop: Header=BB19_9 Depth=1
	s_wait_alu 0xfffe
	s_or_b32 exec_lo, exec_lo, s0
	s_add_co_i32 s2, s48, s98
	s_mov_b32 s94, 0
	s_wait_alu 0xfffe
	s_abs_i32 s56, s2
	s_delay_alu instid0(SALU_CYCLE_1)
	s_mul_u64 s[0:1], s[56:57], s[52:53]
	s_wait_alu 0xfffe
	s_mul_i32 s0, s1, s55
	s_ashr_i32 s1, s2, 31
	s_wait_alu 0xfffe
	s_sub_co_i32 s0, s56, s0
	s_wait_alu 0xfffe
	s_sub_co_i32 s3, s0, s55
	s_cmp_ge_u32 s0, s55
	s_wait_alu 0xfffe
	s_cselect_b32 s0, s3, s0
	s_wait_alu 0xfffe
	s_sub_co_i32 s3, s0, s55
	s_cmp_ge_u32 s0, s55
	s_wait_alu 0xfffe
	s_cselect_b32 s0, s3, s0
	s_wait_alu 0xfffe
	s_xor_b32 s0, s0, s1
	s_wait_alu 0xfffe
	s_sub_co_i32 s0, s1, s0
	s_wait_alu 0xfffe
	s_add_co_i32 s48, s2, s0
	s_delay_alu instid0(SALU_CYCLE_1)
	s_sub_co_i32 s1, s54, s48
	s_wait_alu 0xfffe
	s_min_i32 s49, s98, s1
	s_cmp_gt_i32 s54, s48
	s_cselect_b32 s0, -1, 0
	s_cmp_le_i32 s98, s1
	s_cselect_b32 s1, -1, 0
	s_wait_alu 0xfffe
	s_and_b32 s1, s1, s0
	s_wait_alu 0xfffe
	s_and_b32 vcc_lo, exec_lo, s1
	s_wait_alu 0xfffe
	s_cbranch_vccz .LBB19_531
.LBB19_9:                               ; =>This Loop Header: Depth=1
                                        ;     Child Loop BB19_128 Depth 2
                                        ;     Child Loop BB19_387 Depth 2
	v_readlane_b32 s0, v255, 21
	v_readlane_b32 s1, v255, 22
	s_abs_i32 s56, s48
	v_readlane_b32 s3, v255, 20
	v_readlane_b32 s5, v255, 23
	s_mul_u64 s[0:1], s[56:57], s[0:1]
	s_ashr_i32 s0, s48, 31
	s_wait_alu 0xfffe
	s_mul_i32 s2, s1, s101
	s_xor_b32 s0, s0, s3
	s_wait_alu 0xfffe
	s_sub_co_i32 s2, s56, s2
	s_add_co_i32 s3, s1, 1
	s_wait_alu 0xfffe
	s_sub_co_i32 s4, s2, s101
	s_cmp_ge_u32 s2, s101
	s_cselect_b32 s1, s3, s1
	s_wait_alu 0xfffe
	s_cselect_b32 s2, s4, s2
	s_add_co_i32 s3, s1, 1
	s_wait_alu 0xfffe
	s_cmp_ge_u32 s2, s101
	s_cselect_b32 s1, s3, s1
	s_wait_alu 0xfffe
	s_xor_b32 s1, s1, s0
	s_wait_alu 0xfffe
	s_sub_co_i32 s4, s1, s0
	v_readlane_b32 s0, v255, 3
	s_wait_alu 0xfffe
	s_mul_i32 s0, s4, s0
	s_wait_alu 0xfffe
	s_sub_co_i32 s2, s48, s0
	v_readlane_b32 s0, v255, 24
	v_readlane_b32 s1, v255, 25
	s_wait_alu 0xfffe
	s_abs_i32 s56, s2
	s_delay_alu instid0(SALU_CYCLE_1)
	s_mul_u64 s[0:1], s[56:57], s[0:1]
	s_ashr_i32 s0, s2, 31
	s_wait_alu 0xfffe
	s_mul_i32 s3, s1, s102
	s_xor_b32 s0, s0, s5
	s_wait_alu 0xfffe
	s_sub_co_i32 s3, s56, s3
	s_add_co_i32 s5, s1, 1
	s_wait_alu 0xfffe
	s_sub_co_i32 s6, s3, s102
	s_cmp_ge_u32 s3, s102
	s_cselect_b32 s1, s5, s1
	s_wait_alu 0xfffe
	s_cselect_b32 s3, s6, s3
	s_add_co_i32 s5, s1, 1
	s_wait_alu 0xfffe
	s_cmp_ge_u32 s3, s102
	v_readlane_b32 s6, v255, 26
	s_cselect_b32 s1, s5, s1
	s_wait_alu 0xfffe
	s_xor_b32 s1, s1, s0
	s_wait_alu 0xfffe
	s_sub_co_i32 s0, s1, s0
	v_readlane_b32 s1, v255, 2
	s_wait_alu 0xfffe
	s_mul_i32 s1, s0, s1
	s_wait_alu 0xfffe
	s_sub_co_i32 s1, s2, s1
	v_readlane_b32 s2, v255, 27
	v_readlane_b32 s3, v255, 28
	s_wait_alu 0xfffe
	s_abs_i32 s56, s1
	s_delay_alu instid0(SALU_CYCLE_1)
	s_mul_u64 s[2:3], s[56:57], s[2:3]
	s_ashr_i32 s2, s1, 31
	s_wait_alu 0xfffe
	s_mul_i32 s5, s3, s103
	s_xor_b32 s2, s2, s6
	s_wait_alu 0xfffe
	s_sub_co_i32 s5, s56, s5
	s_add_co_i32 s6, s3, 1
	s_wait_alu 0xfffe
	s_sub_co_i32 s30, s5, s103
	s_cmp_ge_u32 s5, s103
	s_cselect_b32 s3, s6, s3
	s_wait_alu 0xfffe
	s_cselect_b32 s5, s30, s5
	s_add_co_i32 s6, s3, 1
	s_wait_alu 0xfffe
	s_cmp_ge_u32 s5, s103
	v_readlane_b32 s5, v255, 10
	s_cselect_b32 s3, s6, s3
	s_wait_alu 0xfffe
	s_xor_b32 s3, s3, s2
	s_wait_alu 0xfffe
	s_sub_co_i32 s2, s3, s2
	v_readlane_b32 s3, v255, 1
	s_wait_alu 0xfffe
	s_mul_i32 s3, s2, s3
	s_wait_alu 0xfffe
	s_sub_co_i32 s1, s1, s3
	s_wait_alu 0xfffe
	s_abs_i32 s56, s1
	s_ashr_i32 s1, s1, 31
	s_mul_u64 s[40:41], s[56:57], s[52:53]
	s_wait_alu 0xfffe
	s_xor_b32 s1, s1, s5
	s_mul_i32 s3, s41, s55
	s_add_co_i32 s5, s41, 1
	s_wait_alu 0xfffe
	s_sub_co_i32 s3, s56, s3
	s_wait_alu 0xfffe
	s_sub_co_i32 s6, s3, s55
	s_cmp_ge_u32 s3, s55
	s_cselect_b32 s5, s5, s41
	s_wait_alu 0xfffe
	s_cselect_b32 s3, s6, s3
	s_add_co_i32 s6, s5, 1
	s_wait_alu 0xfffe
	s_cmp_ge_u32 s3, s55
	s_cselect_b32 s3, s6, s5
	v_readlane_b32 s5, v255, 18
	s_wait_alu 0xfffe
	s_xor_b32 s3, s3, s1
	s_wait_alu 0xfffe
	s_sub_co_i32 s1, s3, s1
	s_and_not1_b32 vcc_lo, exec_lo, s5
	s_wait_alu 0xfffe
	s_cbranch_vccnz .LBB19_11
; %bb.10:                               ;   in Loop: Header=BB19_9 Depth=1
	v_readlane_b32 s3, v255, 0
	s_mul_i32 s3, s4, s3
	s_wait_alu 0xfffe
	s_add_co_i32 s40, s1, s3
	s_wait_alu 0xfffe
	s_ashr_i32 s41, s40, 31
	s_wait_alu 0xfffe
	s_lshl_b64 s[40:41], s[40:41], 2
	s_wait_alu 0xfffe
	s_add_nc_u64 s[40:41], s[18:19], s[40:41]
	global_load_b32 v0, v179, s[40:41]
	s_wait_loadcnt 0x0
	v_readfirstlane_b32 s3, v0
	s_ashr_i32 s5, s3, 31
	s_wait_alu 0xfffe
	s_lshr_b32 s5, s5, 26
	s_wait_alu 0xfffe
	s_add_co_i32 s3, s3, s5
	s_wait_alu 0xfffe
	s_ashr_i32 s3, s3, 6
	s_wait_alu 0xfffe
	s_min_i32 s49, s49, s3
.LBB19_11:                              ;   in Loop: Header=BB19_9 Depth=1
	v_readlane_b32 s42, v255, 29
	v_readlane_b32 s43, v255, 30
	s_abs_i32 s56, s4
	s_mul_i32 s3, s0, s33
	s_lshl_b32 s67, s2, 1
	s_mul_i32 s40, s4, s47
	s_mul_u64 s[42:43], s[56:57], s[42:43]
	s_wait_alu 0xfffe
	s_add_co_i32 s2, s67, s3
	s_mul_i32 s3, s43, s104
	s_load_b64 s[42:43], s[96:97], 0x8c
	s_mul_i32 s44, s2, s46
	s_sub_co_i32 s3, s56, s3
	s_ashr_i32 s41, s40, 31
	s_wait_alu 0xfffe
	s_ashr_i32 s45, s44, 31
	s_ashr_i32 s5, s4, 31
	s_sub_co_i32 s6, s3, s104
	s_add_nc_u64 s[40:41], s[8:9], s[40:41]
	s_wait_alu 0xfffe
	s_mul_u64 s[84:85], s[28:29], s[4:5]
	s_add_nc_u64 s[90:91], s[40:41], s[44:45]
	s_add_nc_u64 s[40:41], s[10:11], s[84:85]
	s_mul_i32 s88, s0, s31
	v_or_b32_e32 v176, s67, v132
	s_wait_kmcnt 0x0
	s_mul_i32 s82, s0, s43
	s_load_b64 s[42:43], s[96:97], 0xc8
	s_ashr_i32 s83, s82, 31
	s_cmp_ge_u32 s3, s104
	s_wait_alu 0xfffe
	s_add_nc_u64 s[78:79], s[40:41], s[82:83]
	s_cselect_b32 s3, s6, s3
	v_readlane_b32 s0, v255, 17
	s_wait_alu 0xfffe
	s_sub_co_i32 s6, s3, s104
	s_cmp_ge_u32 s3, s104
	s_wait_alu 0xfffe
	s_cselect_b32 s3, s6, s3
	s_mul_i32 s6, s24, s25
	s_wait_alu 0xfffe
	s_xor_b32 s3, s3, s5
	s_mul_i32 s6, s6, s4
	s_wait_alu 0xfffe
	s_sub_co_i32 s40, s3, s5
	s_add_co_i32 s3, s2, s6
	s_wait_alu 0xfffe
	s_ashr_i32 s41, s40, 31
	s_mul_i32 s56, s3, 56
	s_ashr_i32 s3, s2, 31
	s_ashr_i32 s89, s88, 31
	s_wait_alu 0xfffe
	s_lshl_b64 s[2:3], s[2:3], 2
	s_wait_kmcnt 0x0
	s_mul_u64 s[40:41], s[42:43], s[40:41]
	s_load_b64 s[42:43], s[96:97], 0xa8
	s_add_nc_u64 s[80:81], s[14:15], s[40:41]
	s_lshl_b64 s[40:41], s[56:57], 3
	s_add_nc_u64 s[2:3], s[16:17], s[2:3]
	s_and_b32 s0, s0, exec_lo
	s_wait_alu 0xfffe
	s_add_nc_u64 s[72:73], s[20:21], s[40:41]
	s_cselect_b32 s75, 0, s3
	s_cselect_b32 s74, 0, s2
	s_cmp_lg_u32 s94, 0
	s_wait_kmcnt 0x0
	s_mul_u64 s[86:87], s[42:43], s[4:5]
	s_delay_alu instid0(SALU_CYCLE_1)
	s_add_nc_u64 s[4:5], s[12:13], s[86:87]
	s_wait_alu 0xfffe
	s_add_nc_u64 s[76:77], s[4:5], s[88:89]
	s_cbranch_scc0 .LBB19_130
; %bb.12:                               ;   in Loop: Header=BB19_9 Depth=1
	s_lshl_b32 s0, s1, 5
	v_cmp_le_i32_e64 s4, s33, v176
	s_wait_alu 0xfffe
	v_add_nc_u32_e32 v2, s0, v184
	v_cmp_gt_i32_e32 vcc_lo, s33, v176
	s_delay_alu instid0(VALU_DEP_2)
	v_cmp_le_i32_e64 s3, s24, v2
	s_or_b32 s2, s3, s4
	s_wait_alu 0xfffe
	s_and_saveexec_b32 s3, s2
	s_wait_alu 0xfffe
	s_xor_b32 s2, exec_lo, s3
; %bb.13:                               ;   in Loop: Header=BB19_9 Depth=1
	v_add_nc_u32_e32 v0, v219, v203
	ds_store_b32 v0, v179
; %bb.14:                               ;   in Loop: Header=BB19_9 Depth=1
	s_wait_alu 0xfffe
	s_and_not1_saveexec_b32 s2, s2
	s_cbranch_execz .LBB19_16
; %bb.15:                               ;   in Loop: Header=BB19_9 Depth=1
	v_mad_co_u64_u32 v[0:1], null, v2, s7, v[35:36]
	s_delay_alu instid0(VALU_DEP_1) | instskip(NEXT) | instid1(VALU_DEP_1)
	v_ashrrev_i32_e32 v1, 31, v0
	v_lshlrev_b64_e32 v[0:1], 3, v[0:1]
	s_delay_alu instid0(VALU_DEP_1) | instskip(SKIP_1) | instid1(VALU_DEP_2)
	v_add_co_u32 v0, s3, s90, v0
	s_wait_alu 0xf1ff
	v_add_co_ci_u32_e64 v1, null, s91, v1, s3
	global_load_b64 v[0:1], v[0:1], off
	s_wait_loadcnt 0x0
	v_cvt_f16_f32_e32 v0, v0
	v_cvt_f16_f32_e32 v1, v1
	s_delay_alu instid0(VALU_DEP_1) | instskip(SKIP_1) | instid1(VALU_DEP_2)
	v_pack_b32_f16 v0, v0, v1
	v_add_nc_u32_e32 v1, v219, v203
	v_pk_mul_f16 v0, v0, s100
	ds_store_b32 v1, v0
.LBB19_16:                              ;   in Loop: Header=BB19_9 Depth=1
	s_wait_alu 0xfffe
	s_or_b32 exec_lo, exec_lo, s2
	v_add_nc_u32_e32 v75, s0, v221
	s_xor_b32 s2, vcc_lo, -1
	s_delay_alu instid0(VALU_DEP_1)
	v_cmp_le_i32_e64 s3, s24, v75
	s_wait_alu 0xfffe
	s_or_b32 s3, s3, s2
	s_wait_alu 0xfffe
	s_and_saveexec_b32 s4, s3
	s_wait_alu 0xfffe
	s_xor_b32 s3, exec_lo, s4
; %bb.17:                               ;   in Loop: Header=BB19_9 Depth=1
	v_add_nc_u32_e32 v0, v219, v240
	ds_store_b32 v0, v179
; %bb.18:                               ;   in Loop: Header=BB19_9 Depth=1
	s_wait_alu 0xfffe
	s_and_not1_saveexec_b32 s3, s3
	s_cbranch_execz .LBB19_20
; %bb.19:                               ;   in Loop: Header=BB19_9 Depth=1
	v_mad_co_u64_u32 v[0:1], null, v75, s7, v[35:36]
	s_delay_alu instid0(VALU_DEP_1) | instskip(NEXT) | instid1(VALU_DEP_1)
	v_ashrrev_i32_e32 v1, 31, v0
	v_lshlrev_b64_e32 v[0:1], 3, v[0:1]
	s_delay_alu instid0(VALU_DEP_1) | instskip(SKIP_1) | instid1(VALU_DEP_2)
	v_add_co_u32 v0, vcc_lo, s90, v0
	s_wait_alu 0xfffd
	v_add_co_ci_u32_e64 v1, null, s91, v1, vcc_lo
	global_load_b64 v[0:1], v[0:1], off
	s_wait_loadcnt 0x0
	v_cvt_f16_f32_e32 v0, v0
	v_cvt_f16_f32_e32 v1, v1
	s_delay_alu instid0(VALU_DEP_1) | instskip(SKIP_1) | instid1(VALU_DEP_2)
	v_pack_b32_f16 v0, v0, v1
	v_add_nc_u32_e32 v1, v219, v240
	v_pk_mul_f16 v0, v0, s100
	ds_store_b32 v1, v0
.LBB19_20:                              ;   in Loop: Header=BB19_9 Depth=1
	s_wait_alu 0xfffe
	s_or_b32 exec_lo, exec_lo, s3
	v_add_nc_u32_e32 v74, s0, v241
	s_delay_alu instid0(VALU_DEP_1)
	v_cmp_le_i32_e32 vcc_lo, s24, v74
	s_or_b32 s3, vcc_lo, s2
	s_wait_alu 0xfffe
	s_and_saveexec_b32 s4, s3
	s_wait_alu 0xfffe
	s_xor_b32 s3, exec_lo, s4
; %bb.21:                               ;   in Loop: Header=BB19_9 Depth=1
	v_add_nc_u32_e32 v0, v219, v254
	ds_store_b32 v0, v179
; %bb.22:                               ;   in Loop: Header=BB19_9 Depth=1
	s_wait_alu 0xfffe
	s_and_not1_saveexec_b32 s3, s3
	s_cbranch_execz .LBB19_24
; %bb.23:                               ;   in Loop: Header=BB19_9 Depth=1
	v_mad_co_u64_u32 v[0:1], null, v74, s7, v[35:36]
	s_delay_alu instid0(VALU_DEP_1) | instskip(NEXT) | instid1(VALU_DEP_1)
	v_ashrrev_i32_e32 v1, 31, v0
	v_lshlrev_b64_e32 v[0:1], 3, v[0:1]
	s_delay_alu instid0(VALU_DEP_1) | instskip(SKIP_1) | instid1(VALU_DEP_2)
	v_add_co_u32 v0, vcc_lo, s90, v0
	s_wait_alu 0xfffd
	v_add_co_ci_u32_e64 v1, null, s91, v1, vcc_lo
	global_load_b64 v[0:1], v[0:1], off
	s_wait_loadcnt 0x0
	v_cvt_f16_f32_e32 v0, v0
	v_cvt_f16_f32_e32 v1, v1
	s_delay_alu instid0(VALU_DEP_1) | instskip(SKIP_1) | instid1(VALU_DEP_2)
	v_pack_b32_f16 v0, v0, v1
	v_add_nc_u32_e32 v1, v219, v254
	v_pk_mul_f16 v0, v0, s100
	ds_store_b32 v1, v0
.LBB19_24:                              ;   in Loop: Header=BB19_9 Depth=1
	s_wait_alu 0xfffe
	s_or_b32 exec_lo, exec_lo, s3
	scratch_load_b32 v0, off, off offset:140 ; 4-byte Folded Reload
	s_wait_loadcnt 0x0
	v_add_nc_u32_e32 v73, s0, v0
	s_delay_alu instid0(VALU_DEP_1)
	v_cmp_le_i32_e32 vcc_lo, s24, v73
	s_or_b32 s3, vcc_lo, s2
	s_wait_alu 0xfffe
	s_and_saveexec_b32 s4, s3
	s_wait_alu 0xfffe
	s_xor_b32 s3, exec_lo, s4
	s_cbranch_execz .LBB19_26
; %bb.25:                               ;   in Loop: Header=BB19_9 Depth=1
	scratch_load_b32 v0, off, off offset:136 ; 4-byte Folded Reload
	s_wait_loadcnt 0x0
	v_add_nc_u32_e32 v0, v219, v0
	ds_store_b32 v0, v179
.LBB19_26:                              ;   in Loop: Header=BB19_9 Depth=1
	s_wait_alu 0xfffe
	s_and_not1_saveexec_b32 s3, s3
	s_cbranch_execz .LBB19_28
; %bb.27:                               ;   in Loop: Header=BB19_9 Depth=1
	v_mad_co_u64_u32 v[0:1], null, v73, s7, v[35:36]
	s_delay_alu instid0(VALU_DEP_1) | instskip(NEXT) | instid1(VALU_DEP_1)
	v_ashrrev_i32_e32 v1, 31, v0
	v_lshlrev_b64_e32 v[0:1], 3, v[0:1]
	s_delay_alu instid0(VALU_DEP_1) | instskip(SKIP_1) | instid1(VALU_DEP_2)
	v_add_co_u32 v0, vcc_lo, s90, v0
	s_wait_alu 0xfffd
	v_add_co_ci_u32_e64 v1, null, s91, v1, vcc_lo
	global_load_b64 v[0:1], v[0:1], off
	s_wait_loadcnt 0x0
	v_cvt_f16_f32_e32 v0, v0
	v_cvt_f16_f32_e32 v1, v1
	s_delay_alu instid0(VALU_DEP_1)
	v_pack_b32_f16 v0, v0, v1
	scratch_load_b32 v1, off, off offset:136 ; 4-byte Folded Reload
	v_pk_mul_f16 v0, v0, s100
	s_wait_loadcnt 0x0
	v_add_nc_u32_e32 v1, v219, v1
	ds_store_b32 v1, v0
.LBB19_28:                              ;   in Loop: Header=BB19_9 Depth=1
	s_wait_alu 0xfffe
	s_or_b32 exec_lo, exec_lo, s3
	scratch_load_b32 v0, off, off offset:144 ; 4-byte Folded Reload
	s_wait_loadcnt 0x0
	v_add_nc_u32_e32 v72, s0, v0
	s_delay_alu instid0(VALU_DEP_1)
	v_cmp_le_i32_e32 vcc_lo, s24, v72
	s_or_b32 s3, vcc_lo, s2
	s_wait_alu 0xfffe
	s_and_saveexec_b32 s4, s3
	s_wait_alu 0xfffe
	s_xor_b32 s3, exec_lo, s4
	s_cbranch_execz .LBB19_30
; %bb.29:                               ;   in Loop: Header=BB19_9 Depth=1
	scratch_load_b32 v0, off, off offset:148 ; 4-byte Folded Reload
	s_wait_loadcnt 0x0
	v_add_nc_u32_e32 v0, v219, v0
	ds_store_b32 v0, v179
.LBB19_30:                              ;   in Loop: Header=BB19_9 Depth=1
	s_wait_alu 0xfffe
	s_and_not1_saveexec_b32 s3, s3
	s_cbranch_execz .LBB19_32
; %bb.31:                               ;   in Loop: Header=BB19_9 Depth=1
	v_mad_co_u64_u32 v[0:1], null, v72, s7, v[35:36]
	s_delay_alu instid0(VALU_DEP_1) | instskip(NEXT) | instid1(VALU_DEP_1)
	v_ashrrev_i32_e32 v1, 31, v0
	v_lshlrev_b64_e32 v[0:1], 3, v[0:1]
	s_delay_alu instid0(VALU_DEP_1) | instskip(SKIP_1) | instid1(VALU_DEP_2)
	v_add_co_u32 v0, vcc_lo, s90, v0
	s_wait_alu 0xfffd
	v_add_co_ci_u32_e64 v1, null, s91, v1, vcc_lo
	global_load_b64 v[0:1], v[0:1], off
	s_wait_loadcnt 0x0
	v_cvt_f16_f32_e32 v0, v0
	v_cvt_f16_f32_e32 v1, v1
	s_delay_alu instid0(VALU_DEP_1)
	v_pack_b32_f16 v0, v0, v1
	scratch_load_b32 v1, off, off offset:148 ; 4-byte Folded Reload
	v_pk_mul_f16 v0, v0, s100
	s_wait_loadcnt 0x0
	v_add_nc_u32_e32 v1, v219, v1
	ds_store_b32 v1, v0
.LBB19_32:                              ;   in Loop: Header=BB19_9 Depth=1
	;; [unrolled: 43-line block ×3, first 2 shown]
	s_wait_alu 0xfffe
	s_or_b32 exec_lo, exec_lo, s3
	scratch_load_b32 v0, off, off offset:168 ; 4-byte Folded Reload
	s_wait_loadcnt 0x0
	v_add_nc_u32_e32 v70, s0, v0
	s_delay_alu instid0(VALU_DEP_1)
	v_cmp_le_i32_e32 vcc_lo, s24, v70
	s_or_b32 s3, vcc_lo, s2
	s_wait_alu 0xfffe
	s_and_saveexec_b32 s4, s3
	s_wait_alu 0xfffe
	s_xor_b32 s3, exec_lo, s4
; %bb.37:                               ;   in Loop: Header=BB19_9 Depth=1
	v_add_nc_u32_e32 v0, v219, v157
	ds_store_b32 v0, v179
; %bb.38:                               ;   in Loop: Header=BB19_9 Depth=1
	s_wait_alu 0xfffe
	s_and_not1_saveexec_b32 s3, s3
	s_cbranch_execz .LBB19_40
; %bb.39:                               ;   in Loop: Header=BB19_9 Depth=1
	v_mad_co_u64_u32 v[0:1], null, v70, s7, v[35:36]
	s_delay_alu instid0(VALU_DEP_1) | instskip(NEXT) | instid1(VALU_DEP_1)
	v_ashrrev_i32_e32 v1, 31, v0
	v_lshlrev_b64_e32 v[0:1], 3, v[0:1]
	s_delay_alu instid0(VALU_DEP_1) | instskip(SKIP_1) | instid1(VALU_DEP_2)
	v_add_co_u32 v0, vcc_lo, s90, v0
	s_wait_alu 0xfffd
	v_add_co_ci_u32_e64 v1, null, s91, v1, vcc_lo
	global_load_b64 v[0:1], v[0:1], off
	s_wait_loadcnt 0x0
	v_cvt_f16_f32_e32 v0, v0
	v_cvt_f16_f32_e32 v1, v1
	s_delay_alu instid0(VALU_DEP_1) | instskip(SKIP_1) | instid1(VALU_DEP_2)
	v_pack_b32_f16 v0, v0, v1
	v_add_nc_u32_e32 v1, v219, v157
	v_pk_mul_f16 v0, v0, s100
	ds_store_b32 v1, v0
.LBB19_40:                              ;   in Loop: Header=BB19_9 Depth=1
	s_wait_alu 0xfffe
	s_or_b32 exec_lo, exec_lo, s3
	scratch_load_b32 v0, off, off offset:172 ; 4-byte Folded Reload
	s_wait_loadcnt 0x0
	v_add_nc_u32_e32 v69, s0, v0
	s_delay_alu instid0(VALU_DEP_1)
	v_cmp_le_i32_e32 vcc_lo, s24, v69
	s_or_b32 s3, vcc_lo, s2
	s_wait_alu 0xfffe
	s_and_saveexec_b32 s4, s3
	s_wait_alu 0xfffe
	s_xor_b32 s3, exec_lo, s4
; %bb.41:                               ;   in Loop: Header=BB19_9 Depth=1
	v_add_nc_u32_e32 v0, v219, v157
	ds_store_b32 v0, v179 offset:960
; %bb.42:                               ;   in Loop: Header=BB19_9 Depth=1
	s_wait_alu 0xfffe
	s_and_not1_saveexec_b32 s3, s3
	s_cbranch_execz .LBB19_44
; %bb.43:                               ;   in Loop: Header=BB19_9 Depth=1
	v_mad_co_u64_u32 v[0:1], null, v69, s7, v[35:36]
	s_delay_alu instid0(VALU_DEP_1) | instskip(NEXT) | instid1(VALU_DEP_1)
	v_ashrrev_i32_e32 v1, 31, v0
	v_lshlrev_b64_e32 v[0:1], 3, v[0:1]
	s_delay_alu instid0(VALU_DEP_1) | instskip(SKIP_1) | instid1(VALU_DEP_2)
	v_add_co_u32 v0, vcc_lo, s90, v0
	s_wait_alu 0xfffd
	v_add_co_ci_u32_e64 v1, null, s91, v1, vcc_lo
	global_load_b64 v[0:1], v[0:1], off
	s_wait_loadcnt 0x0
	v_cvt_f16_f32_e32 v0, v0
	v_cvt_f16_f32_e32 v1, v1
	s_delay_alu instid0(VALU_DEP_1) | instskip(SKIP_1) | instid1(VALU_DEP_2)
	v_pack_b32_f16 v0, v0, v1
	v_add_nc_u32_e32 v1, v219, v157
	v_pk_mul_f16 v0, v0, s100
	ds_store_b32 v1, v0 offset:960
.LBB19_44:                              ;   in Loop: Header=BB19_9 Depth=1
	s_wait_alu 0xfffe
	s_or_b32 exec_lo, exec_lo, s3
	scratch_load_b32 v0, off, off offset:176 ; 4-byte Folded Reload
	s_wait_loadcnt 0x0
	v_add_nc_u32_e32 v68, s0, v0
	s_delay_alu instid0(VALU_DEP_1)
	v_cmp_le_i32_e32 vcc_lo, s24, v68
	s_or_b32 s3, vcc_lo, s2
	s_wait_alu 0xfffe
	s_and_saveexec_b32 s4, s3
	s_wait_alu 0xfffe
	s_xor_b32 s3, exec_lo, s4
; %bb.45:                               ;   in Loop: Header=BB19_9 Depth=1
	v_add_nc_u32_e32 v0, v219, v157
	ds_store_b32 v0, v179 offset:1920
; %bb.46:                               ;   in Loop: Header=BB19_9 Depth=1
	s_wait_alu 0xfffe
	s_and_not1_saveexec_b32 s3, s3
	s_cbranch_execz .LBB19_48
; %bb.47:                               ;   in Loop: Header=BB19_9 Depth=1
	v_mad_co_u64_u32 v[0:1], null, v68, s7, v[35:36]
	s_delay_alu instid0(VALU_DEP_1) | instskip(NEXT) | instid1(VALU_DEP_1)
	v_ashrrev_i32_e32 v1, 31, v0
	v_lshlrev_b64_e32 v[0:1], 3, v[0:1]
	s_delay_alu instid0(VALU_DEP_1) | instskip(SKIP_1) | instid1(VALU_DEP_2)
	v_add_co_u32 v0, vcc_lo, s90, v0
	s_wait_alu 0xfffd
	v_add_co_ci_u32_e64 v1, null, s91, v1, vcc_lo
	global_load_b64 v[0:1], v[0:1], off
	s_wait_loadcnt 0x0
	v_cvt_f16_f32_e32 v0, v0
	v_cvt_f16_f32_e32 v1, v1
	s_delay_alu instid0(VALU_DEP_1) | instskip(SKIP_1) | instid1(VALU_DEP_2)
	v_pack_b32_f16 v0, v0, v1
	v_add_nc_u32_e32 v1, v219, v157
	v_pk_mul_f16 v0, v0, s100
	ds_store_b32 v1, v0 offset:1920
.LBB19_48:                              ;   in Loop: Header=BB19_9 Depth=1
	;; [unrolled: 38-line block ×8, first 2 shown]
	s_wait_alu 0xfffe
	s_or_b32 exec_lo, exec_lo, s3
	scratch_load_b32 v0, off, off offset:212 ; 4-byte Folded Reload
	s_wait_loadcnt 0x0
	v_add_nc_u32_e32 v0, s0, v0
	s_delay_alu instid0(VALU_DEP_1)
	v_cmp_le_i32_e32 vcc_lo, s24, v0
	scratch_store_b32 off, v0, off offset:244 ; 4-byte Folded Spill
	s_or_b32 s2, vcc_lo, s2
	s_wait_alu 0xfffe
	s_and_saveexec_b32 s3, s2
	s_wait_alu 0xfffe
	s_xor_b32 s2, exec_lo, s3
; %bb.73:                               ;   in Loop: Header=BB19_9 Depth=1
	v_add_nc_u32_e32 v0, v219, v157
	ds_store_b32 v0, v179 offset:8640
; %bb.74:                               ;   in Loop: Header=BB19_9 Depth=1
	s_wait_alu 0xfffe
	s_and_not1_saveexec_b32 s2, s2
	s_cbranch_execz .LBB19_76
; %bb.75:                               ;   in Loop: Header=BB19_9 Depth=1
	scratch_load_b32 v0, off, off offset:244 ; 4-byte Folded Reload
	s_wait_loadcnt 0x0
	v_mad_co_u64_u32 v[0:1], null, v0, s7, v[35:36]
	s_delay_alu instid0(VALU_DEP_1) | instskip(NEXT) | instid1(VALU_DEP_1)
	v_ashrrev_i32_e32 v1, 31, v0
	v_lshlrev_b64_e32 v[0:1], 3, v[0:1]
	s_delay_alu instid0(VALU_DEP_1) | instskip(SKIP_1) | instid1(VALU_DEP_2)
	v_add_co_u32 v0, vcc_lo, s90, v0
	s_wait_alu 0xfffd
	v_add_co_ci_u32_e64 v1, null, s91, v1, vcc_lo
	global_load_b64 v[0:1], v[0:1], off
	s_wait_loadcnt 0x0
	v_cvt_f16_f32_e32 v0, v0
	v_cvt_f16_f32_e32 v1, v1
	s_delay_alu instid0(VALU_DEP_1) | instskip(SKIP_1) | instid1(VALU_DEP_2)
	v_pack_b32_f16 v0, v0, v1
	v_add_nc_u32_e32 v1, v219, v157
	v_pk_mul_f16 v0, v0, s100
	ds_store_b32 v1, v0 offset:8640
.LBB19_76:                              ;   in Loop: Header=BB19_9 Depth=1
	s_wait_alu 0xfffe
	s_or_b32 exec_lo, exec_lo, s2
	v_add_nc_u32_e32 v61, s0, v150
	v_or_b32_e32 v0, s67, v30
	s_delay_alu instid0(VALU_DEP_2) | instskip(NEXT) | instid1(VALU_DEP_2)
	v_cmp_le_i32_e64 s3, s24, v61
	v_cmp_le_i32_e64 s4, s33, v0
	scratch_store_b32 off, v0, off offset:72 ; 4-byte Folded Spill
	v_cmp_gt_i32_e32 vcc_lo, s33, v0
	s_or_b32 s2, s3, s4
	s_wait_alu 0xfffe
	s_and_saveexec_b32 s3, s2
	s_wait_alu 0xfffe
	s_xor_b32 s2, exec_lo, s3
	s_cbranch_execz .LBB19_78
; %bb.77:                               ;   in Loop: Header=BB19_9 Depth=1
	scratch_load_b32 v0, off, off offset:248 ; 4-byte Folded Reload
	s_wait_loadcnt 0x0
	ds_store_b32 v0, v179 offset:128
.LBB19_78:                              ;   in Loop: Header=BB19_9 Depth=1
	s_wait_alu 0xfffe
	s_and_not1_saveexec_b32 s2, s2
	s_cbranch_execz .LBB19_80
; %bb.79:                               ;   in Loop: Header=BB19_9 Depth=1
	v_mad_co_u64_u32 v[0:1], null, v61, s7, v[32:33]
	s_delay_alu instid0(VALU_DEP_1) | instskip(NEXT) | instid1(VALU_DEP_1)
	v_ashrrev_i32_e32 v1, 31, v0
	v_lshlrev_b64_e32 v[0:1], 3, v[0:1]
	s_delay_alu instid0(VALU_DEP_1) | instskip(SKIP_1) | instid1(VALU_DEP_2)
	v_add_co_u32 v0, s3, s90, v0
	s_wait_alu 0xf1ff
	v_add_co_ci_u32_e64 v1, null, s91, v1, s3
	global_load_b64 v[0:1], v[0:1], off
	s_wait_loadcnt 0x0
	v_cvt_f16_f32_e32 v0, v0
	v_cvt_f16_f32_e32 v1, v1
	s_delay_alu instid0(VALU_DEP_1) | instskip(SKIP_1) | instid1(VALU_DEP_2)
	v_pack_b32_f16 v0, v0, v1
	v_add_nc_u32_e32 v1, v227, v155
	v_pk_mul_f16 v0, v0, s100
	ds_store_b32 v1, v0 offset:128
.LBB19_80:                              ;   in Loop: Header=BB19_9 Depth=1
	s_wait_alu 0xfffe
	s_or_b32 exec_lo, exec_lo, s2
	v_add_nc_u32_e32 v60, s0, v156
	s_xor_b32 s2, vcc_lo, -1
	s_delay_alu instid0(VALU_DEP_1)
	v_cmp_le_i32_e64 s3, s24, v60
	s_wait_alu 0xfffe
	s_or_b32 s3, s3, s2
	s_wait_alu 0xfffe
	s_and_saveexec_b32 s4, s3
	s_wait_alu 0xfffe
	s_xor_b32 s3, exec_lo, s4
	s_cbranch_execz .LBB19_82
; %bb.81:                               ;   in Loop: Header=BB19_9 Depth=1
	scratch_load_b32 v0, off, off offset:260 ; 4-byte Folded Reload
	s_wait_loadcnt 0x0
	ds_store_b32 v0, v179 offset:128
.LBB19_82:                              ;   in Loop: Header=BB19_9 Depth=1
	s_wait_alu 0xfffe
	s_and_not1_saveexec_b32 s3, s3
	s_cbranch_execz .LBB19_84
; %bb.83:                               ;   in Loop: Header=BB19_9 Depth=1
	v_mad_co_u64_u32 v[0:1], null, v60, s7, v[32:33]
	s_delay_alu instid0(VALU_DEP_1) | instskip(NEXT) | instid1(VALU_DEP_1)
	v_ashrrev_i32_e32 v1, 31, v0
	v_lshlrev_b64_e32 v[0:1], 3, v[0:1]
	s_delay_alu instid0(VALU_DEP_1) | instskip(SKIP_1) | instid1(VALU_DEP_2)
	v_add_co_u32 v0, vcc_lo, s90, v0
	s_wait_alu 0xfffd
	v_add_co_ci_u32_e64 v1, null, s91, v1, vcc_lo
	global_load_b64 v[0:1], v[0:1], off
	s_wait_loadcnt 0x0
	v_cvt_f16_f32_e32 v0, v0
	v_cvt_f16_f32_e32 v1, v1
	s_delay_alu instid0(VALU_DEP_1) | instskip(SKIP_1) | instid1(VALU_DEP_2)
	v_pack_b32_f16 v0, v0, v1
	v_add_nc_u32_e32 v1, v227, v155
	v_pk_mul_f16 v0, v0, s100
	ds_store_b32 v1, v0 offset:2048
.LBB19_84:                              ;   in Loop: Header=BB19_9 Depth=1
	s_wait_alu 0xfffe
	s_or_b32 exec_lo, exec_lo, s3
	v_add_nc_u32_e32 v59, s0, v158
	s_delay_alu instid0(VALU_DEP_1)
	v_cmp_le_i32_e32 vcc_lo, s24, v59
	s_or_b32 s3, vcc_lo, s2
	s_wait_alu 0xfffe
	s_and_saveexec_b32 s4, s3
	s_wait_alu 0xfffe
	s_xor_b32 s3, exec_lo, s4
	s_cbranch_execz .LBB19_86
; %bb.85:                               ;   in Loop: Header=BB19_9 Depth=1
	scratch_load_b32 v0, off, off offset:480 ; 4-byte Folded Reload
	s_wait_loadcnt 0x0
	ds_store_b32 v0, v179 offset:128
.LBB19_86:                              ;   in Loop: Header=BB19_9 Depth=1
	s_wait_alu 0xfffe
	s_and_not1_saveexec_b32 s3, s3
	s_cbranch_execz .LBB19_88
; %bb.87:                               ;   in Loop: Header=BB19_9 Depth=1
	v_mad_co_u64_u32 v[0:1], null, v59, s7, v[32:33]
	s_delay_alu instid0(VALU_DEP_1) | instskip(NEXT) | instid1(VALU_DEP_1)
	v_ashrrev_i32_e32 v1, 31, v0
	v_lshlrev_b64_e32 v[0:1], 3, v[0:1]
	s_delay_alu instid0(VALU_DEP_1) | instskip(SKIP_1) | instid1(VALU_DEP_2)
	v_add_co_u32 v0, vcc_lo, s90, v0
	s_wait_alu 0xfffd
	v_add_co_ci_u32_e64 v1, null, s91, v1, vcc_lo
	global_load_b64 v[0:1], v[0:1], off
	s_wait_loadcnt 0x0
	v_cvt_f16_f32_e32 v0, v0
	v_cvt_f16_f32_e32 v1, v1
	s_delay_alu instid0(VALU_DEP_1) | instskip(SKIP_1) | instid1(VALU_DEP_2)
	v_pack_b32_f16 v0, v0, v1
	v_add_nc_u32_e32 v1, v227, v155
	v_pk_mul_f16 v0, v0, s100
	ds_store_b32 v1, v0 offset:3968
.LBB19_88:                              ;   in Loop: Header=BB19_9 Depth=1
	s_wait_alu 0xfffe
	s_or_b32 exec_lo, exec_lo, s3
	v_add_nc_u32_e32 v58, s0, v183
	s_delay_alu instid0(VALU_DEP_1)
	v_cmp_le_i32_e32 vcc_lo, s24, v58
	s_or_b32 s3, vcc_lo, s2
	;; [unrolled: 38-line block ×4, first 2 shown]
	s_wait_alu 0xfffe
	s_and_saveexec_b32 s4, s3
	s_wait_alu 0xfffe
	s_xor_b32 s3, exec_lo, s4
	s_cbranch_execz .LBB19_98
; %bb.97:                               ;   in Loop: Header=BB19_9 Depth=1
	scratch_load_b32 v0, off, off offset:492 ; 4-byte Folded Reload
	s_wait_loadcnt 0x0
	ds_store_b32 v0, v179 offset:128
.LBB19_98:                              ;   in Loop: Header=BB19_9 Depth=1
	s_wait_alu 0xfffe
	s_and_not1_saveexec_b32 s3, s3
	s_cbranch_execz .LBB19_100
; %bb.99:                               ;   in Loop: Header=BB19_9 Depth=1
	v_mad_co_u64_u32 v[0:1], null, v56, s7, v[32:33]
	s_delay_alu instid0(VALU_DEP_1) | instskip(NEXT) | instid1(VALU_DEP_1)
	v_ashrrev_i32_e32 v1, 31, v0
	v_lshlrev_b64_e32 v[0:1], 3, v[0:1]
	s_delay_alu instid0(VALU_DEP_1) | instskip(SKIP_1) | instid1(VALU_DEP_2)
	v_add_co_u32 v0, vcc_lo, s90, v0
	s_wait_alu 0xfffd
	v_add_co_ci_u32_e64 v1, null, s91, v1, vcc_lo
	global_load_b64 v[0:1], v[0:1], off
	s_wait_loadcnt 0x0
	v_cvt_f16_f32_e32 v0, v0
	v_cvt_f16_f32_e32 v1, v1
	s_delay_alu instid0(VALU_DEP_1) | instskip(SKIP_1) | instid1(VALU_DEP_2)
	v_pack_b32_f16 v0, v0, v1
	v_add_nc_u32_e32 v1, v227, v155
	v_pk_mul_f16 v0, v0, s100
	ds_store_b32 v1, v0 offset:9728
.LBB19_100:                             ;   in Loop: Header=BB19_9 Depth=1
	s_wait_alu 0xfffe
	s_or_b32 exec_lo, exec_lo, s3
	v_add_nc_u32_e32 v27, s0, v212
	s_delay_alu instid0(VALU_DEP_1)
	v_cmp_le_i32_e32 vcc_lo, s24, v27
	s_or_b32 s3, vcc_lo, s2
	s_wait_alu 0xfffe
	s_and_saveexec_b32 s4, s3
	s_wait_alu 0xfffe
	s_xor_b32 s3, exec_lo, s4
	s_cbranch_execz .LBB19_102
; %bb.101:                              ;   in Loop: Header=BB19_9 Depth=1
	scratch_load_b32 v0, off, off offset:496 ; 4-byte Folded Reload
	s_wait_loadcnt 0x0
	ds_store_b32 v0, v179 offset:128
.LBB19_102:                             ;   in Loop: Header=BB19_9 Depth=1
	s_wait_alu 0xfffe
	s_and_not1_saveexec_b32 s3, s3
	s_cbranch_execz .LBB19_104
; %bb.103:                              ;   in Loop: Header=BB19_9 Depth=1
	v_mad_co_u64_u32 v[0:1], null, v27, s7, v[32:33]
	s_delay_alu instid0(VALU_DEP_1) | instskip(NEXT) | instid1(VALU_DEP_1)
	v_ashrrev_i32_e32 v1, 31, v0
	v_lshlrev_b64_e32 v[0:1], 3, v[0:1]
	s_delay_alu instid0(VALU_DEP_1) | instskip(SKIP_1) | instid1(VALU_DEP_2)
	v_add_co_u32 v0, vcc_lo, s90, v0
	s_wait_alu 0xfffd
	v_add_co_ci_u32_e64 v1, null, s91, v1, vcc_lo
	global_load_b64 v[0:1], v[0:1], off
	s_wait_loadcnt 0x0
	v_cvt_f16_f32_e32 v0, v0
	v_cvt_f16_f32_e32 v1, v1
	s_delay_alu instid0(VALU_DEP_1) | instskip(SKIP_1) | instid1(VALU_DEP_2)
	v_pack_b32_f16 v0, v0, v1
	v_add_nc_u32_e32 v1, v227, v155
	v_pk_mul_f16 v0, v0, s100
	ds_store_b32 v1, v0 offset:11648
.LBB19_104:                             ;   in Loop: Header=BB19_9 Depth=1
	s_wait_alu 0xfffe
	s_or_b32 exec_lo, exec_lo, s3
	v_add_nc_u32_e32 v0, s0, v218
	s_delay_alu instid0(VALU_DEP_1)
	v_cmp_le_i32_e32 vcc_lo, s24, v0
	scratch_store_b32 off, v0, off offset:240 ; 4-byte Folded Spill
	s_or_b32 s2, vcc_lo, s2
	s_wait_alu 0xfffe
	s_and_saveexec_b32 s3, s2
	s_wait_alu 0xfffe
	s_xor_b32 s2, exec_lo, s3
	s_cbranch_execz .LBB19_106
; %bb.105:                              ;   in Loop: Header=BB19_9 Depth=1
	scratch_load_b32 v0, off, off offset:500 ; 4-byte Folded Reload
	s_wait_loadcnt 0x0
	ds_store_b32 v0, v179 offset:128
.LBB19_106:                             ;   in Loop: Header=BB19_9 Depth=1
	s_wait_alu 0xfffe
	s_and_not1_saveexec_b32 s2, s2
	s_cbranch_execz .LBB19_108
; %bb.107:                              ;   in Loop: Header=BB19_9 Depth=1
	scratch_load_b32 v0, off, off offset:240 ; 4-byte Folded Reload
	s_wait_loadcnt 0x0
	v_mad_co_u64_u32 v[0:1], null, v0, s7, v[32:33]
	s_delay_alu instid0(VALU_DEP_1) | instskip(NEXT) | instid1(VALU_DEP_1)
	v_ashrrev_i32_e32 v1, 31, v0
	v_lshlrev_b64_e32 v[0:1], 3, v[0:1]
	s_delay_alu instid0(VALU_DEP_1) | instskip(SKIP_1) | instid1(VALU_DEP_2)
	v_add_co_u32 v0, vcc_lo, s90, v0
	s_wait_alu 0xfffd
	v_add_co_ci_u32_e64 v1, null, s91, v1, vcc_lo
	global_load_b64 v[0:1], v[0:1], off
	s_wait_loadcnt 0x0
	v_cvt_f16_f32_e32 v0, v0
	v_cvt_f16_f32_e32 v1, v1
	s_delay_alu instid0(VALU_DEP_1) | instskip(SKIP_1) | instid1(VALU_DEP_2)
	v_pack_b32_f16 v0, v0, v1
	v_add_nc_u32_e32 v1, v227, v155
	v_pk_mul_f16 v0, v0, s100
	ds_store_b32 v1, v0 offset:13568
.LBB19_108:                             ;   in Loop: Header=BB19_9 Depth=1
	s_wait_alu 0xfffe
	s_or_b32 exec_lo, exec_lo, s2
	v_add_nc_u32_e32 v26, s0, v220
	v_or_b32_e32 v0, s67, v31
	s_delay_alu instid0(VALU_DEP_2) | instskip(NEXT) | instid1(VALU_DEP_2)
	v_cmp_le_i32_e64 s3, s24, v26
	v_cmp_le_i32_e64 s4, s33, v0
	scratch_store_b32 off, v0, off offset:40 ; 4-byte Folded Spill
	v_cmp_gt_i32_e32 vcc_lo, s33, v0
	s_or_b32 s2, s3, s4
	s_wait_alu 0xfffe
	s_and_saveexec_b32 s3, s2
	s_wait_alu 0xfffe
	s_xor_b32 s2, exec_lo, s3
	s_cbranch_execz .LBB19_110
; %bb.109:                              ;   in Loop: Header=BB19_9 Depth=1
	scratch_load_b32 v0, off, off offset:252 ; 4-byte Folded Reload
	s_wait_loadcnt 0x0
	ds_store_b32 v0, v179 offset:192
.LBB19_110:                             ;   in Loop: Header=BB19_9 Depth=1
	s_wait_alu 0xfffe
	s_and_not1_saveexec_b32 s2, s2
	s_cbranch_execz .LBB19_112
; %bb.111:                              ;   in Loop: Header=BB19_9 Depth=1
	v_mad_co_u64_u32 v[0:1], null, v26, s7, v[33:34]
	s_delay_alu instid0(VALU_DEP_1) | instskip(NEXT) | instid1(VALU_DEP_1)
	v_ashrrev_i32_e32 v1, 31, v0
	v_lshlrev_b64_e32 v[0:1], 3, v[0:1]
	s_delay_alu instid0(VALU_DEP_1) | instskip(SKIP_1) | instid1(VALU_DEP_2)
	v_add_co_u32 v0, s3, s90, v0
	s_wait_alu 0xf1ff
	v_add_co_ci_u32_e64 v1, null, s91, v1, s3
	global_load_b64 v[0:1], v[0:1], off
	s_wait_loadcnt 0x0
	v_cvt_f16_f32_e32 v0, v0
	v_cvt_f16_f32_e32 v1, v1
	s_delay_alu instid0(VALU_DEP_1) | instskip(SKIP_1) | instid1(VALU_DEP_2)
	v_pack_b32_f16 v0, v0, v1
	v_add_nc_u32_e32 v1, v228, v222
	v_pk_mul_f16 v0, v0, s100
	ds_store_b32 v1, v0 offset:192
.LBB19_112:                             ;   in Loop: Header=BB19_9 Depth=1
	s_wait_alu 0xfffe
	s_or_b32 exec_lo, exec_lo, s2
	v_add_nc_u32_e32 v25, s0, v223
	s_xor_b32 s2, vcc_lo, -1
	s_delay_alu instid0(VALU_DEP_1)
	v_cmp_le_i32_e64 s3, s24, v25
	s_wait_alu 0xfffe
	s_or_b32 s3, s3, s2
	s_wait_alu 0xfffe
	s_and_saveexec_b32 s4, s3
	s_wait_alu 0xfffe
	s_xor_b32 s3, exec_lo, s4
	s_cbranch_execz .LBB19_114
; %bb.113:                              ;   in Loop: Header=BB19_9 Depth=1
	scratch_load_b32 v0, off, off offset:420 ; 4-byte Folded Reload
	s_wait_loadcnt 0x0
	ds_store_b32 v0, v179 offset:192
.LBB19_114:                             ;   in Loop: Header=BB19_9 Depth=1
	s_wait_alu 0xfffe
	s_and_not1_saveexec_b32 s3, s3
	s_cbranch_execz .LBB19_116
; %bb.115:                              ;   in Loop: Header=BB19_9 Depth=1
	v_mad_co_u64_u32 v[0:1], null, v25, s7, v[33:34]
	s_delay_alu instid0(VALU_DEP_1) | instskip(NEXT) | instid1(VALU_DEP_1)
	v_ashrrev_i32_e32 v1, 31, v0
	v_lshlrev_b64_e32 v[0:1], 3, v[0:1]
	s_delay_alu instid0(VALU_DEP_1) | instskip(SKIP_1) | instid1(VALU_DEP_2)
	v_add_co_u32 v0, vcc_lo, s90, v0
	s_wait_alu 0xfffd
	v_add_co_ci_u32_e64 v1, null, s91, v1, vcc_lo
	global_load_b64 v[0:1], v[0:1], off
	s_wait_loadcnt 0x0
	v_cvt_f16_f32_e32 v0, v0
	v_cvt_f16_f32_e32 v1, v1
	s_delay_alu instid0(VALU_DEP_1) | instskip(SKIP_1) | instid1(VALU_DEP_2)
	v_pack_b32_f16 v0, v0, v1
	v_add_nc_u32_e32 v1, v228, v222
	v_pk_mul_f16 v0, v0, s100
	ds_store_b32 v1, v0 offset:4032
.LBB19_116:                             ;   in Loop: Header=BB19_9 Depth=1
	s_wait_alu 0xfffe
	s_or_b32 exec_lo, exec_lo, s3
	v_add_nc_u32_e32 v199, s0, v224
	s_delay_alu instid0(VALU_DEP_1)
	v_cmp_le_i32_e32 vcc_lo, s24, v199
	s_or_b32 s3, vcc_lo, s2
	s_wait_alu 0xfffe
	s_and_saveexec_b32 s4, s3
	s_wait_alu 0xfffe
	s_xor_b32 s3, exec_lo, s4
	s_cbranch_execz .LBB19_118
; %bb.117:                              ;   in Loop: Header=BB19_9 Depth=1
	scratch_load_b32 v0, off, off offset:424 ; 4-byte Folded Reload
	s_wait_loadcnt 0x0
	ds_store_b32 v0, v179 offset:192
.LBB19_118:                             ;   in Loop: Header=BB19_9 Depth=1
	s_wait_alu 0xfffe
	s_and_not1_saveexec_b32 s3, s3
	s_cbranch_execz .LBB19_120
; %bb.119:                              ;   in Loop: Header=BB19_9 Depth=1
	v_mad_co_u64_u32 v[0:1], null, v199, s7, v[33:34]
	s_delay_alu instid0(VALU_DEP_1) | instskip(NEXT) | instid1(VALU_DEP_1)
	v_ashrrev_i32_e32 v1, 31, v0
	v_lshlrev_b64_e32 v[0:1], 3, v[0:1]
	s_delay_alu instid0(VALU_DEP_1) | instskip(SKIP_1) | instid1(VALU_DEP_2)
	v_add_co_u32 v0, vcc_lo, s90, v0
	s_wait_alu 0xfffd
	v_add_co_ci_u32_e64 v1, null, s91, v1, vcc_lo
	global_load_b64 v[0:1], v[0:1], off
	s_wait_loadcnt 0x0
	v_cvt_f16_f32_e32 v0, v0
	v_cvt_f16_f32_e32 v1, v1
	s_delay_alu instid0(VALU_DEP_1) | instskip(SKIP_1) | instid1(VALU_DEP_2)
	v_pack_b32_f16 v0, v0, v1
	v_add_nc_u32_e32 v1, v228, v222
	v_pk_mul_f16 v0, v0, s100
	ds_store_b32 v1, v0 offset:7872
.LBB19_120:                             ;   in Loop: Header=BB19_9 Depth=1
	s_wait_alu 0xfffe
	s_or_b32 exec_lo, exec_lo, s3
	v_add_nc_u32_e32 v24, s0, v225
	s_delay_alu instid0(VALU_DEP_1)
	v_cmp_le_i32_e32 vcc_lo, s24, v24
	s_or_b32 s2, vcc_lo, s2
	s_wait_alu 0xfffe
	s_and_saveexec_b32 s3, s2
	s_wait_alu 0xfffe
	s_xor_b32 s2, exec_lo, s3
	s_cbranch_execz .LBB19_122
; %bb.121:                              ;   in Loop: Header=BB19_9 Depth=1
	scratch_load_b32 v0, off, off offset:440 ; 4-byte Folded Reload
	s_wait_loadcnt 0x0
	ds_store_b32 v0, v179 offset:192
.LBB19_122:                             ;   in Loop: Header=BB19_9 Depth=1
	s_wait_alu 0xfffe
	s_and_not1_saveexec_b32 s2, s2
	s_cbranch_execz .LBB19_124
; %bb.123:                              ;   in Loop: Header=BB19_9 Depth=1
	v_mad_co_u64_u32 v[0:1], null, v24, s7, v[33:34]
	s_delay_alu instid0(VALU_DEP_1) | instskip(NEXT) | instid1(VALU_DEP_1)
	v_ashrrev_i32_e32 v1, 31, v0
	v_lshlrev_b64_e32 v[0:1], 3, v[0:1]
	s_delay_alu instid0(VALU_DEP_1) | instskip(SKIP_1) | instid1(VALU_DEP_2)
	v_add_co_u32 v0, vcc_lo, s90, v0
	s_wait_alu 0xfffd
	v_add_co_ci_u32_e64 v1, null, s91, v1, vcc_lo
	global_load_b64 v[0:1], v[0:1], off
	s_wait_loadcnt 0x0
	v_cvt_f16_f32_e32 v0, v0
	v_cvt_f16_f32_e32 v1, v1
	s_delay_alu instid0(VALU_DEP_1) | instskip(SKIP_1) | instid1(VALU_DEP_2)
	v_pack_b32_f16 v0, v0, v1
	v_add_nc_u32_e32 v1, v228, v222
	v_pk_mul_f16 v0, v0, s100
	ds_store_b32 v1, v0 offset:11712
.LBB19_124:                             ;   in Loop: Header=BB19_9 Depth=1
	s_wait_alu 0xfffe
	s_or_b32 exec_lo, exec_lo, s2
	scratch_store_b32 off, v2, off offset:132 ; 4-byte Folded Spill
	s_wait_storecnt_dscnt 0x0
	s_barrier_signal -1
	s_barrier_wait -1
	global_inv scope:SCOPE_SE
	ds_load_b128 v[52:55], v145
	ds_load_b128 v[48:51], v145 offset:32
	ds_load_b128 v[44:47], v145 offset:64
	;; [unrolled: 1-line block ×6, first 2 shown]
	v_add_nc_u32_e32 v8, s0, v140
	v_add_nc_u32_e32 v9, s0, v197
	;; [unrolled: 1-line block ×8, first 2 shown]
	v_mul_hi_u32 v15, s36, v8
	v_mul_hi_u32 v14, s36, v9
	;; [unrolled: 1-line block ×8, first 2 shown]
	s_add_co_i32 s0, s49, -1
	s_mov_b32 s2, -1
	s_wait_alu 0xfffe
	s_cmp_lt_i32 s94, s0
	s_wait_loadcnt_dscnt 0x0
	s_barrier_signal -1
	s_barrier_wait -1
	global_inv scope:SCOPE_SE
                                        ; implicit-def: $vgpr162_vgpr163
                                        ; implicit-def: $vgpr160_vgpr161
                                        ; implicit-def: $vgpr164_vgpr165
                                        ; implicit-def: $vgpr235
                                        ; implicit-def: $vgpr108
                                        ; implicit-def: $vgpr170_vgpr171
                                        ; implicit-def: $vgpr172_vgpr173
                                        ; implicit-def: $vgpr174_vgpr175
                                        ; implicit-def: $vgpr168_vgpr169
                                        ; implicit-def: $vgpr166_vgpr167
	s_cbranch_scc1 .LBB19_126
; %bb.125:                              ;   in Loop: Header=BB19_9 Depth=1
	v_add_nc_u32_e32 v16, v8, v15
	v_add_nc_u32_e32 v18, v5, v13
	;; [unrolled: 1-line block ×4, first 2 shown]
	v_dual_mov_b32 v108, 32 :: v_dual_add_nc_u32 v17, v9, v14
	v_lshrrev_b32_e32 v16, s37, v16
	v_lshrrev_b32_e32 v18, s37, v18
	;; [unrolled: 1-line block ×5, first 2 shown]
	v_mul_lo_u32 v16, v16, s24
	v_mul_lo_u32 v18, v18, s24
	;; [unrolled: 1-line block ×3, first 2 shown]
	v_add_nc_u32_e32 v20, v3, v11
	v_mul_lo_u32 v17, v17, s24
	v_add_nc_u32_e32 v22, v1, v7
	v_add_nc_u32_e32 v23, v0, v6
	s_mov_b32 s2, 0
	v_sub_nc_u32_e32 v16, v8, v16
	v_lshrrev_b32_e32 v20, s37, v20
	v_sub_nc_u32_e32 v17, v9, v17
	s_delay_alu instid0(VALU_DEP_3) | instskip(SKIP_2) | instid1(VALU_DEP_4)
	v_mad_co_i64_i32 v[162:163], null, v16, s38, 0
	v_sub_nc_u32_e32 v16, v5, v18
	v_mul_lo_u32 v18, v21, s24
	v_mad_co_i64_i32 v[160:161], null, v17, s38, 0
	v_mul_lo_u32 v17, v20, s24
	s_delay_alu instid0(VALU_DEP_4) | instskip(SKIP_3) | instid1(VALU_DEP_3)
	v_mad_co_i64_i32 v[164:165], null, v16, s38, 0
	v_sub_nc_u32_e32 v16, v4, v19
	v_lshrrev_b32_e32 v20, s37, v22
	v_lshrrev_b32_e32 v21, s37, v23
	v_mad_co_i64_i32 v[170:171], null, v16, s38, 0
	v_sub_nc_u32_e32 v16, v2, v18
	s_delay_alu instid0(VALU_DEP_4) | instskip(NEXT) | instid1(VALU_DEP_4)
	v_mul_lo_u32 v19, v20, s24
	v_mul_lo_u32 v20, v21, s24
	v_sub_nc_u32_e32 v17, v3, v17
	s_delay_alu instid0(VALU_DEP_4) | instskip(SKIP_4) | instid1(VALU_DEP_2)
	v_mad_co_i64_i32 v[174:175], null, v16, s38, 0
	scratch_load_b32 v16, off, off offset:16 ; 4-byte Folded Reload
	v_mad_co_i64_i32 v[172:173], null, v17, s38, 0
	v_sub_nc_u32_e32 v17, v1, v19
	v_sub_nc_u32_e32 v18, v0, v20
	v_mad_co_i64_i32 v[168:169], null, v17, s38, 0
	s_delay_alu instid0(VALU_DEP_2)
	v_mad_co_i64_i32 v[166:167], null, v18, s38, 0
	s_wait_loadcnt 0x0
	v_xor_b32_e32 v235, 16, v16
.LBB19_126:                             ;   in Loop: Header=BB19_9 Depth=1
	s_wait_alu 0xfffe
	s_and_not1_b32 vcc_lo, exec_lo, s2
	s_clause 0x17
	scratch_store_b32 off, v24, off offset:20
	scratch_store_b32 off, v25, off offset:32
	;; [unrolled: 1-line block ×24, first 2 shown]
	s_wait_alu 0xfffe
	s_cbranch_vccnz .LBB19_131
; %bb.127:                              ;   in Loop: Header=BB19_9 Depth=1
	v_add_nc_u32_e32 v14, v9, v14
	v_dual_mov_b32 v233, 0 :: v_dual_add_nc_u32 v12, v4, v12
	v_add_nc_u32_e32 v6, v0, v6
	v_mov_b32_e32 v180, v154
	s_delay_alu instid0(VALU_DEP_4) | instskip(NEXT) | instid1(VALU_DEP_4)
	v_lshrrev_b32_e32 v14, s37, v14
	v_lshrrev_b32_e32 v12, s37, v12
	v_mov_b32_e32 v179, v153
	v_lshrrev_b32_e32 v6, s37, v6
	s_clause 0x1
	scratch_load_b32 v16, off, off offset:28
	scratch_load_b32 v241, off, off offset:24
	v_mul_lo_u32 v14, v14, s24
	v_add_nc_u32_e32 v15, v8, v15
	v_dual_mov_b32 v234, 0xfeffffff :: v_dual_add_nc_u32 v13, v5, v13
	v_mov_b32_e32 v153, v193
	v_add_nc_u32_e32 v125, 40, v213
	v_add_nc_u32_e32 v203, 64, v213
	s_delay_alu instid0(VALU_DEP_4)
	v_lshrrev_b32_e32 v13, s37, v13
	v_sub_nc_u32_e32 v9, v9, v14
	v_add_nc_u32_e32 v221, 32, v213
	s_lshl_b32 s92, s94, 6
	scratch_store_b32 off, v199, off offset:280 ; 4-byte Folded Spill
	v_mul_lo_u32 v13, v13, s24
	v_mad_co_i64_i32 v[160:161], null, v9, s38, 0
	v_mul_lo_u32 v9, v12, s24
	v_dual_mov_b32 v154, v194 :: v_dual_mov_b32 v193, v248
	v_dual_mov_b32 v194, v249 :: v_dual_mov_b32 v249, v239
	v_sub_nc_u32_e32 v5, v5, v13
	v_dual_mov_b32 v248, v238 :: v_dual_mov_b32 v239, v190
	v_sub_nc_u32_e32 v4, v4, v9
	v_mov_b32_e32 v238, v189
	s_delay_alu instid0(VALU_DEP_4) | instskip(SKIP_1) | instid1(VALU_DEP_4)
	v_mad_co_i64_i32 v[164:165], null, v5, s38, 0
	v_mov_b32_e32 v189, v200
	v_mad_co_i64_i32 v[170:171], null, v4, s38, 0
	v_mul_lo_u32 v4, v6, s24
	scratch_load_b32 v6, off, off offset:16 ; 4-byte Folded Reload
	v_mov_b32_e32 v190, v201
	v_dual_mov_b32 v200, v236 :: v_dual_mov_b32 v201, v237
	v_dual_mov_b32 v236, v246 :: v_dual_mov_b32 v237, v247
	v_mov_b32_e32 v247, v178
	v_sub_nc_u32_e32 v0, v0, v4
	v_dual_mov_b32 v4, 0 :: v_dual_add_nc_u32 v7, v1, v7
	v_lshrrev_b32_e32 v15, s37, v15
	v_add_nc_u32_e32 v11, v3, v11
	s_delay_alu instid0(VALU_DEP_4) | instskip(NEXT) | instid1(VALU_DEP_4)
	v_mad_co_i64_i32 v[166:167], null, v0, s38, 0
	v_lshrrev_b32_e32 v7, s37, v7
	s_delay_alu instid0(VALU_DEP_4) | instskip(SKIP_2) | instid1(VALU_DEP_4)
	v_mul_lo_u32 v15, v15, s24
	v_dual_mov_b32 v9, v4 :: v_dual_mov_b32 v12, v4
	v_mov_b32_e32 v13, v4
	v_mul_lo_u32 v7, v7, s24
	v_dual_mov_b32 v14, v4 :: v_dual_mov_b32 v17, v4
	v_mov_b32_e32 v20, v4
	v_sub_nc_u32_e32 v8, v8, v15
	v_dual_mov_b32 v15, v4 :: v_dual_mov_b32 v18, v4
	v_dual_mov_b32 v19, v4 :: v_dual_mov_b32 v22, v4
	v_sub_nc_u32_e32 v1, v1, v7
	s_delay_alu instid0(VALU_DEP_4) | instskip(SKIP_1) | instid1(VALU_DEP_3)
	v_mad_co_i64_i32 v[162:163], null, v8, s38, 0
	v_dual_mov_b32 v7, v4 :: v_dual_add_nc_u32 v8, v2, v10
	v_mad_co_i64_i32 v[168:169], null, v1, s38, 0
	v_dual_mov_b32 v21, v4 :: v_dual_mov_b32 v24, v4
	s_delay_alu instid0(VALU_DEP_3) | instskip(SKIP_2) | instid1(VALU_DEP_3)
	v_lshrrev_b32_e32 v8, s37, v8
	v_dual_mov_b32 v23, v4 :: v_dual_mov_b32 v26, v4
	v_dual_mov_b32 v25, v4 :: v_dual_mov_b32 v0, v4
	v_mul_lo_u32 v5, v8, s24
	v_dual_mov_b32 v8, v4 :: v_dual_mov_b32 v27, v4
	v_mov_b32_e32 v246, v177
	v_dual_mov_b32 v178, v152 :: v_dual_mov_b32 v177, v151
	v_dual_mov_b32 v151, v231 :: v_dual_mov_b32 v152, v232
	v_sub_nc_u32_e32 v2, v2, v5
	v_dual_mov_b32 v5, v4 :: v_dual_mov_b32 v232, v230
	v_dual_mov_b32 v231, v229 :: v_dual_add_nc_u32 v184, 0x48, v213
	s_delay_alu instid0(VALU_DEP_3) | instskip(SKIP_3) | instid1(VALU_DEP_1)
	v_mad_co_i64_i32 v[174:175], null, v2, s38, 0
	v_mov_b32_e32 v2, v4
	s_wait_loadcnt 0x2
	v_lshlrev_b32_e32 v16, 1, v16
	v_add_co_u32 v126, s2, s80, v16
	s_wait_alu 0xf1ff
	v_add_co_ci_u32_e64 v155, null, s81, 0, s2
	v_mov_b32_e32 v16, v4
	s_wait_loadcnt 0x0
	v_xor_b32_e32 v235, 16, v6
	s_delay_alu instid0(VALU_DEP_1) | instskip(SKIP_3) | instid1(VALU_DEP_2)
	v_cmp_gt_i32_e32 vcc_lo, 32, v235
	s_wait_alu 0xfffd
	v_dual_cndmask_b32 v1, v6, v235 :: v_dual_mov_b32 v6, v4
	v_lshrrev_b32_e32 v11, s37, v11
	v_lshlrev_b32_e32 v123, 2, v1
	v_mov_b32_e32 v1, v4
	s_delay_alu instid0(VALU_DEP_3) | instskip(SKIP_1) | instid1(VALU_DEP_2)
	v_mul_lo_u32 v10, v11, s24
	v_mov_b32_e32 v11, v4
	v_sub_nc_u32_e32 v3, v3, v10
	v_mov_b32_e32 v10, v4
	s_delay_alu instid0(VALU_DEP_2)
	v_mad_co_i64_i32 v[172:173], null, v3, s38, 0
	v_mov_b32_e32 v3, v4
.LBB19_128:                             ;   Parent Loop BB19_9 Depth=1
                                        ; =>  This Inner Loop Header: Depth=2
	s_ashr_i32 s93, s92, 31
	v_lshlrev_b64_e32 v[56:57], 1, v[162:163]
	s_lshl_b64 s[2:3], s[92:93], 1
	v_lshlrev_b64_e32 v[58:59], 1, v[160:161]
	s_wait_alu 0xfffe
	v_add_co_u32 v72, vcc_lo, v126, s2
	s_wait_alu 0xfffd
	v_add_co_ci_u32_e64 v73, null, s3, v155, vcc_lo
	v_lshlrev_b64_e32 v[60:61], 1, v[164:165]
	s_delay_alu instid0(VALU_DEP_3)
	v_add_co_u32 v56, vcc_lo, v72, v56
	v_lshlrev_b64_e32 v[62:63], 1, v[170:171]
	s_wait_alu 0xfffd
	v_add_co_ci_u32_e64 v57, null, v73, v57, vcc_lo
	v_add_co_u32 v58, vcc_lo, v72, v58
	v_lshlrev_b64_e32 v[64:65], 1, v[172:173]
	s_wait_alu 0xfffd
	v_add_co_ci_u32_e64 v59, null, v73, v59, vcc_lo
	;; [unrolled: 4-line block ×5, first 2 shown]
	v_add_co_u32 v66, vcc_lo, v72, v66
	s_wait_alu 0xfffd
	v_add_co_ci_u32_e64 v67, null, v73, v67, vcc_lo
	v_add_co_u32 v68, vcc_lo, v72, v68
	s_wait_alu 0xfffd
	v_add_co_ci_u32_e64 v69, null, v73, v69, vcc_lo
	;; [unrolled: 3-line block ×3, first 2 shown]
	s_clause 0x7
	global_load_b32 v56, v[56:57], off
	global_load_b32 v57, v[58:59], off
	;; [unrolled: 1-line block ×8, first 2 shown]
	v_add_nc_u32_e32 v64, v219, v241
	s_mul_u64 s[2:3], s[92:93], s[26:27]
	s_add_co_i32 s94, s94, 1
	s_wait_alu 0xfffe
	s_lshl_b64 s[2:3], s[2:3], 2
	v_add_nc_u32_e32 v65, 0x3c00, v64
	s_wait_alu 0xfffe
	s_add_nc_u64 s[2:3], s[78:79], s[2:3]
	s_wait_loadcnt 0x6
	ds_store_2addr_b32 v65, v56, v57 offset1:144
	v_add_nc_u32_e32 v56, 0x4000, v64
	s_wait_loadcnt 0x4
	ds_store_2addr_b32 v56, v58, v59 offset0:32 offset1:176
	v_add_nc_u32_e32 v56, 0x4400, v64
	s_wait_loadcnt 0x2
	ds_store_2addr_b32 v56, v60, v61 offset0:64 offset1:208
	;; [unrolled: 3-line block ×3, first 2 shown]
	s_wait_alu 0xfffe
	v_add_co_u32 v56, vcc_lo, s2, v151
	s_wait_alu 0xfffd
	v_add_co_ci_u32_e64 v57, null, s3, v152, vcc_lo
	s_delay_alu instid0(VALU_DEP_2) | instskip(SKIP_1) | instid1(VALU_DEP_2)
	v_add_co_u32 v56, vcc_lo, v56, v159
	s_wait_alu 0xfffd
	v_add_co_ci_u32_e64 v57, null, 0, v57, vcc_lo
	v_add_co_u32 v58, vcc_lo, s2, v189
	s_wait_alu 0xfffd
	v_add_co_ci_u32_e64 v59, null, s3, v190, vcc_lo
	s_delay_alu instid0(VALU_DEP_2) | instskip(SKIP_1) | instid1(VALU_DEP_2)
	v_add_co_u32 v60, vcc_lo, v58, v195
	s_wait_alu 0xfffd
	v_add_co_ci_u32_e64 v61, null, 0, v59, vcc_lo
	s_clause 0x1
	global_load_b128 v[56:59], v[56:57], off offset:192
	global_load_b128 v[60:63], v[60:61], off offset:128
	s_wait_loadcnt 0x1
	ds_store_b128 v204, v[56:59]
	v_add_co_u32 v56, vcc_lo, s2, v238
	s_wait_alu 0xfffd
	v_add_co_ci_u32_e64 v57, null, s3, v239, vcc_lo
	s_delay_alu instid0(VALU_DEP_2) | instskip(SKIP_1) | instid1(VALU_DEP_2)
	v_add_co_u32 v56, vcc_lo, v56, v195
	s_wait_alu 0xfffd
	v_add_co_ci_u32_e64 v57, null, 0, v57, vcc_lo
	v_add_co_u32 v58, vcc_lo, s2, v248
	s_wait_alu 0xfffd
	v_add_co_ci_u32_e64 v59, null, s3, v249, vcc_lo
	s_delay_alu instid0(VALU_DEP_2) | instskip(SKIP_1) | instid1(VALU_DEP_2)
	v_add_co_u32 v64, vcc_lo, v58, v196
	s_wait_alu 0xfffd
	v_add_co_ci_u32_e64 v65, null, 0, v59, vcc_lo
	s_clause 0x1
	global_load_b128 v[56:59], v[56:57], off offset:128
	global_load_b128 v[64:67], v[64:65], off
	s_wait_loadcnt 0x2
	ds_store_b128 v205, v[60:63]
	s_wait_loadcnt 0x1
	ds_store_b128 v206, v[56:59]
	v_add_co_u32 v56, vcc_lo, s2, v193
	s_wait_alu 0xfffd
	v_add_co_ci_u32_e64 v57, null, s3, v194, vcc_lo
	s_delay_alu instid0(VALU_DEP_2) | instskip(SKIP_1) | instid1(VALU_DEP_2)
	v_add_co_u32 v56, vcc_lo, v56, v196
	s_wait_alu 0xfffd
	v_add_co_ci_u32_e64 v57, null, 0, v57, vcc_lo
	v_add_co_u32 v58, vcc_lo, s2, v153
	s_wait_alu 0xfffd
	v_add_co_ci_u32_e64 v59, null, s3, v154, vcc_lo
	s_delay_alu instid0(VALU_DEP_2) | instskip(SKIP_1) | instid1(VALU_DEP_2)
	v_add_co_u32 v60, vcc_lo, v58, v196
	s_wait_alu 0xfffd
	v_add_co_ci_u32_e64 v61, null, 0, v59, vcc_lo
	s_clause 0x1
	global_load_b128 v[56:59], v[56:57], off
	global_load_b128 v[60:63], v[60:61], off
	s_wait_loadcnt 0x2
	ds_store_b128 v207, v[64:67]
	s_wait_loadcnt 0x1
	ds_store_b128 v208, v[56:59]
	v_add_co_u32 v56, vcc_lo, s2, v179
	s_wait_alu 0xfffd
	v_add_co_ci_u32_e64 v57, null, s3, v180, vcc_lo
	s_mul_u64 s[2:3], s[92:93], s[34:35]
	v_add_co_u32 v56, vcc_lo, v56, v196
	s_wait_alu 0xfffd
	v_add_co_ci_u32_e64 v57, null, 0, v57, vcc_lo
	s_wait_alu 0xfffe
	s_lshl_b64 s[2:3], s[2:3], 2
	s_add_co_i32 s92, s92, 64
	s_wait_alu 0xfffe
	s_add_nc_u64 s[4:5], s[76:77], s[2:3]
	global_load_b128 v[56:59], v[56:57], off
	s_cmp_lt_i32 s94, s0
	s_wait_loadcnt 0x1
	ds_store_b128 v209, v[60:63]
	s_wait_loadcnt 0x0
	ds_store_b128 v211, v[56:59]
	s_wait_storecnt_dscnt 0x0
	s_barrier_signal -1
	s_barrier_wait -1
	global_inv scope:SCOPE_SE
	ds_load_b128 v[56:59], v252
	ds_load_b128 v[71:74], v252 offset:32
	s_wait_dscnt 0x1
	v_wmma_f32_16x16x16_f16 v[63:70], v[56:59], v[52:55], 0
	s_wait_dscnt 0x0
	s_delay_alu instid0(VALU_DEP_1)
	v_wmma_f32_16x16x16_f16 v[63:70], v[71:74], v[48:51], v[63:70]
	ds_load_b128 v[56:59], v252 offset:64
	ds_load_b128 v[71:74], v252 offset:96
	s_wait_dscnt 0x1
	v_wmma_f32_16x16x16_f16 v[63:70], v[56:59], v[44:47], v[63:70]
	s_wait_dscnt 0x0
	s_delay_alu instid0(VALU_DEP_1)
	v_wmma_f32_16x16x16_f16 v[63:70], v[71:74], v[40:43], v[63:70]
	ds_load_b128 v[56:59], v252 offset:128
	ds_load_b128 v[71:74], v252 offset:160
	s_wait_dscnt 0x1
	v_wmma_f32_16x16x16_f16 v[63:70], v[56:59], v[36:39], v[63:70]
	ds_load_b128 v[56:59], v252 offset:192
	ds_load_b128 v[79:82], v252 offset:3840
	;; [unrolled: 1-line block ×22, first 2 shown]
	s_wait_loadcnt_dscnt 0x0
	s_barrier_signal -1
	v_wmma_f32_16x16x16_f16 v[63:70], v[71:74], v[32:35], v[63:70]
	s_barrier_wait -1
	global_inv scope:SCOPE_SE
	v_wmma_f32_16x16x16_f16 v[63:70], v[56:59], v[28:31], v[63:70]
	v_add_nc_u32_e32 v56, 0x3c00, v213
	v_add_nc_u32_e32 v58, 0x3c00, v221
	ds_load_2addr_b32 v[56:57], v56 offset1:1
	ds_load_2addr_b32 v[181:182], v58 offset1:1
	ds_load_b32 v58, v214 offset:15360
	ds_load_b32 v60, v213 offset:15368
	s_wait_dscnt 0x3
	v_cvt_f32_f16_e32 v59, v56
	v_lshrrev_b32_e32 v56, 16, v56
	s_wait_dscnt 0x1
	v_lshrrev_b32_e32 v61, 16, v58
	s_wait_dscnt 0x0
	v_cvt_f32_f16_e32 v71, v60
	v_lshrrev_b32_e32 v60, 16, v60
	v_cvt_f32_f16_e32 v58, v58
	v_cvt_f32_f16_e32 v56, v56
	;; [unrolled: 1-line block ×3, first 2 shown]
	v_add_f32_e32 v67, v67, v71
	v_cvt_f32_f16_e32 v72, v60
	s_delay_alu instid0(VALU_DEP_4) | instskip(NEXT) | instid1(VALU_DEP_4)
	v_dual_add_f32 v60, v63, v59 :: v_dual_add_f32 v61, v64, v56
	v_dual_add_f32 v59, v69, v58 :: v_dual_add_f32 v58, v70, v73
	s_delay_alu instid0(VALU_DEP_3) | instskip(SKIP_4) | instid1(VALU_DEP_4)
	v_add_f32_e32 v64, v68, v72
	v_wmma_f32_16x16x16_f16 v[71:78], v[79:82], v[52:55], 0
	v_cvt_f32_f16_e32 v62, v57
	v_lshrrev_b32_e32 v57, 16, v57
	v_add_nc_u32_e32 v56, 0x3c00, v125
	v_wmma_f32_16x16x16_f16 v[71:78], v[83:86], v[48:51], v[71:78]
	v_add_nc_u32_e32 v68, 0x3c00, v203
	v_add_nc_u32_e32 v80, 0x3c00, v184
	v_cvt_f32_f16_e32 v57, v57
	v_dual_add_f32 v62, v65, v62 :: v_dual_add_nc_u32 v81, 0x3c00, v251
	v_wmma_f32_16x16x16_f16 v[71:78], v[87:90], v[44:47], v[71:78]
	v_lshrrev_b32_e32 v79, 16, v182
	s_delay_alu instid0(VALU_DEP_4)
	v_add_f32_e32 v63, v66, v57
	ds_load_2addr_b32 v[56:57], v56 offset1:1
	ds_load_2addr_b32 v[68:69], v68 offset1:1
	;; [unrolled: 1-line block ×4, first 2 shown]
	v_lshrrev_b32_e32 v66, 16, v181
	v_wmma_f32_16x16x16_f16 v[71:78], v[91:94], v[40:43], v[71:78]
	v_cvt_f32_f16_e32 v79, v79
	v_cvt_f32_f16_e64 v65, v181
	v_cvt_f32_f16_e64 v70, v182
	v_cvt_f32_f16_e32 v66, v66
	v_wmma_f32_16x16x16_f16 v[71:78], v[95:98], v[36:39], v[71:78]
	v_wmma_f32_16x16x16_f16 v[91:98], v[139:142], v[52:55], 0
	s_delay_alu instid0(VALU_DEP_2) | instskip(NEXT) | instid1(VALU_DEP_2)
	v_wmma_f32_16x16x16_f16 v[71:78], v[99:102], v[32:35], v[71:78]
	v_wmma_f32_16x16x16_f16 v[91:98], v[143:146], v[48:51], v[91:98]
	s_wait_dscnt 0x3
	v_cvt_f32_f16_e32 v80, v56
	s_delay_alu instid0(VALU_DEP_2)
	v_wmma_f32_16x16x16_f16 v[91:98], v[147:150], v[44:47], v[91:98]
	v_lshrrev_b32_e32 v56, 16, v56
	v_lshrrev_b32_e32 v81, 16, v57
	v_wmma_f32_16x16x16_f16 v[71:78], v[103:106], v[28:31], v[71:78]
	v_cvt_f32_f16_e32 v57, v57
	v_wmma_f32_16x16x16_f16 v[91:98], v[242:245], v[40:43], v[91:98]
	s_clause 0x1
	scratch_load_b64 v[244:245], off, off offset:8
	scratch_load_b64 v[242:243], off, off
	v_cvt_f32_f16_e32 v56, v56
	v_cvt_f32_f16_e32 v81, v81
	v_add_f32_e32 v90, v75, v80
	v_wmma_f32_16x16x16_f16 v[91:98], v[222:225], v[36:39], v[91:98]
	v_add_f32_e32 v65, v71, v65
	v_add_f32_e32 v87, v76, v56
	;; [unrolled: 1-line block ×3, first 2 shown]
	s_wait_dscnt 0x2
	v_cvt_f32_f16_e32 v56, v68
	v_wmma_f32_16x16x16_f16 v[91:98], v[226:229], v[32:35], v[91:98]
	s_wait_dscnt 0x1
	v_lshrrev_b32_e32 v71, 16, v84
	v_add_f32_e32 v73, v73, v70
	v_cvt_f32_f16_e32 v70, v84
	v_cvt_f32_f16_e32 v84, v85
	v_wmma_f32_16x16x16_f16 v[91:98], v[185:188], v[28:31], v[91:98]
	v_add_f32_e32 v82, v74, v79
	v_add_f32_e32 v86, v77, v57
	v_wmma_f32_16x16x16_f16 v[74:81], v[107:110], v[52:55], 0
	v_lshrrev_b32_e32 v57, 16, v68
	v_add_f32_e32 v66, v72, v66
	v_lshrrev_b32_e32 v72, 16, v85
	s_delay_alu instid0(VALU_DEP_4)
	v_wmma_f32_16x16x16_f16 v[74:81], v[111:114], v[48:51], v[74:81]
	v_cvt_f32_f16_e32 v68, v69
	v_cvt_f32_f16_e32 v57, v57
	v_lshrrev_b32_e32 v69, 16, v69
	v_cvt_f32_f16_e32 v72, v72
	v_wmma_f32_16x16x16_f16 v[74:81], v[115:118], v[44:47], v[74:81]
	v_cvt_f32_f16_e32 v71, v71
	s_delay_alu instid0(VALU_DEP_4) | instskip(NEXT) | instid1(VALU_DEP_3)
	v_cvt_f32_f16_e32 v69, v69
	v_wmma_f32_16x16x16_f16 v[74:81], v[119:122], v[40:43], v[74:81]
	s_delay_alu instid0(VALU_DEP_1) | instskip(NEXT) | instid1(VALU_DEP_1)
	v_wmma_f32_16x16x16_f16 v[74:81], v[127:130], v[36:39], v[74:81]
	v_wmma_f32_16x16x16_f16 v[74:81], v[131:134], v[32:35], v[74:81]
	s_delay_alu instid0(VALU_DEP_1) | instskip(NEXT) | instid1(VALU_DEP_1)
	v_wmma_f32_16x16x16_f16 v[74:81], v[135:138], v[28:31], v[74:81]
	v_add_f32_e32 v74, v74, v56
	v_add_nc_u32_e32 v56, 0x3c00, v253
	s_delay_alu instid0(VALU_DEP_3) | instskip(NEXT) | instid1(VALU_DEP_4)
	v_add_f32_e32 v75, v75, v57
	v_add_f32_e32 v199, v81, v72
	v_dual_add_f32 v118, v76, v68 :: v_dual_add_f32 v119, v77, v69
	ds_load_2addr_b32 v[56:57], v56 offset1:1
	s_wait_dscnt 0x1
	v_lshrrev_b32_e32 v69, 16, v88
	v_cvt_f32_f16_e32 v68, v88
	v_add_f32_e32 v212, v79, v71
	v_lshrrev_b32_e32 v71, 16, v89
	v_add_f32_e32 v220, v78, v70
	v_cvt_f32_f16_e32 v69, v69
	v_add_f32_e32 v120, v91, v68
	v_cvt_f32_f16_e32 v70, v89
	v_cvt_f32_f16_e32 v71, v71
	v_add_f32_e32 v210, v80, v84
	s_delay_alu instid0(VALU_DEP_3) | instskip(NEXT) | instid1(VALU_DEP_3)
	v_add_f32_e32 v156, v93, v70
	v_add_f32_e32 v158, v94, v71
	s_wait_dscnt 0x0
	v_cvt_f32_f16_e32 v72, v56
	v_lshrrev_b32_e32 v56, 16, v56
	v_lshrrev_b32_e32 v76, 16, v57
	v_cvt_f32_f16_e32 v57, v57
	s_delay_alu instid0(VALU_DEP_4) | instskip(NEXT) | instid1(VALU_DEP_4)
	v_add_f32_e32 v197, v95, v72
	v_cvt_f32_f16_e32 v56, v56
	s_delay_alu instid0(VALU_DEP_4) | instskip(SKIP_1) | instid1(VALU_DEP_3)
	v_cvt_f32_f16_e32 v76, v76
	v_add_f32_e32 v124, v92, v69
	v_dual_add_f32 v191, v96, v56 :: v_dual_add_f32 v182, v97, v57
	s_delay_alu instid0(VALU_DEP_3)
	v_add_f32_e32 v181, v98, v76
	s_wait_loadcnt 0x0
	s_wait_alu 0xfffe
	v_add_co_u32 v56, vcc_lo, s4, v242
	s_wait_alu 0xfffd
	v_add_co_ci_u32_e64 v57, null, s5, v243, vcc_lo
	s_delay_alu instid0(VALU_DEP_2) | instskip(SKIP_1) | instid1(VALU_DEP_2)
	v_add_co_u32 v56, vcc_lo, v56, v159
	s_wait_alu 0xfffd
	v_add_co_ci_u32_e64 v57, null, 0, v57, vcc_lo
	v_add_co_u32 v68, vcc_lo, s4, v244
	s_wait_alu 0xfffd
	v_add_co_ci_u32_e64 v69, null, s5, v245, vcc_lo
	s_delay_alu instid0(VALU_DEP_2) | instskip(SKIP_1) | instid1(VALU_DEP_2)
	v_add_co_u32 v76, vcc_lo, v68, v195
	s_wait_alu 0xfffd
	v_add_co_ci_u32_e64 v77, null, 0, v69, vcc_lo
	s_clause 0x1
	global_load_b128 v[68:71], v[56:57], off offset:192
	global_load_b128 v[76:79], v[76:77], off offset:128
	v_add_co_u32 v56, vcc_lo, s4, v231
	s_wait_alu 0xfffd
	v_add_co_ci_u32_e64 v57, null, s5, v232, vcc_lo
	s_delay_alu instid0(VALU_DEP_2) | instskip(SKIP_1) | instid1(VALU_DEP_2)
	v_add_co_u32 v56, vcc_lo, v56, v195
	s_wait_alu 0xfffd
	v_add_co_ci_u32_e64 v57, null, 0, v57, vcc_lo
	s_wait_loadcnt 0x1
	ds_store_b128 v204, v[68:71]
	v_add_co_u32 v68, vcc_lo, s4, v177
	s_wait_alu 0xfffd
	v_add_co_ci_u32_e64 v69, null, s5, v178, vcc_lo
	s_delay_alu instid0(VALU_DEP_2) | instskip(SKIP_1) | instid1(VALU_DEP_2)
	v_add_co_u32 v80, vcc_lo, v68, v196
	s_wait_alu 0xfffd
	v_add_co_ci_u32_e64 v81, null, 0, v69, vcc_lo
	s_clause 0x1
	global_load_b128 v[68:71], v[56:57], off offset:128
	global_load_b128 v[91:94], v[80:81], off
	v_add_co_u32 v56, vcc_lo, s4, v246
	s_wait_alu 0xfffd
	v_add_co_ci_u32_e64 v57, null, s5, v247, vcc_lo
	s_wait_loadcnt 0x2
	ds_store_b128 v205, v[76:79]
	s_wait_loadcnt 0x1
	ds_store_b128 v206, v[68:71]
	v_add_co_u32 v56, vcc_lo, v56, v196
	s_wait_alu 0xfffd
	v_add_co_ci_u32_e64 v57, null, 0, v57, vcc_lo
	v_add_co_u32 v68, vcc_lo, s4, v236
	s_wait_alu 0xfffd
	v_add_co_ci_u32_e64 v69, null, s5, v237, vcc_lo
	s_delay_alu instid0(VALU_DEP_2) | instskip(SKIP_1) | instid1(VALU_DEP_2)
	v_add_co_u32 v76, vcc_lo, v68, v196
	s_wait_alu 0xfffd
	v_add_co_ci_u32_e64 v77, null, 0, v69, vcc_lo
	s_clause 0x1
	global_load_b128 v[68:71], v[56:57], off
	global_load_b128 v[76:79], v[76:77], off
	v_add_co_u32 v56, vcc_lo, s4, v200
	s_wait_alu 0xfffd
	v_add_co_ci_u32_e64 v57, null, s5, v201, vcc_lo
	s_wait_loadcnt 0x2
	ds_store_b128 v207, v[91:94]
	s_wait_loadcnt 0x1
	ds_store_b128 v208, v[68:71]
	v_add_co_u32 v56, vcc_lo, v56, v196
	s_wait_alu 0xfffd
	v_add_co_ci_u32_e64 v57, null, 0, v57, vcc_lo
	global_load_b128 v[68:71], v[56:57], off
	v_dual_add_f32 v56, 0x40051340, v60 :: v_dual_add_f32 v57, 0x40051340, v61
	s_wait_loadcnt 0x1
	ds_store_b128 v209, v[76:79]
	s_wait_loadcnt 0x0
	ds_store_b128 v211, v[68:71]
	v_dual_mov_b32 v68, v234 :: v_dual_add_f32 v69, 0x40051340, v63
	s_wait_dscnt 0x0
	s_barrier_signal -1
	s_barrier_wait -1
	s_delay_alu instid0(VALU_DEP_1)
	v_max3_num_f32 v56, v68, v56, v57
	v_add_f32_e32 v57, 0x40051340, v62
	global_inv scope:SCOPE_SE
	v_max3_num_f32 v56, v56, v57, v69
	v_add_f32_e32 v57, 0x40051340, v67
	v_add_f32_e32 v69, 0x40051340, v64
	s_delay_alu instid0(VALU_DEP_1) | instskip(SKIP_2) | instid1(VALU_DEP_1)
	v_max3_num_f32 v56, v56, v57, v69
	v_add_f32_e32 v57, 0x40051340, v59
	v_add_f32_e32 v69, 0x40051340, v58
	v_max3_num_f32 v56, v56, v57, v69
	v_add_f32_e32 v57, 0x40051340, v65
	v_add_f32_e32 v69, 0x40051340, v66
	s_delay_alu instid0(VALU_DEP_1) | instskip(SKIP_2) | instid1(VALU_DEP_1)
	v_max3_num_f32 v56, v56, v57, v69
	v_add_f32_e32 v57, 0x40051340, v73
	v_add_f32_e32 v69, 0x40051340, v82
	;; [unrolled: 7-line block ×7, first 2 shown]
	v_max3_num_f32 v56, v56, v57, v69
	ds_bpermute_b32 v57, v123, v56
	s_wait_dscnt 0x0
	v_max_num_f32_e32 v57, v57, v57
	s_delay_alu instid0(VALU_DEP_1) | instskip(NEXT) | instid1(VALU_DEP_1)
	v_max_num_f32_e32 v234, v56, v57
	v_sub_f32_e32 v56, v67, v234
	v_sub_f32_e32 v59, v59, v234
	;; [unrolled: 1-line block ×4, first 2 shown]
	s_delay_alu instid0(VALU_DEP_4) | instskip(SKIP_1) | instid1(VALU_DEP_4)
	v_dual_sub_f32 v60, v60, v234 :: v_dual_mul_f32 v57, 0x3fb8aa3b, v56
	v_cmp_ngt_f32_e64 s5, 0xc2ce8ed0, v56
	v_cmp_ngt_f32_e32 vcc_lo, 0xc2ce8ed0, v64
	s_delay_alu instid0(VALU_DEP_4) | instskip(SKIP_3) | instid1(VALU_DEP_2)
	v_cmp_ngt_f32_e64 s4, 0xc2ce8ed0, v58
	v_sub_f32_e32 v62, v62, v234
	v_fma_f32 v67, 0x3fb8aa3b, v56, -v57
	v_rndne_f32_e32 v69, v57
	v_fmac_f32_e32 v67, 0x32a5705f, v56
	s_delay_alu instid0(VALU_DEP_2) | instskip(SKIP_1) | instid1(VALU_DEP_2)
	v_sub_f32_e32 v57, v57, v69
	v_cvt_i32_f32_e32 v69, v69
	v_add_f32_e32 v57, v57, v67
	v_mul_f32_e32 v67, 0x3fb8aa3b, v64
	s_delay_alu instid0(VALU_DEP_2) | instskip(NEXT) | instid1(VALU_DEP_1)
	v_exp_f32_e32 v57, v57
	v_fma_f32 v70, 0x3fb8aa3b, v64, -v67
	v_rndne_f32_e32 v71, v67
	s_delay_alu instid0(VALU_DEP_1) | instskip(NEXT) | instid1(TRANS32_DEP_1)
	v_dual_fmac_f32 v70, 0x32a5705f, v64 :: v_dual_sub_f32 v67, v67, v71
	v_ldexp_f32 v57, v57, v69
	s_delay_alu instid0(VALU_DEP_2) | instskip(SKIP_1) | instid1(VALU_DEP_2)
	v_dual_add_f32 v67, v67, v70 :: v_dual_mul_f32 v70, 0x3fb8aa3b, v59
	s_wait_alu 0xf1ff
	v_cndmask_b32_e64 v57, 0, v57, s5
	v_cmp_nlt_f32_e64 s5, 0x42b17218, v56
	s_delay_alu instid0(VALU_DEP_3) | instskip(SKIP_4) | instid1(VALU_DEP_3)
	v_exp_f32_e32 v67, v67
	v_fma_f32 v72, 0x3fb8aa3b, v59, -v70
	v_rndne_f32_e32 v76, v70
	s_wait_alu 0xf1ff
	v_cndmask_b32_e64 v192, 0x7f800000, v57, s5
	v_fmac_f32_e32 v72, 0x32a5705f, v59
	s_delay_alu instid0(VALU_DEP_3) | instskip(SKIP_1) | instid1(VALU_DEP_4)
	v_sub_f32_e32 v70, v70, v76
	v_cvt_i32_f32_e32 v69, v76
	v_cvt_f16_f32_e64 v56, v192
	s_delay_alu instid0(VALU_DEP_3) | instskip(SKIP_1) | instid1(VALU_DEP_2)
	v_add_f32_e32 v70, v70, v72
	v_mul_f32_e32 v72, 0x3fb8aa3b, v58
	v_exp_f32_e32 v70, v70
	s_delay_alu instid0(VALU_DEP_1) | instskip(SKIP_1) | instid1(VALU_DEP_2)
	v_fma_f32 v77, 0x3fb8aa3b, v58, -v72
	v_rndne_f32_e32 v78, v72
	v_fmac_f32_e32 v77, 0x32a5705f, v58
	s_delay_alu instid0(VALU_DEP_2) | instskip(NEXT) | instid1(TRANS32_DEP_1)
	v_sub_f32_e32 v72, v72, v78
	v_ldexp_f32 v69, v70, v69
	v_cvt_i32_f32_e32 v70, v71
	s_delay_alu instid0(VALU_DEP_3) | instskip(NEXT) | instid1(VALU_DEP_2)
	v_add_f32_e32 v72, v72, v77
	v_ldexp_f32 v67, v67, v70
	s_delay_alu instid0(VALU_DEP_2) | instskip(SKIP_2) | instid1(VALU_DEP_2)
	v_exp_f32_e32 v71, v72
	v_cvt_i32_f32_e32 v70, v78
	s_wait_alu 0xfffd
	v_cndmask_b32_e32 v67, 0, v67, vcc_lo
	v_cmp_nlt_f32_e32 vcc_lo, 0x42b17218, v64
	s_delay_alu instid0(TRANS32_DEP_1) | instid1(VALU_DEP_3)
	v_ldexp_f32 v70, v71, v70
	s_wait_alu 0xfffd
	s_delay_alu instid0(VALU_DEP_3) | instskip(SKIP_2) | instid1(VALU_DEP_1)
	v_cndmask_b32_e32 v240, 0x7f800000, v67, vcc_lo
	v_cmp_ngt_f32_e64 s3, 0xc2ce8ed0, v59
	s_wait_alu 0xf1ff
	v_cndmask_b32_e64 v64, 0, v69, s3
	v_cmp_nlt_f32_e64 s3, 0x42b17218, v59
	v_cndmask_b32_e64 v59, 0, v70, s4
	v_cmp_nlt_f32_e64 s4, 0x42b17218, v58
	s_wait_alu 0xf1ff
	s_delay_alu instid0(VALU_DEP_3) | instskip(SKIP_1) | instid1(VALU_DEP_3)
	v_cndmask_b32_e64 v226, 0x7f800000, v64, s3
	v_cvt_f16_f32_e64 v64, v240
	v_cndmask_b32_e64 v230, 0x7f800000, v59, s4
	v_cmp_ngt_f32_e64 s3, 0xc2ce8ed0, v62
	s_delay_alu instid0(VALU_DEP_4) | instskip(NEXT) | instid1(VALU_DEP_3)
	v_cvt_f16_f32_e64 v57, v226
	v_cvt_f16_f32_e64 v58, v230
	s_delay_alu instid0(VALU_DEP_1) | instskip(SKIP_2) | instid1(VALU_DEP_1)
	v_pack_b32_f16 v59, v57, v58
	v_pack_b32_f16 v58, v56, v64
	v_sub_f32_e32 v56, v63, v234
	v_mul_f32_e32 v57, 0x3fb8aa3b, v56
	v_cmp_ngt_f32_e32 vcc_lo, 0xc2ce8ed0, v56
	s_delay_alu instid0(VALU_DEP_2) | instskip(SKIP_1) | instid1(VALU_DEP_2)
	v_fma_f32 v63, 0x3fb8aa3b, v56, -v57
	v_rndne_f32_e32 v64, v57
	v_fmac_f32_e32 v63, 0x32a5705f, v56
	s_delay_alu instid0(VALU_DEP_2) | instskip(SKIP_1) | instid1(VALU_DEP_2)
	v_sub_f32_e32 v57, v57, v64
	v_cvt_i32_f32_e32 v64, v64
	v_add_f32_e32 v57, v57, v63
	v_mul_f32_e32 v63, 0x3fb8aa3b, v62
	s_delay_alu instid0(VALU_DEP_2) | instskip(NEXT) | instid1(VALU_DEP_1)
	v_exp_f32_e32 v57, v57
	v_fma_f32 v67, 0x3fb8aa3b, v62, -v63
	v_rndne_f32_e32 v69, v63
	s_delay_alu instid0(VALU_DEP_2) | instskip(NEXT) | instid1(VALU_DEP_2)
	v_fmac_f32_e32 v67, 0x32a5705f, v62
	v_sub_f32_e32 v63, v63, v69
	s_delay_alu instid0(TRANS32_DEP_1) | instskip(SKIP_1) | instid1(VALU_DEP_3)
	v_ldexp_f32 v57, v57, v64
	v_cvt_i32_f32_e32 v64, v69
	v_add_f32_e32 v63, v63, v67
	s_wait_alu 0xfffd
	s_delay_alu instid0(VALU_DEP_3) | instskip(SKIP_1) | instid1(VALU_DEP_3)
	v_cndmask_b32_e32 v57, 0, v57, vcc_lo
	v_cmp_nlt_f32_e32 vcc_lo, 0x42b17218, v56
	v_exp_f32_e32 v63, v63
	s_wait_alu 0xfffd
	s_delay_alu instid0(VALU_DEP_2) | instskip(NEXT) | instid1(VALU_DEP_1)
	v_cndmask_b32_e32 v254, 0x7f800000, v57, vcc_lo
	v_cvt_f16_f32_e64 v57, v254
	s_delay_alu instid0(TRANS32_DEP_1) | instskip(SKIP_1) | instid1(VALU_DEP_1)
	v_ldexp_f32 v63, v63, v64
	s_wait_alu 0xf1ff
	v_cndmask_b32_e64 v56, 0, v63, s3
	v_cmp_nlt_f32_e64 s3, 0x42b17218, v62
	s_wait_alu 0xf1ff
	s_delay_alu instid0(VALU_DEP_1) | instskip(SKIP_1) | instid1(VALU_DEP_2)
	v_cndmask_b32_e64 v251, 0x7f800000, v56, s3
	v_cmp_ngt_f32_e64 s3, 0xc2ce8ed0, v60
	v_cvt_f16_f32_e64 v56, v251
	s_delay_alu instid0(VALU_DEP_1) | instskip(SKIP_1) | instid1(VALU_DEP_1)
	v_pack_b32_f16 v57, v56, v57
	v_sub_f32_e32 v56, v61, v234
	v_mul_f32_e32 v61, 0x3fb8aa3b, v56
	v_cmp_ngt_f32_e32 vcc_lo, 0xc2ce8ed0, v56
	s_delay_alu instid0(VALU_DEP_2) | instskip(SKIP_1) | instid1(VALU_DEP_1)
	v_fma_f32 v62, 0x3fb8aa3b, v56, -v61
	v_rndne_f32_e32 v63, v61
	v_dual_fmac_f32 v62, 0x32a5705f, v56 :: v_dual_sub_f32 v61, v61, v63
	v_cvt_i32_f32_e32 v63, v63
	s_delay_alu instid0(VALU_DEP_2) | instskip(NEXT) | instid1(VALU_DEP_1)
	v_dual_add_f32 v61, v61, v62 :: v_dual_mul_f32 v62, 0x3fb8aa3b, v60
	v_exp_f32_e32 v61, v61
	s_delay_alu instid0(VALU_DEP_1) | instskip(SKIP_1) | instid1(VALU_DEP_2)
	v_fma_f32 v64, 0x3fb8aa3b, v60, -v62
	v_rndne_f32_e32 v67, v62
	v_fmac_f32_e32 v64, 0x32a5705f, v60
	s_delay_alu instid0(VALU_DEP_2) | instskip(NEXT) | instid1(TRANS32_DEP_1)
	v_sub_f32_e32 v62, v62, v67
	v_ldexp_f32 v61, v61, v63
	v_cvt_i32_f32_e32 v63, v67
	s_wait_alu 0xfffd
	s_delay_alu instid0(VALU_DEP_2) | instskip(SKIP_1) | instid1(VALU_DEP_2)
	v_dual_add_f32 v62, v62, v64 :: v_dual_cndmask_b32 v61, 0, v61
	v_cmp_nlt_f32_e32 vcc_lo, 0x42b17218, v56
	v_exp_f32_e32 v62, v62
	s_wait_alu 0xfffd
	s_delay_alu instid0(VALU_DEP_2) | instskip(NEXT) | instid1(TRANS32_DEP_1)
	v_cndmask_b32_e32 v218, 0x7f800000, v61, vcc_lo
	v_ldexp_f32 v62, v62, v63
	s_wait_alu 0xf1ff
	s_delay_alu instid0(VALU_DEP_1) | instskip(SKIP_3) | instid1(VALU_DEP_2)
	v_cndmask_b32_e64 v56, 0, v62, s3
	v_cmp_nlt_f32_e64 s3, 0x42b17218, v60
	v_cvt_f16_f32_e64 v60, v218
	s_wait_alu 0xf1ff
	v_cndmask_b32_e64 v185, 0x7f800000, v56, s3
	s_delay_alu instid0(VALU_DEP_1) | instskip(NEXT) | instid1(VALU_DEP_1)
	v_cvt_f16_f32_e64 v56, v185
	v_pack_b32_f16 v56, v56, v60
	v_sub_f32_e32 v60, v68, v234
	s_delay_alu instid0(VALU_DEP_1) | instskip(SKIP_1) | instid1(VALU_DEP_2)
	v_mul_f32_e32 v61, 0x3fb8aa3b, v60
	v_cmp_ngt_f32_e32 vcc_lo, 0xc2ce8ed0, v60
	v_fma_f32 v62, 0x3fb8aa3b, v60, -v61
	v_rndne_f32_e32 v63, v61
	s_delay_alu instid0(VALU_DEP_1) | instskip(NEXT) | instid1(VALU_DEP_1)
	v_dual_fmac_f32 v62, 0x32a5705f, v60 :: v_dual_sub_f32 v61, v61, v63
	v_add_f32_e32 v61, v61, v62
	v_cvt_i32_f32_e32 v62, v63
	s_delay_alu instid0(VALU_DEP_2) | instskip(NEXT) | instid1(TRANS32_DEP_1)
	v_exp_f32_e32 v61, v61
	v_ldexp_f32 v61, v61, v62
	s_wait_alu 0xfffd
	s_delay_alu instid0(VALU_DEP_1) | instskip(SKIP_2) | instid1(VALU_DEP_2)
	v_cndmask_b32_e32 v61, 0, v61, vcc_lo
	v_cmp_nlt_f32_e32 vcc_lo, 0x42b17218, v60
	s_wait_alu 0xfffd
	v_cndmask_b32_e32 v61, 0x7f800000, v61, vcc_lo
	v_cmp_le_f32_e32 vcc_lo, 0xc1a00000, v60
	s_wait_alu 0xfffd
	s_delay_alu instid0(VALU_DEP_2)
	v_cndmask_b32_e32 v183, 0, v61, vcc_lo
	ds_load_u16 v77, v215 offset:128
	ds_load_u16 v80, v216 offset:128
	;; [unrolled: 1-line block ×18, first 2 shown]
	s_wait_dscnt 0x11
	ds_load_u16_d16_hi v77, v215 offset:368
	s_wait_dscnt 0xf
	ds_load_u16_d16_hi v97, v215 offset:400
	;; [unrolled: 2-line block ×3, first 2 shown]
	ds_load_u16 v105, v215 offset:64
	ds_load_u16 v110, v215 offset:512
	s_wait_dscnt 0x8
	ds_load_u16_d16_hi v68, v215 offset:336
	ds_load_u16_d16_hi v80, v217 offset:128
	;; [unrolled: 1-line block ×4, first 2 shown]
	s_wait_dscnt 0xb
	ds_load_u16_d16_hi v67, v217 offset:3840
	ds_load_u16_d16_hi v61, v215 offset:720
	ds_load_u16 v96, v216 offset:4032
	ds_load_u16 v88, v216 offset:3872
	;; [unrolled: 1-line block ×7, first 2 shown]
	s_wait_dscnt 0x5
	ds_load_u16_d16_hi v88, v217 offset:3872
	s_wait_dscnt 0x5
	ds_load_u16_d16_hi v84, v217 offset:3904
	;; [unrolled: 2-line block ×4, first 2 shown]
	ds_load_u16 v111, v215 offset:992
	ds_load_u16 v107, v215 offset:1024
	ds_load_u16_d16_hi v110, v215 offset:752
	ds_load_u16 v69, v215 offset:576
	ds_load_u16_d16_hi v78, v215 offset:848
	ds_load_u16_d16_hi v98, v215 offset:880
	;; [unrolled: 1-line block ×3, first 2 shown]
	ds_load_u16 v106, v215 offset:544
	ds_load_u16_d16_hi v62, v215 offset:1200
	v_cvt_f16_f32_e64 v60, v183
	s_wait_dscnt 0x8
	ds_load_u16_d16_hi v111, v215 offset:1232
	s_wait_dscnt 0x8
	ds_load_u16_d16_hi v107, v215 offset:1264
	ds_load_u16_d16_hi v70, v215 offset:1296
	ds_load_u16 v64, v215 offset:3840
	ds_load_u16_d16_hi v79, v215 offset:1328
	ds_load_u16_d16_hi v99, v215 offset:1360
	s_wait_dscnt 0xb
	ds_load_u16_d16_hi v69, v215 offset:816
	ds_load_u16_d16_hi v103, v215 offset:1392
	ds_load_u16 v85, v215 offset:3872
	ds_load_u16 v81, v215 offset:3904
	;; [unrolled: 1-line block ×4, first 2 shown]
	v_and_b32_e32 v60, 0xffff, v60
	s_delay_alu instid0(VALU_DEP_1)
	v_mul_u32_u24_e32 v91, 0x10001, v60
	ds_load_u16 v60, v215
	ds_load_u16 v109, v215 offset:32
	ds_load_u16 v112, v216 offset:32
	ds_load_u16 v108, v216 offset:64
	ds_load_u16 v63, v216
	v_pk_mul_f16 v8, v8, v91
	v_pk_mul_f16 v9, v9, v91
	;; [unrolled: 1-line block ×8, first 2 shown]
	s_wait_dscnt 0xc
	v_wmma_f16_16x16x16_f16 v[8:11], v[77:80], v[56:59], v[8:11]
	v_pk_mul_f16 v4, v4, v91
	v_pk_mul_f16 v5, v5, v91
	;; [unrolled: 1-line block ×3, first 2 shown]
	s_wait_dscnt 0x9
	v_wmma_f16_16x16x16_f16 v[0:3], v[101:104], v[56:59], v[0:3]
	s_wait_dscnt 0x4
	ds_load_u16_d16_hi v60, v215 offset:240
	s_wait_dscnt 0x4
	ds_load_u16_d16_hi v109, v215 offset:272
	ds_load_u16_d16_hi v105, v215 offset:304
	ds_load_u16 v77, v215 offset:12640
	ds_load_u16 v101, v215 offset:12608
	v_pk_mul_f16 v7, v7, v91
	v_pk_mul_f16 v24, v24, v91
	v_pk_mul_f16 v25, v25, v91
	v_pk_mul_f16 v26, v26, v91
	v_pk_mul_f16 v27, v27, v91
	v_wmma_f16_16x16x16_f16 v[4:7], v[97:100], v[56:59], v[4:7]
	s_wait_dscnt 0x1
	ds_load_u16_d16_hi v77, v215 offset:12880
	ds_load_u16_d16_hi v63, v217
	ds_load_u16 v97, v215 offset:12544
	ds_load_u16 v117, v215 offset:12576
	s_wait_dscnt 0x1
	ds_load_u16_d16_hi v97, v215 offset:12784
	s_wait_dscnt 0x1
	ds_load_u16_d16_hi v117, v215 offset:12816
	ds_load_u16_d16_hi v101, v215 offset:12848
	ds_load_u16 v121, v215 offset:12480
	s_wait_dscnt 0x0
	ds_load_u16_d16_hi v121, v215 offset:12720
	ds_load_u16 v79, v215 offset:12672
	s_wait_dscnt 0x0
	ds_load_u16_d16_hi v79, v215 offset:12912
	ds_load_u16_d16_hi v112, v217 offset:32
	;; [unrolled: 1-line block ×4, first 2 shown]
	ds_load_u16 v80, v216 offset:11712
	ds_load_u16_d16_hi v106, v215 offset:784
	v_pk_mul_f16 v20, v20, v91
	v_pk_mul_f16 v21, v21, v91
	;; [unrolled: 1-line block ×12, first 2 shown]
	v_wmma_f16_16x16x16_f16 v[24:27], v[60:63], v[56:59], v[24:27]
	s_wait_dscnt 0x4
	v_wmma_f16_16x16x16_f16 v[20:23], v[109:112], v[56:59], v[20:23]
	s_wait_dscnt 0x2
	;; [unrolled: 2-line block ×3, first 2 shown]
	v_wmma_f16_16x16x16_f16 v[16:19], v[105:108], v[56:59], v[16:19]
	v_sub_f32_e32 v56, v90, v234
	s_delay_alu instid0(VALU_DEP_1) | instskip(SKIP_1) | instid1(VALU_DEP_2)
	v_mul_f32_e32 v57, 0x3fb8aa3b, v56
	v_cmp_ngt_f32_e64 s5, 0xc2ce8ed0, v56
	v_fma_f32 v58, 0x3fb8aa3b, v56, -v57
	v_rndne_f32_e32 v59, v57
	s_delay_alu instid0(VALU_DEP_1) | instskip(SKIP_1) | instid1(VALU_DEP_2)
	v_dual_fmac_f32 v58, 0x32a5705f, v56 :: v_dual_sub_f32 v57, v57, v59
	v_cvt_i32_f32_e32 v59, v59
	v_add_f32_e32 v57, v57, v58
	v_sub_f32_e32 v58, v87, v234
	s_delay_alu instid0(VALU_DEP_2) | instskip(NEXT) | instid1(VALU_DEP_1)
	v_exp_f32_e32 v57, v57
	v_mul_f32_e32 v60, 0x3fb8aa3b, v58
	v_cmp_ngt_f32_e32 vcc_lo, 0xc2ce8ed0, v58
	s_delay_alu instid0(VALU_DEP_2) | instskip(SKIP_1) | instid1(TRANS32_DEP_1)
	v_fma_f32 v61, 0x3fb8aa3b, v58, -v60
	v_rndne_f32_e32 v62, v60
	v_ldexp_f32 v57, v57, v59
	s_delay_alu instid0(VALU_DEP_3) | instskip(NEXT) | instid1(VALU_DEP_3)
	v_fmac_f32_e32 v61, 0x32a5705f, v58
	v_sub_f32_e32 v60, v60, v62
	v_cvt_i32_f32_e32 v62, v62
	s_wait_alu 0xf1ff
	v_cndmask_b32_e64 v57, 0, v57, s5
	v_cmp_nlt_f32_e64 s5, 0x42b17218, v56
	v_dual_add_f32 v60, v60, v61 :: v_dual_sub_f32 v61, v86, v234
	s_wait_alu 0xf1ff
	s_delay_alu instid0(VALU_DEP_2) | instskip(NEXT) | instid1(VALU_DEP_2)
	v_cndmask_b32_e64 v127, 0x7f800000, v57, s5
	v_exp_f32_e32 v60, v60
	s_delay_alu instid0(VALU_DEP_2) | instskip(SKIP_1) | instid1(VALU_DEP_3)
	v_mul_f32_e32 v63, 0x3fb8aa3b, v61
	v_cmp_ngt_f32_e64 s3, 0xc2ce8ed0, v61
	v_cvt_f16_f32_e32 v56, v127
	s_delay_alu instid0(VALU_DEP_3) | instskip(SKIP_1) | instid1(TRANS32_DEP_1)
	v_fma_f32 v68, 0x3fb8aa3b, v61, -v63
	v_rndne_f32_e32 v69, v63
	v_ldexp_f32 v60, v60, v62
	s_delay_alu instid0(VALU_DEP_3) | instskip(NEXT) | instid1(VALU_DEP_3)
	v_fmac_f32_e32 v68, 0x32a5705f, v61
	v_sub_f32_e32 v63, v63, v69
	v_cvt_i32_f32_e32 v59, v69
	s_wait_alu 0xfffd
	v_cndmask_b32_e32 v60, 0, v60, vcc_lo
	v_cmp_nlt_f32_e32 vcc_lo, 0x42b17218, v58
	v_add_f32_e32 v63, v63, v68
	v_sub_f32_e32 v68, v83, v234
	s_wait_alu 0xfffd
	v_cndmask_b32_e32 v130, 0x7f800000, v60, vcc_lo
	s_delay_alu instid0(VALU_DEP_3) | instskip(NEXT) | instid1(VALU_DEP_2)
	v_exp_f32_e32 v63, v63
	v_mul_f32_e32 v70, 0x3fb8aa3b, v68
	v_cmp_ngt_f32_e64 s4, 0xc2ce8ed0, v68
	s_delay_alu instid0(VALU_DEP_3) | instskip(NEXT) | instid1(VALU_DEP_3)
	v_cvt_f16_f32_e64 v60, v130
	v_fma_f32 v71, 0x3fb8aa3b, v68, -v70
	v_rndne_f32_e32 v78, v70
	s_delay_alu instid0(TRANS32_DEP_1) | instskip(NEXT) | instid1(VALU_DEP_2)
	v_ldexp_f32 v59, v63, v59
	v_dual_fmac_f32 v71, 0x32a5705f, v68 :: v_dual_sub_f32 v70, v70, v78
	v_cvt_i32_f32_e32 v62, v78
	s_wait_alu 0xf1ff
	s_delay_alu instid0(VALU_DEP_3) | instskip(SKIP_3) | instid1(VALU_DEP_2)
	v_cndmask_b32_e64 v58, 0, v59, s3
	v_cmp_nlt_f32_e64 s3, 0x42b17218, v61
	v_add_f32_e32 v70, v70, v71
	s_wait_alu 0xf1ff
	v_cndmask_b32_e64 v128, 0x7f800000, v58, s3
	s_delay_alu instid0(VALU_DEP_2) | instskip(NEXT) | instid1(VALU_DEP_1)
	v_exp_f32_e32 v63, v70
	v_cvt_f16_f32_e64 v57, v128
	s_delay_alu instid0(TRANS32_DEP_1) | instskip(NEXT) | instid1(VALU_DEP_1)
	v_ldexp_f32 v62, v63, v62
	v_cndmask_b32_e64 v59, 0, v62, s4
	v_cmp_nlt_f32_e64 s4, 0x42b17218, v68
	s_wait_alu 0xf1ff
	s_delay_alu instid0(VALU_DEP_1) | instskip(NEXT) | instid1(VALU_DEP_1)
	v_cndmask_b32_e64 v129, 0x7f800000, v59, s4
	v_cvt_f16_f32_e64 v58, v129
	s_delay_alu instid0(VALU_DEP_1) | instskip(SKIP_2) | instid1(VALU_DEP_1)
	v_pack_b32_f16 v59, v57, v58
	v_pack_b32_f16 v58, v56, v60
	v_sub_f32_e32 v56, v82, v234
	v_mul_f32_e32 v57, 0x3fb8aa3b, v56
	v_cmp_ngt_f32_e32 vcc_lo, 0xc2ce8ed0, v56
	s_delay_alu instid0(VALU_DEP_2) | instskip(SKIP_1) | instid1(VALU_DEP_1)
	v_fma_f32 v60, 0x3fb8aa3b, v56, -v57
	v_rndne_f32_e32 v61, v57
	v_dual_fmac_f32 v60, 0x32a5705f, v56 :: v_dual_sub_f32 v57, v57, v61
	v_cvt_i32_f32_e32 v61, v61
	s_delay_alu instid0(VALU_DEP_2) | instskip(SKIP_1) | instid1(VALU_DEP_2)
	v_add_f32_e32 v57, v57, v60
	v_sub_f32_e32 v60, v73, v234
	v_exp_f32_e32 v57, v57
	s_delay_alu instid0(VALU_DEP_1) | instskip(SKIP_1) | instid1(VALU_DEP_2)
	v_mul_f32_e32 v62, 0x3fb8aa3b, v60
	v_cmp_ngt_f32_e64 s3, 0xc2ce8ed0, v60
	v_fma_f32 v63, 0x3fb8aa3b, v60, -v62
	v_rndne_f32_e32 v68, v62
	s_delay_alu instid0(TRANS32_DEP_1) | instskip(NEXT) | instid1(VALU_DEP_3)
	v_ldexp_f32 v57, v57, v61
	v_fmac_f32_e32 v63, 0x32a5705f, v60
	s_delay_alu instid0(VALU_DEP_3)
	v_sub_f32_e32 v62, v62, v68
	v_cvt_i32_f32_e32 v61, v68
	s_wait_alu 0xfffd
	v_cndmask_b32_e32 v57, 0, v57, vcc_lo
	v_cmp_nlt_f32_e32 vcc_lo, 0x42b17218, v56
	v_add_f32_e32 v62, v62, v63
	s_wait_alu 0xfffd
	s_delay_alu instid0(VALU_DEP_3) | instskip(NEXT) | instid1(VALU_DEP_2)
	v_cndmask_b32_e32 v132, 0x7f800000, v57, vcc_lo
	v_exp_f32_e32 v62, v62
	s_delay_alu instid0(VALU_DEP_1) | instskip(NEXT) | instid1(TRANS32_DEP_1)
	v_cvt_f16_f32_e64 v57, v132
	v_ldexp_f32 v61, v62, v61
	s_wait_alu 0xf1ff
	s_delay_alu instid0(VALU_DEP_1) | instskip(SKIP_2) | instid1(VALU_DEP_1)
	v_cndmask_b32_e64 v56, 0, v61, s3
	v_cmp_nlt_f32_e64 s3, 0x42b17218, v60
	s_wait_alu 0xf1ff
	v_cndmask_b32_e64 v131, 0x7f800000, v56, s3
	s_delay_alu instid0(VALU_DEP_1) | instskip(NEXT) | instid1(VALU_DEP_1)
	v_cvt_f16_f32_e64 v56, v131
	v_pack_b32_f16 v57, v56, v57
	v_sub_f32_e32 v56, v66, v234
	s_delay_alu instid0(VALU_DEP_1) | instskip(SKIP_1) | instid1(VALU_DEP_2)
	v_mul_f32_e32 v60, 0x3fb8aa3b, v56
	v_cmp_ngt_f32_e32 vcc_lo, 0xc2ce8ed0, v56
	v_fma_f32 v61, 0x3fb8aa3b, v56, -v60
	v_rndne_f32_e32 v62, v60
	s_delay_alu instid0(VALU_DEP_1) | instskip(SKIP_1) | instid1(VALU_DEP_2)
	v_dual_fmac_f32 v61, 0x32a5705f, v56 :: v_dual_sub_f32 v60, v60, v62
	v_cvt_i32_f32_e32 v62, v62
	v_dual_add_f32 v60, v60, v61 :: v_dual_sub_f32 v61, v65, v234
	s_delay_alu instid0(VALU_DEP_1) | instskip(NEXT) | instid1(VALU_DEP_1)
	v_exp_f32_e32 v60, v60
	v_mul_f32_e32 v63, 0x3fb8aa3b, v61
	v_cmp_ngt_f32_e64 s3, 0xc2ce8ed0, v61
	s_delay_alu instid0(VALU_DEP_2) | instskip(SKIP_1) | instid1(TRANS32_DEP_1)
	v_fma_f32 v65, 0x3fb8aa3b, v61, -v63
	v_rndne_f32_e32 v66, v63
	v_ldexp_f32 v60, v60, v62
	s_delay_alu instid0(VALU_DEP_3) | instskip(NEXT) | instid1(VALU_DEP_3)
	v_fmac_f32_e32 v65, 0x32a5705f, v61
	v_sub_f32_e32 v63, v63, v66
	v_cvt_i32_f32_e32 v62, v66
	s_wait_alu 0xfffd
	v_cndmask_b32_e32 v60, 0, v60, vcc_lo
	v_cmp_nlt_f32_e32 vcc_lo, 0x42b17218, v56
	s_wait_alu 0xfffd
	s_delay_alu instid0(VALU_DEP_2) | instskip(NEXT) | instid1(VALU_DEP_1)
	v_dual_add_f32 v63, v63, v65 :: v_dual_cndmask_b32 v134, 0x7f800000, v60
	v_exp_f32_e32 v63, v63
	s_delay_alu instid0(VALU_DEP_1) | instskip(NEXT) | instid1(TRANS32_DEP_1)
	v_cvt_f16_f32_e64 v60, v134
	v_ldexp_f32 v62, v63, v62
	s_wait_alu 0xf1ff
	s_delay_alu instid0(VALU_DEP_1) | instskip(SKIP_2) | instid1(VALU_DEP_1)
	v_cndmask_b32_e64 v56, 0, v62, s3
	v_cmp_nlt_f32_e64 s3, 0x42b17218, v61
	s_wait_alu 0xf1ff
	v_cndmask_b32_e64 v133, 0x7f800000, v56, s3
	s_delay_alu instid0(VALU_DEP_1) | instskip(NEXT) | instid1(VALU_DEP_1)
	v_cvt_f16_f32_e64 v56, v133
	v_pack_b32_f16 v56, v56, v60
	ds_load_u16 v114, v215 offset:4448
	ds_load_u16 v94, v215 offset:4512
	;; [unrolled: 1-line block ×10, first 2 shown]
	s_wait_dscnt 0x3
	ds_load_u16_d16_hi v60, v215 offset:4240
	ds_load_u16_d16_hi v65, v215 offset:4560
	ds_load_u16 v90, v215 offset:4416
	ds_load_u16_d16_hi v114, v215 offset:4688
	ds_load_u16_d16_hi v94, v215 offset:4752
	;; [unrolled: 1-line block ×4, first 2 shown]
	ds_load_u16 v73, v215 offset:7680
	ds_load_u16 v91, v215 offset:4896
	ds_load_u16_d16_hi v115, v215 offset:5168
	ds_load_u16_d16_hi v113, v215 offset:4208
	;; [unrolled: 1-line block ×3, first 2 shown]
	s_wait_dscnt 0xd
	ds_load_u16_d16_hi v62, v215 offset:5200
	s_wait_dscnt 0xd
	ds_load_u16_d16_hi v95, v215 offset:5232
	ds_load_u16 v69, v215 offset:7712
	ds_load_u16 v82, v215 offset:4384
	;; [unrolled: 1-line block ×3, first 2 shown]
	ds_load_u16_d16_hi v61, v215 offset:4720
	s_wait_dscnt 0xf
	ds_load_u16_d16_hi v90, v215 offset:4656
	ds_load_u16 v102, v215 offset:7744
	ds_load_u16 v106, v215 offset:7776
	s_wait_dscnt 0xc
	ds_load_u16_d16_hi v91, v215 offset:5136
	ds_load_u16 v63, v216 offset:4000
	ds_load_u16 v105, v216 offset:7744
	;; [unrolled: 1-line block ×5, first 2 shown]
	s_wait_dscnt 0x10
	v_wmma_f16_16x16x16_f16 v[8:11], v[113:116], v[56:59], v[8:11]
	s_wait_dscnt 0x4
	ds_load_u16_d16_hi v63, v217 offset:4000
	ds_load_u16_d16_hi v96, v217 offset:4032
	ds_load_u16_d16_hi v76, v217 offset:7680
	ds_load_u16_d16_hi v72, v217 offset:7712
	ds_load_u16 v68, v216 offset:7872
	ds_load_u16 v113, v216 offset:7808
	s_wait_dscnt 0x9
	ds_load_u16_d16_hi v105, v217 offset:7744
	s_wait_dscnt 0x7
	ds_load_u16_d16_hi v109, v217 offset:7776
	v_wmma_f16_16x16x16_f16 v[12:15], v[89:92], v[56:59], v[12:15]
	s_wait_dscnt 0x7
	v_wmma_f16_16x16x16_f16 v[4:7], v[60:63], v[56:59], v[4:7]
	s_wait_dscnt 0x2
	ds_load_u16_d16_hi v113, v217 offset:7808
	ds_load_u16 v93, v215 offset:4032
	ds_load_u16_d16_hi v64, v215 offset:4080
	ds_load_u16_d16_hi v85, v215 offset:4112
	;; [unrolled: 1-line block ×3, first 2 shown]
	s_wait_dscnt 0x3
	ds_load_u16_d16_hi v93, v215 offset:4272
	ds_load_u16 v86, v215 offset:4352
	s_wait_dscnt 0x0
	ds_load_u16_d16_hi v86, v215 offset:4592
	ds_load_u16_d16_hi v82, v215 offset:4624
	;; [unrolled: 1-line block ×3, first 2 shown]
	v_wmma_f16_16x16x16_f16 v[0:3], v[93:96], v[56:59], v[0:3]
	v_wmma_f16_16x16x16_f16 v[24:27], v[64:67], v[56:59], v[24:27]
	s_wait_dscnt 0x2
	v_wmma_f16_16x16x16_f16 v[20:23], v[85:88], v[56:59], v[20:23]
	s_wait_dscnt 0x0
	v_wmma_f16_16x16x16_f16 v[16:19], v[81:84], v[56:59], v[16:19]
	v_sub_f32_e32 v56, v220, v234
	s_delay_alu instid0(VALU_DEP_1) | instskip(SKIP_1) | instid1(VALU_DEP_2)
	v_mul_f32_e32 v57, 0x3fb8aa3b, v56
	v_cmp_ngt_f32_e64 s5, 0xc2ce8ed0, v56
	v_fma_f32 v58, 0x3fb8aa3b, v56, -v57
	v_rndne_f32_e32 v59, v57
	s_delay_alu instid0(VALU_DEP_1) | instskip(SKIP_1) | instid1(VALU_DEP_2)
	v_dual_fmac_f32 v58, 0x32a5705f, v56 :: v_dual_sub_f32 v57, v57, v59
	v_cvt_i32_f32_e32 v59, v59
	v_add_f32_e32 v57, v57, v58
	v_sub_f32_e32 v58, v212, v234
	s_delay_alu instid0(VALU_DEP_2) | instskip(NEXT) | instid1(VALU_DEP_1)
	v_exp_f32_e32 v57, v57
	v_mul_f32_e32 v60, 0x3fb8aa3b, v58
	v_cmp_ngt_f32_e32 vcc_lo, 0xc2ce8ed0, v58
	s_delay_alu instid0(VALU_DEP_2) | instskip(SKIP_1) | instid1(TRANS32_DEP_1)
	v_fma_f32 v61, 0x3fb8aa3b, v58, -v60
	v_rndne_f32_e32 v62, v60
	v_ldexp_f32 v57, v57, v59
	s_delay_alu instid0(VALU_DEP_3) | instskip(NEXT) | instid1(VALU_DEP_3)
	v_fmac_f32_e32 v61, 0x32a5705f, v58
	v_sub_f32_e32 v60, v60, v62
	v_cvt_i32_f32_e32 v62, v62
	s_wait_alu 0xf1ff
	v_cndmask_b32_e64 v57, 0, v57, s5
	v_cmp_nlt_f32_e64 s5, 0x42b17218, v56
	v_dual_add_f32 v60, v60, v61 :: v_dual_sub_f32 v61, v210, v234
	s_wait_alu 0xf1ff
	s_delay_alu instid0(VALU_DEP_2) | instskip(NEXT) | instid1(VALU_DEP_2)
	v_cndmask_b32_e64 v81, 0x7f800000, v57, s5
	v_exp_f32_e32 v60, v60
	s_delay_alu instid0(VALU_DEP_2) | instskip(SKIP_1) | instid1(VALU_DEP_3)
	v_mul_f32_e32 v63, 0x3fb8aa3b, v61
	v_cmp_ngt_f32_e64 s3, 0xc2ce8ed0, v61
	v_cvt_f16_f32_e32 v56, v81
	s_delay_alu instid0(VALU_DEP_3) | instskip(SKIP_1) | instid1(TRANS32_DEP_1)
	v_fma_f32 v64, 0x3fb8aa3b, v61, -v63
	v_rndne_f32_e32 v65, v63
	v_ldexp_f32 v60, v60, v62
	s_delay_alu instid0(VALU_DEP_3) | instskip(NEXT) | instid1(VALU_DEP_3)
	v_fmac_f32_e32 v64, 0x32a5705f, v61
	v_sub_f32_e32 v63, v63, v65
	v_cvt_i32_f32_e32 v59, v65
	s_wait_alu 0xfffd
	v_cndmask_b32_e32 v60, 0, v60, vcc_lo
	v_cmp_nlt_f32_e32 vcc_lo, 0x42b17218, v58
	v_add_f32_e32 v63, v63, v64
	v_sub_f32_e32 v64, v199, v234
	s_wait_alu 0xfffd
	v_cndmask_b32_e32 v84, 0x7f800000, v60, vcc_lo
	s_delay_alu instid0(VALU_DEP_3) | instskip(NEXT) | instid1(VALU_DEP_2)
	v_exp_f32_e32 v63, v63
	v_mul_f32_e32 v66, 0x3fb8aa3b, v64
	v_cmp_ngt_f32_e64 s4, 0xc2ce8ed0, v64
	s_delay_alu instid0(VALU_DEP_3) | instskip(NEXT) | instid1(VALU_DEP_3)
	v_cvt_f16_f32_e32 v60, v84
	v_fma_f32 v67, 0x3fb8aa3b, v64, -v66
	v_rndne_f32_e32 v70, v66
	s_delay_alu instid0(TRANS32_DEP_1) | instskip(NEXT) | instid1(VALU_DEP_2)
	v_ldexp_f32 v59, v63, v59
	v_dual_fmac_f32 v67, 0x32a5705f, v64 :: v_dual_sub_f32 v66, v66, v70
	v_cvt_i32_f32_e32 v62, v70
	s_wait_alu 0xf1ff
	s_delay_alu instid0(VALU_DEP_3) | instskip(SKIP_3) | instid1(VALU_DEP_2)
	v_cndmask_b32_e64 v58, 0, v59, s3
	v_cmp_nlt_f32_e64 s3, 0x42b17218, v61
	v_add_f32_e32 v66, v66, v67
	s_wait_alu 0xf1ff
	v_cndmask_b32_e64 v82, 0x7f800000, v58, s3
	s_delay_alu instid0(VALU_DEP_2) | instskip(NEXT) | instid1(VALU_DEP_1)
	v_exp_f32_e32 v63, v66
	v_cvt_f16_f32_e32 v57, v82
	s_delay_alu instid0(TRANS32_DEP_1) | instskip(NEXT) | instid1(VALU_DEP_1)
	v_ldexp_f32 v62, v63, v62
	v_cndmask_b32_e64 v59, 0, v62, s4
	v_cmp_nlt_f32_e64 s4, 0x42b17218, v64
	s_wait_alu 0xf1ff
	s_delay_alu instid0(VALU_DEP_1) | instskip(NEXT) | instid1(VALU_DEP_1)
	v_cndmask_b32_e64 v83, 0x7f800000, v59, s4
	v_cvt_f16_f32_e32 v58, v83
	s_delay_alu instid0(VALU_DEP_1) | instskip(SKIP_2) | instid1(VALU_DEP_1)
	v_pack_b32_f16 v59, v57, v58
	v_pack_b32_f16 v58, v56, v60
	v_sub_f32_e32 v56, v119, v234
	v_mul_f32_e32 v57, 0x3fb8aa3b, v56
	v_cmp_ngt_f32_e32 vcc_lo, 0xc2ce8ed0, v56
	s_delay_alu instid0(VALU_DEP_2) | instskip(SKIP_1) | instid1(VALU_DEP_1)
	v_fma_f32 v60, 0x3fb8aa3b, v56, -v57
	v_rndne_f32_e32 v61, v57
	v_dual_fmac_f32 v60, 0x32a5705f, v56 :: v_dual_sub_f32 v57, v57, v61
	v_cvt_i32_f32_e32 v61, v61
	s_delay_alu instid0(VALU_DEP_2) | instskip(NEXT) | instid1(VALU_DEP_1)
	v_dual_add_f32 v57, v57, v60 :: v_dual_sub_f32 v60, v118, v234
	v_exp_f32_e32 v57, v57
	s_delay_alu instid0(VALU_DEP_1) | instskip(SKIP_1) | instid1(VALU_DEP_2)
	v_mul_f32_e32 v62, 0x3fb8aa3b, v60
	v_cmp_ngt_f32_e64 s3, 0xc2ce8ed0, v60
	v_fma_f32 v63, 0x3fb8aa3b, v60, -v62
	v_rndne_f32_e32 v64, v62
	s_delay_alu instid0(TRANS32_DEP_1) | instskip(NEXT) | instid1(VALU_DEP_3)
	v_ldexp_f32 v57, v57, v61
	v_fmac_f32_e32 v63, 0x32a5705f, v60
	s_delay_alu instid0(VALU_DEP_3)
	v_sub_f32_e32 v62, v62, v64
	v_cvt_i32_f32_e32 v61, v64
	s_wait_alu 0xfffd
	v_cndmask_b32_e32 v57, 0, v57, vcc_lo
	v_cmp_nlt_f32_e32 vcc_lo, 0x42b17218, v56
	v_add_f32_e32 v62, v62, v63
	s_wait_alu 0xfffd
	s_delay_alu instid0(VALU_DEP_3) | instskip(NEXT) | instid1(VALU_DEP_2)
	v_cndmask_b32_e32 v86, 0x7f800000, v57, vcc_lo
	v_exp_f32_e32 v62, v62
	s_delay_alu instid0(VALU_DEP_1) | instskip(NEXT) | instid1(TRANS32_DEP_1)
	v_cvt_f16_f32_e32 v57, v86
	v_ldexp_f32 v61, v62, v61
	s_wait_alu 0xf1ff
	s_delay_alu instid0(VALU_DEP_1) | instskip(SKIP_2) | instid1(VALU_DEP_1)
	v_cndmask_b32_e64 v56, 0, v61, s3
	v_cmp_nlt_f32_e64 s3, 0x42b17218, v60
	s_wait_alu 0xf1ff
	v_cndmask_b32_e64 v85, 0x7f800000, v56, s3
	s_delay_alu instid0(VALU_DEP_1) | instskip(NEXT) | instid1(VALU_DEP_1)
	v_cvt_f16_f32_e32 v56, v85
	v_pack_b32_f16 v57, v56, v57
	v_sub_f32_e32 v56, v75, v234
	s_delay_alu instid0(VALU_DEP_1) | instskip(SKIP_1) | instid1(VALU_DEP_2)
	v_mul_f32_e32 v60, 0x3fb8aa3b, v56
	v_cmp_ngt_f32_e32 vcc_lo, 0xc2ce8ed0, v56
	v_fma_f32 v61, 0x3fb8aa3b, v56, -v60
	v_rndne_f32_e32 v62, v60
	s_delay_alu instid0(VALU_DEP_1) | instskip(SKIP_1) | instid1(VALU_DEP_2)
	v_dual_fmac_f32 v61, 0x32a5705f, v56 :: v_dual_sub_f32 v60, v60, v62
	v_cvt_i32_f32_e32 v62, v62
	v_add_f32_e32 v60, v60, v61
	s_delay_alu instid0(VALU_DEP_1) | instskip(NEXT) | instid1(TRANS32_DEP_1)
	v_exp_f32_e32 v60, v60
	v_ldexp_f32 v60, v60, v62
	s_wait_alu 0xfffd
	s_delay_alu instid0(VALU_DEP_1) | instskip(SKIP_2) | instid1(VALU_DEP_2)
	v_cndmask_b32_e32 v60, 0, v60, vcc_lo
	v_cmp_nlt_f32_e32 vcc_lo, 0x42b17218, v56
	s_wait_alu 0xfffd
	v_dual_sub_f32 v61, v74, v234 :: v_dual_cndmask_b32 v88, 0x7f800000, v60
	s_delay_alu instid0(VALU_DEP_1) | instskip(SKIP_1) | instid1(VALU_DEP_3)
	v_mul_f32_e32 v63, 0x3fb8aa3b, v61
	v_cmp_ngt_f32_e64 s3, 0xc2ce8ed0, v61
	v_cvt_f16_f32_e32 v60, v88
	s_delay_alu instid0(VALU_DEP_3) | instskip(SKIP_1) | instid1(VALU_DEP_2)
	v_fma_f32 v64, 0x3fb8aa3b, v61, -v63
	v_rndne_f32_e32 v65, v63
	v_fmac_f32_e32 v64, 0x32a5705f, v61
	s_delay_alu instid0(VALU_DEP_2) | instskip(SKIP_1) | instid1(VALU_DEP_2)
	v_sub_f32_e32 v63, v63, v65
	v_cvt_i32_f32_e32 v62, v65
	v_add_f32_e32 v63, v63, v64
	s_delay_alu instid0(VALU_DEP_1) | instskip(NEXT) | instid1(TRANS32_DEP_1)
	v_exp_f32_e32 v63, v63
	v_ldexp_f32 v62, v63, v62
	s_wait_alu 0xf1ff
	s_delay_alu instid0(VALU_DEP_1) | instskip(SKIP_2) | instid1(VALU_DEP_1)
	v_cndmask_b32_e64 v56, 0, v62, s3
	v_cmp_nlt_f32_e64 s3, 0x42b17218, v61
	s_wait_alu 0xf1ff
	v_cndmask_b32_e64 v87, 0x7f800000, v56, s3
	s_delay_alu instid0(VALU_DEP_1) | instskip(NEXT) | instid1(VALU_DEP_1)
	v_cvt_f16_f32_e32 v56, v87
	v_pack_b32_f16 v56, v56, v60
	ds_load_u16 v63, v216 offset:7840
	ds_load_u16 v62, v215 offset:8800
	;; [unrolled: 1-line block ×9, first 2 shown]
	s_wait_dscnt 0x8
	ds_load_u16_d16_hi v63, v217 offset:7840
	s_wait_dscnt 0x4
	ds_load_u16_d16_hi v61, v215 offset:8560
	;; [unrolled: 2-line block ×3, first 2 shown]
	ds_load_u16 v112, v215 offset:8768
	ds_load_u16 v108, v215 offset:8736
	ds_load_u16_d16_hi v62, v215 offset:9040
	ds_load_u16_d16_hi v67, v215 offset:9072
	ds_load_u16 v119, v215 offset:11520
	s_wait_dscnt 0x4
	ds_load_u16_d16_hi v112, v215 offset:9008
	ds_load_u16_d16_hi v102, v215 offset:7984
	;; [unrolled: 1-line block ×3, first 2 shown]
	ds_load_u16 v74, v215 offset:8160
	ds_load_u16_d16_hi v73, v215 offset:7920
	ds_load_u16 v110, v215 offset:7808
	ds_load_u16_d16_hi v60, v215 offset:8080
	ds_load_u16_d16_hi v65, v215 offset:8112
	ds_load_u16 v70, v215 offset:8192
	ds_load_u16_d16_hi v111, v215 offset:8528
	s_wait_dscnt 0x4
	ds_load_u16_d16_hi v110, v215 offset:8048
	ds_load_u16 v103, v215 offset:8224
	ds_load_u16_d16_hi v74, v215 offset:8400
	s_wait_dscnt 0x4
	ds_load_u16_d16_hi v70, v215 offset:8432
	s_wait_dscnt 0x2
	ds_load_u16_d16_hi v103, v215 offset:8464
	ds_load_u16_d16_hi v107, v215 offset:8496
	ds_load_u16 v66, v215 offset:8352
	ds_load_u16 v104, v215 offset:8704
	ds_load_u16_d16_hi v108, v215 offset:8976
	v_wmma_f16_16x16x16_f16 v[4:7], v[60:63], v[56:59], v[4:7]
	s_wait_dscnt 0x6
	v_wmma_f16_16x16x16_f16 v[24:27], v[73:76], v[56:59], v[24:27]
	v_wmma_f16_16x16x16_f16 v[8:11], v[110:113], v[56:59], v[8:11]
	s_wait_dscnt 0x1
	ds_load_u16_d16_hi v104, v215 offset:8944
	ds_load_u16 v71, v215 offset:8672
	ds_load_u16_d16_hi v69, v215 offset:7952
	ds_load_u16_d16_hi v66, v215 offset:8592
	s_wait_dscnt 0x4
	v_wmma_f16_16x16x16_f16 v[12:15], v[106:109], v[56:59], v[12:15]
	s_wait_dscnt 0x2
	ds_load_u16_d16_hi v71, v215 offset:8912
	ds_load_u16 v118, v216 offset:11616
	ds_load_u16_d16_hi v68, v217 offset:7872
	ds_load_u16_d16_hi v122, v217 offset:11520
	ds_load_u16 v60, v216 offset:11552
	v_wmma_f16_16x16x16_f16 v[16:19], v[102:105], v[56:59], v[16:19]
	s_wait_dscnt 0x0
	ds_load_u16_d16_hi v60, v217 offset:11552
	ds_load_u16_d16_hi v98, v217 offset:11584
	ds_load_u16 v102, v216 offset:11648
	ds_load_u16 v78, v216 offset:11680
	ds_load_u16_d16_hi v118, v217 offset:11616
	ds_load_u16_d16_hi v80, v217 offset:11712
	v_wmma_f16_16x16x16_f16 v[20:23], v[69:72], v[56:59], v[20:23]
	v_wmma_f16_16x16x16_f16 v[0:3], v[65:68], v[56:59], v[0:3]
	v_sub_f32_e32 v56, v197, v234
	s_delay_alu instid0(VALU_DEP_1) | instskip(SKIP_1) | instid1(VALU_DEP_2)
	v_mul_f32_e32 v57, 0x3fb8aa3b, v56
	v_cmp_ngt_f32_e64 s5, 0xc2ce8ed0, v56
	v_fma_f32 v58, 0x3fb8aa3b, v56, -v57
	v_rndne_f32_e32 v59, v57
	s_wait_dscnt 0x3
	ds_load_u16_d16_hi v102, v217 offset:11648
	v_dual_fmac_f32 v58, 0x32a5705f, v56 :: v_dual_sub_f32 v57, v57, v59
	v_cvt_i32_f32_e32 v59, v59
	s_delay_alu instid0(VALU_DEP_2) | instskip(SKIP_1) | instid1(VALU_DEP_1)
	v_add_f32_e32 v57, v57, v58
	v_sub_f32_e32 v58, v191, v234
	v_mul_f32_e32 v61, 0x3fb8aa3b, v58
	v_cmp_ngt_f32_e32 vcc_lo, 0xc2ce8ed0, v58
	s_delay_alu instid0(VALU_DEP_2) | instskip(SKIP_1) | instid1(VALU_DEP_1)
	v_fma_f32 v62, 0x3fb8aa3b, v58, -v61
	v_rndne_f32_e32 v63, v61
	v_dual_fmac_f32 v62, 0x32a5705f, v58 :: v_dual_sub_f32 v61, v61, v63
	v_cvt_i32_f32_e32 v63, v63
	s_delay_alu instid0(VALU_DEP_2) | instskip(SKIP_1) | instid1(VALU_DEP_2)
	v_add_f32_e32 v61, v61, v62
	v_sub_f32_e32 v62, v182, v234
	v_exp_f32_e32 v61, v61
	s_delay_alu instid0(VALU_DEP_1) | instskip(SKIP_1) | instid1(VALU_DEP_2)
	v_mul_f32_e32 v64, 0x3fb8aa3b, v62
	v_cmp_ngt_f32_e64 s3, 0xc2ce8ed0, v62
	v_fma_f32 v65, 0x3fb8aa3b, v62, -v64
	v_rndne_f32_e32 v66, v64
	s_delay_alu instid0(TRANS32_DEP_1) | instskip(NEXT) | instid1(VALU_DEP_3)
	v_ldexp_f32 v61, v61, v63
	v_fmac_f32_e32 v65, 0x32a5705f, v62
	s_wait_alu 0xfffd
	s_delay_alu instid0(VALU_DEP_2) | instskip(SKIP_1) | instid1(VALU_DEP_2)
	v_dual_sub_f32 v64, v64, v66 :: v_dual_cndmask_b32 v61, 0, v61
	v_cmp_nlt_f32_e32 vcc_lo, 0x42b17218, v58
	v_dual_add_f32 v64, v64, v65 :: v_dual_sub_f32 v65, v181, v234
	s_delay_alu instid0(VALU_DEP_1) | instskip(NEXT) | instid1(VALU_DEP_1)
	v_exp_f32_e32 v64, v64
	v_mul_f32_e32 v67, 0x3fb8aa3b, v65
	v_cmp_ngt_f32_e64 s4, 0xc2ce8ed0, v65
	s_delay_alu instid0(VALU_DEP_2) | instskip(SKIP_1) | instid1(VALU_DEP_2)
	v_fma_f32 v68, 0x3fb8aa3b, v65, -v67
	v_rndne_f32_e32 v69, v67
	v_fmac_f32_e32 v68, 0x32a5705f, v65
	v_exp_f32_e32 v57, v57
	s_delay_alu instid0(VALU_DEP_2) | instskip(SKIP_1) | instid1(VALU_DEP_2)
	v_sub_f32_e32 v67, v67, v69
	v_cvt_i32_f32_e32 v63, v69
	v_add_f32_e32 v67, v67, v68
	s_delay_alu instid0(TRANS32_DEP_1) | instskip(SKIP_2) | instid1(VALU_DEP_2)
	v_ldexp_f32 v57, v57, v59
	v_cvt_i32_f32_e32 v59, v66
	s_wait_alu 0xf1ff
	v_cndmask_b32_e64 v57, 0, v57, s5
	s_delay_alu instid0(VALU_DEP_2)
	v_ldexp_f32 v59, v64, v59
	v_exp_f32_e32 v64, v67
	v_cmp_nlt_f32_e64 s5, 0x42b17218, v56
	s_wait_alu 0xfffd
	v_cndmask_b32_e32 v67, 0x7f800000, v61, vcc_lo
	v_cndmask_b32_e64 v58, 0, v59, s3
	v_cmp_nlt_f32_e64 s3, 0x42b17218, v62
	s_wait_alu 0xf1ff
	v_cndmask_b32_e64 v56, 0x7f800000, v57, s5
	v_cvt_f16_f32_e32 v61, v67
	s_delay_alu instid0(TRANS32_DEP_1) | instskip(NEXT) | instid1(VALU_DEP_3)
	v_ldexp_f32 v63, v64, v63
	v_cvt_f16_f32_e32 v57, v56
	s_delay_alu instid0(VALU_DEP_2) | instskip(SKIP_2) | instid1(VALU_DEP_4)
	v_cndmask_b32_e64 v59, 0, v63, s4
	v_cmp_nlt_f32_e64 s4, 0x42b17218, v65
	v_cndmask_b32_e64 v65, 0x7f800000, v58, s3
	v_pack_b32_f16 v63, v57, v61
	v_sub_f32_e32 v57, v158, v234
	s_wait_alu 0xf1ff
	v_cndmask_b32_e64 v66, 0x7f800000, v59, s4
	v_cvt_f16_f32_e32 v58, v65
	s_delay_alu instid0(VALU_DEP_3) | instskip(NEXT) | instid1(VALU_DEP_3)
	v_cmp_ngt_f32_e32 vcc_lo, 0xc2ce8ed0, v57
	v_cvt_f16_f32_e32 v59, v66
	s_delay_alu instid0(VALU_DEP_1) | instskip(SKIP_1) | instid1(VALU_DEP_1)
	v_pack_b32_f16 v64, v58, v59
	v_mul_f32_e32 v58, 0x3fb8aa3b, v57
	v_fma_f32 v59, 0x3fb8aa3b, v57, -v58
	v_rndne_f32_e32 v61, v58
	s_delay_alu instid0(VALU_DEP_2) | instskip(NEXT) | instid1(VALU_DEP_2)
	v_fmac_f32_e32 v59, 0x32a5705f, v57
	v_sub_f32_e32 v58, v58, v61
	v_cvt_i32_f32_e32 v61, v61
	s_delay_alu instid0(VALU_DEP_2) | instskip(NEXT) | instid1(VALU_DEP_1)
	v_dual_add_f32 v58, v58, v59 :: v_dual_sub_f32 v59, v156, v234
	v_exp_f32_e32 v58, v58
	s_delay_alu instid0(VALU_DEP_1) | instskip(SKIP_1) | instid1(VALU_DEP_2)
	v_mul_f32_e32 v62, 0x3fb8aa3b, v59
	v_cmp_ngt_f32_e64 s3, 0xc2ce8ed0, v59
	v_fma_f32 v68, 0x3fb8aa3b, v59, -v62
	v_rndne_f32_e32 v69, v62
	s_delay_alu instid0(TRANS32_DEP_1) | instskip(NEXT) | instid1(VALU_DEP_3)
	v_ldexp_f32 v58, v58, v61
	v_fmac_f32_e32 v68, 0x32a5705f, v59
	s_delay_alu instid0(VALU_DEP_3)
	v_sub_f32_e32 v62, v62, v69
	v_cvt_i32_f32_e32 v61, v69
	s_wait_alu 0xfffd
	v_cndmask_b32_e32 v58, 0, v58, vcc_lo
	v_cmp_nlt_f32_e32 vcc_lo, 0x42b17218, v57
	s_wait_alu 0xfffd
	s_delay_alu instid0(VALU_DEP_2) | instskip(NEXT) | instid1(VALU_DEP_1)
	v_dual_add_f32 v62, v62, v68 :: v_dual_cndmask_b32 v69, 0x7f800000, v58
	v_exp_f32_e32 v62, v62
	s_delay_alu instid0(VALU_DEP_1) | instskip(NEXT) | instid1(TRANS32_DEP_1)
	v_cvt_f16_f32_e32 v58, v69
	v_ldexp_f32 v61, v62, v61
	s_wait_alu 0xf1ff
	s_delay_alu instid0(VALU_DEP_1) | instskip(SKIP_2) | instid1(VALU_DEP_1)
	v_cndmask_b32_e64 v57, 0, v61, s3
	v_cmp_nlt_f32_e64 s3, 0x42b17218, v59
	s_wait_alu 0xf1ff
	v_cndmask_b32_e64 v68, 0x7f800000, v57, s3
	s_delay_alu instid0(VALU_DEP_1) | instskip(NEXT) | instid1(VALU_DEP_1)
	v_cvt_f16_f32_e32 v57, v68
	v_pack_b32_f16 v62, v57, v58
	v_sub_f32_e32 v57, v124, v234
	s_delay_alu instid0(VALU_DEP_1) | instskip(SKIP_1) | instid1(VALU_DEP_2)
	v_mul_f32_e32 v58, 0x3fb8aa3b, v57
	v_cmp_ngt_f32_e32 vcc_lo, 0xc2ce8ed0, v57
	v_fma_f32 v59, 0x3fb8aa3b, v57, -v58
	v_rndne_f32_e32 v61, v58
	s_delay_alu instid0(VALU_DEP_2) | instskip(NEXT) | instid1(VALU_DEP_2)
	v_fmac_f32_e32 v59, 0x32a5705f, v57
	v_sub_f32_e32 v58, v58, v61
	v_cvt_i32_f32_e32 v61, v61
	s_delay_alu instid0(VALU_DEP_2)
	v_dual_add_f32 v58, v58, v59 :: v_dual_sub_f32 v59, v120, v234
	ds_load_u16 v96, v215 offset:12064
	ds_load_u16 v116, v215 offset:12096
	;; [unrolled: 1-line block ×3, first 2 shown]
	ds_load_u16_d16_hi v119, v215 offset:11760
	ds_load_u16 v75, v215 offset:11680
	ds_load_u16 v99, v215 offset:11648
	s_wait_dscnt 0x5
	ds_load_u16_d16_hi v96, v215 offset:12304
	s_wait_dscnt 0x5
	ds_load_u16_d16_hi v116, v215 offset:12336
	;; [unrolled: 2-line block ×3, first 2 shown]
	ds_load_u16 v76, v215 offset:12160
	ds_load_u16 v100, v215 offset:12128
	;; [unrolled: 1-line block ×3, first 2 shown]
	s_wait_dscnt 0x7
	ds_load_u16_d16_hi v75, v215 offset:11920
	s_wait_dscnt 0x7
	ds_load_u16_d16_hi v99, v215 offset:11888
	v_mul_f32_e32 v70, 0x3fb8aa3b, v59
	v_exp_f32_e32 v58, v58
	v_cmp_ngt_f32_e64 s3, 0xc2ce8ed0, v59
	s_wait_dscnt 0x4
	ds_load_u16_d16_hi v76, v215 offset:12400
	s_wait_dscnt 0x4
	ds_load_u16_d16_hi v100, v215 offset:12368
	ds_load_u16_d16_hi v78, v217 offset:11680
	v_fma_f32 v71, 0x3fb8aa3b, v59, -v70
	v_rndne_f32_e32 v72, v70
	v_ldexp_f32 v58, v58, v61
	ds_load_u16 v95, v215 offset:11584
	s_wait_dscnt 0x6
	ds_load_u16_d16_hi v115, v215 offset:11856
	v_dual_fmac_f32 v71, 0x32a5705f, v59 :: v_dual_sub_f32 v70, v70, v72
	v_cvt_i32_f32_e32 v61, v72
	s_wait_alu 0xfffd
	v_cndmask_b32_e32 v58, 0, v58, vcc_lo
	v_cmp_nlt_f32_e32 vcc_lo, 0x42b17218, v57
	s_wait_alu 0xfffd
	s_delay_alu instid0(VALU_DEP_2) | instskip(NEXT) | instid1(VALU_DEP_1)
	v_dual_add_f32 v70, v70, v71 :: v_dual_cndmask_b32 v71, 0x7f800000, v58
	v_exp_f32_e32 v70, v70
	s_delay_alu instid0(VALU_DEP_1) | instskip(SKIP_4) | instid1(VALU_DEP_1)
	v_cvt_f16_f32_e32 v58, v71
	s_wait_dscnt 0x1
	ds_load_u16_d16_hi v95, v215 offset:11824
	v_ldexp_f32 v61, v70, v61
	s_wait_alu 0xf1ff
	v_cndmask_b32_e64 v57, 0, v61, s3
	v_cmp_nlt_f32_e64 s3, 0x42b17218, v59
	s_wait_alu 0xf1ff
	s_delay_alu instid0(VALU_DEP_1) | instskip(NEXT) | instid1(VALU_DEP_1)
	v_cndmask_b32_e64 v70, 0x7f800000, v57, s3
	v_cvt_f16_f32_e32 v57, v70
	s_delay_alu instid0(VALU_DEP_1) | instskip(NEXT) | instid1(VALU_DEP_1)
	v_pack_b32_f16 v61, v57, v58
	v_wmma_f16_16x16x16_f16 v[4:7], v[75:78], v[61:64], v[4:7]
	ds_load_u16 v57, v215 offset:11552
	ds_load_u16 v77, v215 offset:11712
	ds_load_u16 v58, v215 offset:12032
	ds_load_u16 v78, v215 offset:12192
	ds_load_u16 v59, v215 offset:12512
	s_wait_dscnt 0x4
	ds_load_u16_d16_hi v57, v215 offset:11792
	s_wait_dscnt 0x4
	ds_load_u16_d16_hi v77, v215 offset:11952
	;; [unrolled: 2-line block ×5, first 2 shown]
	v_wmma_f16_16x16x16_f16 v[24:27], v[119:122], v[61:64], v[24:27]
	v_wmma_f16_16x16x16_f16 v[8:11], v[99:102], v[61:64], v[8:11]
	;; [unrolled: 1-line block ×4, first 2 shown]
	s_wait_loadcnt_dscnt 0x0
	s_barrier_signal -1
	s_barrier_wait -1
	global_inv scope:SCOPE_SE
	v_wmma_f16_16x16x16_f16 v[0:3], v[77:80], v[61:64], v[0:3]
	v_wmma_f16_16x16x16_f16 v[20:23], v[57:60], v[61:64], v[20:23]
	v_add_f32_e32 v57, v185, v218
	s_delay_alu instid0(VALU_DEP_1) | instskip(SKIP_1) | instid1(VALU_DEP_2)
	v_add_f32_e32 v57, v251, v57
	v_add_nc_u32_e32 v251, 0x60, v213
	v_add_f32_e32 v57, v254, v57
	s_delay_alu instid0(VALU_DEP_1) | instskip(NEXT) | instid1(VALU_DEP_1)
	v_add_f32_e32 v57, v192, v57
	v_add_f32_e32 v57, v240, v57
	s_delay_alu instid0(VALU_DEP_1) | instskip(NEXT) | instid1(VALU_DEP_1)
	v_add_f32_e32 v57, v226, v57
	;; [unrolled: 3-line block ×12, first 2 shown]
	v_add_f32_e32 v57, v69, v57
	s_delay_alu instid0(VALU_DEP_1) | instskip(NEXT) | instid1(VALU_DEP_1)
	v_dual_add_f32 v56, v56, v57 :: v_dual_mov_b32 v57, v233
	v_add_f32_e32 v56, v67, v56
	s_delay_alu instid0(VALU_DEP_1) | instskip(NEXT) | instid1(VALU_DEP_1)
	v_add_f32_e32 v56, v65, v56
	v_add_f32_e32 v233, v66, v56
	s_delay_alu instid0(VALU_DEP_1)
	v_fmac_f32_e32 v233, v57, v183
	s_cbranch_scc1 .LBB19_128
; %bb.129:                              ;   in Loop: Header=BB19_9 Depth=1
	s_clause 0xa
	scratch_load_b32 v140, off, off offset:264
	scratch_load_b64 v[141:142], off, off offset:268
	scratch_load_b32 v181, off, off offset:276
	scratch_load_b32 v187, off, off offset:284
	;; [unrolled: 1-line block ×8, first 2 shown]
	scratch_load_b64 v[132:133], off, off offset:312
	s_wait_loadcnt 0x0
	s_clause 0x1f
	scratch_load_b32 v133, off, off offset:320
	scratch_load_b32 v134, off, off offset:324
	;; [unrolled: 1-line block ×32, first 2 shown]
	s_clause 0x5
	scratch_load_b32 v203, off, off offset:460
	scratch_load_b32 v221, off, off offset:464
	;; [unrolled: 1-line block ×6, first 2 shown]
	v_dual_mov_b32 v229, v231 :: v_dual_mov_b32 v230, v232
	v_dual_mov_b32 v232, v152 :: v_dual_mov_b32 v231, v151
	;; [unrolled: 1-line block ×13, first 2 shown]
	v_add_nc_u32_e32 v138, 48, v140
	v_add_nc_u32_e32 v139, 32, v140
	s_branch .LBB19_132
.LBB19_130:                             ;   in Loop: Header=BB19_9 Depth=1
	s_mov_b32 s39, 0
                                        ; implicit-def: $vgpr1
                                        ; implicit-def: $vgpr180
	s_cbranch_execnz .LBB19_271
	s_branch .LBB19_529
.LBB19_131:                             ;   in Loop: Header=BB19_9 Depth=1
	v_dual_mov_b32 v3, 0 :: v_dual_mov_b32 v234, 0xfeffffff
	s_delay_alu instid0(VALU_DEP_1)
	v_dual_mov_b32 v233, 0 :: v_dual_mov_b32 v2, v3
	v_dual_mov_b32 v1, v3 :: v_dual_mov_b32 v0, v3
	;; [unrolled: 1-line block ×14, first 2 shown]
.LBB19_132:                             ;   in Loop: Header=BB19_9 Depth=1
	scratch_load_b32 v58, off, off offset:28 ; 4-byte Folded Reload
	s_lshl_b32 s4, s94, 6
	v_lshlrev_b64_e32 v[56:57], 1, v[162:163]
	s_wait_alu 0xfffe
	s_ashr_i32 s5, s4, 31
	v_lshlrev_b64_e32 v[60:61], 1, v[172:173]
	s_wait_alu 0xfffe
	s_lshl_b64 s[2:3], s[4:5], 1
	v_lshlrev_b64_e32 v[62:63], 1, v[174:175]
	s_wait_alu 0xfffe
	s_add_nc_u64 s[2:3], s[80:81], s[2:3]
	v_lshlrev_b64_e32 v[64:65], 1, v[168:169]
	v_lshlrev_b64_e32 v[66:67], 1, v[166:167]
	s_wait_loadcnt 0x1b
	v_add_nc_u32_e32 v118, v148, v147
	v_add_nc_u32_e32 v117, v148, v146
	s_wait_loadcnt 0x0
	v_lshlrev_b32_e32 v58, 1, v58
	s_wait_alu 0xfffe
	s_delay_alu instid0(VALU_DEP_1) | instskip(SKIP_3) | instid1(VALU_DEP_3)
	v_add_co_u32 v72, s0, s2, v58
	s_wait_alu 0xf1ff
	v_add_co_ci_u32_e64 v73, null, s3, 0, s0
	v_lshlrev_b64_e32 v[58:59], 1, v[170:171]
	v_add_co_u32 v68, vcc_lo, v72, v56
	s_wait_alu 0xfffd
	s_delay_alu instid0(VALU_DEP_3)
	v_add_co_ci_u32_e64 v69, null, v73, v57, vcc_lo
	v_lshlrev_b64_e32 v[56:57], 1, v[160:161]
	s_mul_u64 s[2:3], s[26:27], s[4:5]
	s_wait_alu 0xfffe
	s_lshl_b64 s[2:3], s[2:3], 2
	s_wait_alu 0xfffe
	s_add_nc_u64 s[2:3], s[78:79], s[2:3]
	v_add_co_u32 v70, vcc_lo, v72, v56
	s_wait_alu 0xfffd
	v_add_co_ci_u32_e64 v71, null, v73, v57, vcc_lo
	v_lshlrev_b64_e32 v[56:57], 1, v[164:165]
	s_delay_alu instid0(VALU_DEP_1) | instskip(SKIP_1) | instid1(VALU_DEP_2)
	v_add_co_u32 v56, vcc_lo, v72, v56
	s_wait_alu 0xfffd
	v_add_co_ci_u32_e64 v57, null, v73, v57, vcc_lo
	v_add_co_u32 v58, vcc_lo, v72, v58
	s_wait_alu 0xfffd
	v_add_co_ci_u32_e64 v59, null, v73, v59, vcc_lo
	;; [unrolled: 3-line block ×6, first 2 shown]
	s_clause 0x7
	global_load_b32 v68, v[68:69], off
	global_load_b32 v69, v[70:71], off
	;; [unrolled: 1-line block ×8, first 2 shown]
	scratch_load_b32 v62, off, off offset:24 ; 4-byte Folded Reload
	s_wait_loadcnt 0x0
	v_add_nc_u32_e32 v62, v219, v62
	s_delay_alu instid0(VALU_DEP_1)
	v_add_nc_u32_e32 v63, 0x3c00, v62
	ds_store_2addr_b32 v63, v68, v69 offset1:144
	v_add_nc_u32_e32 v63, 0x4000, v62
	ds_store_2addr_b32 v63, v56, v57 offset0:32 offset1:176
	v_add_nc_u32_e32 v56, 0x4400, v62
	ds_store_2addr_b32 v56, v58, v59 offset0:64 offset1:208
	;; [unrolled: 2-line block ×3, first 2 shown]
	s_wait_alu 0xfffe
	v_add_co_u32 v56, vcc_lo, s2, v231
	s_wait_alu 0xfffd
	v_add_co_ci_u32_e64 v57, null, s3, v232, vcc_lo
	s_delay_alu instid0(VALU_DEP_2) | instskip(SKIP_1) | instid1(VALU_DEP_2)
	v_add_co_u32 v56, vcc_lo, v56, v159
	s_wait_alu 0xfffd
	v_add_co_ci_u32_e64 v57, null, 0, v57, vcc_lo
	v_add_co_u32 v58, vcc_lo, s2, v200
	s_wait_alu 0xfffd
	v_add_co_ci_u32_e64 v59, null, s3, v201, vcc_lo
	s_delay_alu instid0(VALU_DEP_2) | instskip(SKIP_1) | instid1(VALU_DEP_2)
	v_add_co_u32 v60, vcc_lo, v58, v195
	s_wait_alu 0xfffd
	v_add_co_ci_u32_e64 v61, null, 0, v59, vcc_lo
	s_clause 0x1
	global_load_b128 v[56:59], v[56:57], off offset:192
	global_load_b128 v[60:63], v[60:61], off offset:128
	s_wait_loadcnt 0x1
	ds_store_b128 v204, v[56:59]
	v_add_co_u32 v56, vcc_lo, s2, v189
	s_wait_alu 0xfffd
	v_add_co_ci_u32_e64 v57, null, s3, v190, vcc_lo
	s_delay_alu instid0(VALU_DEP_2) | instskip(SKIP_1) | instid1(VALU_DEP_2)
	v_add_co_u32 v56, vcc_lo, v56, v195
	s_wait_alu 0xfffd
	v_add_co_ci_u32_e64 v57, null, 0, v57, vcc_lo
	v_add_co_u32 v58, vcc_lo, s2, v238
	s_wait_alu 0xfffd
	v_add_co_ci_u32_e64 v59, null, s3, v239, vcc_lo
	s_delay_alu instid0(VALU_DEP_2) | instskip(SKIP_1) | instid1(VALU_DEP_2)
	v_add_co_u32 v64, vcc_lo, v58, v196
	s_wait_alu 0xfffd
	v_add_co_ci_u32_e64 v65, null, 0, v59, vcc_lo
	s_clause 0x1
	global_load_b128 v[56:59], v[56:57], off offset:128
	global_load_b128 v[64:67], v[64:65], off
	s_wait_loadcnt 0x2
	ds_store_b128 v205, v[60:63]
	s_wait_loadcnt 0x1
	ds_store_b128 v206, v[56:59]
	v_add_co_u32 v56, vcc_lo, s2, v248
	s_wait_alu 0xfffd
	v_add_co_ci_u32_e64 v57, null, s3, v249, vcc_lo
	s_delay_alu instid0(VALU_DEP_2) | instskip(SKIP_1) | instid1(VALU_DEP_2)
	v_add_co_u32 v56, vcc_lo, v56, v196
	s_wait_alu 0xfffd
	v_add_co_ci_u32_e64 v57, null, 0, v57, vcc_lo
	v_add_co_u32 v58, vcc_lo, s2, v193
	s_wait_alu 0xfffd
	v_add_co_ci_u32_e64 v59, null, s3, v194, vcc_lo
	s_delay_alu instid0(VALU_DEP_2) | instskip(SKIP_1) | instid1(VALU_DEP_2)
	v_add_co_u32 v60, vcc_lo, v58, v196
	s_wait_alu 0xfffd
	v_add_co_ci_u32_e64 v61, null, 0, v59, vcc_lo
	s_clause 0x1
	global_load_b128 v[56:59], v[56:57], off
	global_load_b128 v[60:63], v[60:61], off
	s_wait_loadcnt 0x2
	ds_store_b128 v207, v[64:67]
	s_wait_loadcnt 0x1
	ds_store_b128 v208, v[56:59]
	v_add_co_u32 v56, vcc_lo, s2, v153
	s_wait_alu 0xfffd
	v_add_co_ci_u32_e64 v57, null, s3, v154, vcc_lo
	s_mul_u64 s[2:3], s[34:35], s[4:5]
	v_add_co_u32 v56, vcc_lo, v56, v196
	s_wait_alu 0xfffd
	v_add_co_ci_u32_e64 v57, null, 0, v57, vcc_lo
	v_cmp_lt_i32_e32 vcc_lo, v235, v108
	s_wait_alu 0xfffe
	s_lshl_b64 s[2:3], s[2:3], 2
	s_cmp_eq_u64 s[74:75], 0
	global_load_b128 v[56:59], v[56:57], off
	s_wait_loadcnt 0x1
	ds_store_b128 v209, v[60:63]
	s_wait_loadcnt 0x0
	ds_store_b128 v211, v[56:59]
	s_wait_storecnt_dscnt 0x0
	s_barrier_signal -1
	s_barrier_wait -1
	global_inv scope:SCOPE_SE
	ds_load_b128 v[64:67], v252
	ds_load_b128 v[68:71], v252 offset:32
	ds_load_b128 v[72:75], v252 offset:3840
	;; [unrolled: 1-line block ×9, first 2 shown]
	s_wait_alu 0xfffe
	s_add_nc_u64 s[2:3], s[76:77], s[2:3]
	s_wait_dscnt 0x9
	v_wmma_f32_16x16x16_f16 v[56:63], v[64:67], v[52:55], 0
	s_wait_dscnt 0x8
	s_delay_alu instid0(VALU_DEP_1) | instskip(SKIP_3) | instid1(VALU_DEP_1)
	v_wmma_f32_16x16x16_f16 v[56:63], v[68:71], v[48:51], v[56:63]
	s_wait_dscnt 0x7
	v_wmma_f32_16x16x16_f16 v[64:71], v[72:75], v[52:55], 0
	s_wait_dscnt 0x6
	;; [unrolled: 2-line block ×3, first 2 shown]
	v_wmma_f32_16x16x16_f16 v[72:79], v[80:83], v[52:55], 0
	s_delay_alu instid0(VALU_DEP_2) | instskip(SKIP_1) | instid1(VALU_DEP_2)
	v_wmma_f32_16x16x16_f16 v[64:71], v[92:95], v[44:47], v[64:71]
	s_wait_dscnt 0x2
	v_wmma_f32_16x16x16_f16 v[72:79], v[84:87], v[48:51], v[72:79]
	s_wait_dscnt 0x1
	v_wmma_f32_16x16x16_f16 v[80:87], v[96:99], v[52:55], 0
	ds_load_b128 v[52:55], v252 offset:11552
	ds_load_b128 v[96:99], v252 offset:11584
	s_wait_dscnt 0x1
	v_wmma_f32_16x16x16_f16 v[80:87], v[52:55], v[48:51], v[80:87]
	ds_load_b128 v[48:51], v252 offset:64
	ds_load_b128 v[52:55], v252 offset:96
	s_wait_dscnt 0x2
	v_wmma_f32_16x16x16_f16 v[80:87], v[96:99], v[44:47], v[80:87]
	s_wait_dscnt 0x1
	v_wmma_f32_16x16x16_f16 v[56:63], v[48:51], v[44:47], v[56:63]
	ds_load_b128 v[48:51], v252 offset:7744
	ds_load_b128 v[92:95], v252 offset:7776
	s_wait_dscnt 0x2
	v_wmma_f32_16x16x16_f16 v[56:63], v[52:55], v[40:43], v[56:63]
	;; [unrolled: 6-line block ×6, first 2 shown]
	s_delay_alu instid0(VALU_DEP_1)
	v_wmma_f32_16x16x16_f16 v[56:63], v[88:91], v[28:31], v[56:63]
	s_wait_dscnt 0x1
	v_wmma_f32_16x16x16_f16 v[72:79], v[40:43], v[36:39], v[72:79]
	ds_load_b128 v[36:39], v252 offset:4000
	ds_load_b128 v[40:43], v252 offset:4032
	s_wait_dscnt 0x2
	v_wmma_f32_16x16x16_f16 v[72:79], v[48:51], v[32:35], v[72:79]
	s_delay_alu instid0(VALU_DEP_1)
	v_wmma_f32_16x16x16_f16 v[72:79], v[100:103], v[28:31], v[72:79]
	s_wait_dscnt 0x1
	v_wmma_f32_16x16x16_f16 v[64:71], v[36:39], v[32:35], v[64:71]
	ds_load_b128 v[36:39], v252 offset:11680
	ds_load_b128 v[44:47], v252 offset:11712
	s_wait_loadcnt_dscnt 0x0
	s_barrier_signal -1
	s_barrier_wait -1
	v_wmma_f32_16x16x16_f16 v[64:71], v[40:43], v[28:31], v[64:71]
	global_inv scope:SCOPE_SE
	v_wmma_f32_16x16x16_f16 v[80:87], v[36:39], v[32:35], v[80:87]
	s_delay_alu instid0(VALU_DEP_1) | instskip(SKIP_3) | instid1(VALU_DEP_3)
	v_wmma_f32_16x16x16_f16 v[80:87], v[44:47], v[28:31], v[80:87]
	v_add_nc_u32_e32 v30, 32, v213
	v_add_nc_u32_e32 v28, 0x3c00, v213
	;; [unrolled: 1-line block ×4, first 2 shown]
	ds_load_2addr_b32 v[28:29], v28 offset1:1
	ds_load_2addr_b32 v[36:37], v30 offset1:1
	ds_load_b32 v30, v214 offset:15360
	ds_load_b32 v32, v213 offset:15368
	s_wait_dscnt 0x3
	v_cvt_f32_f16_e32 v31, v28
	v_lshrrev_b32_e32 v28, 16, v28
	v_cvt_f32_f16_e32 v33, v29
	s_wait_dscnt 0x2
	v_cvt_f32_f16_e32 v44, v36
	v_lshrrev_b32_e32 v45, 16, v36
	v_add_nc_u32_e32 v36, 40, v213
	v_lshrrev_b32_e32 v29, 16, v29
	v_cvt_f32_f16_e32 v38, v28
	v_cvt_f32_f16_e32 v46, v37
	v_lshrrev_b32_e32 v47, 16, v37
	v_add_nc_u32_e32 v36, 0x3c00, v36
	v_cvt_f32_f16_e32 v39, v29
	s_wait_dscnt 0x1
	v_lshrrev_b32_e32 v35, 16, v30
	v_add_f32_e32 v29, v58, v33
	v_cvt_f32_f16_e32 v30, v30
	ds_load_2addr_b32 v[36:37], v36 offset1:1
	s_wait_dscnt 0x1
	v_cvt_f32_f16_e32 v34, v32
	v_lshrrev_b32_e32 v32, 16, v32
	v_add_f32_e32 v33, v59, v39
	v_add_nc_u32_e32 v39, 0x48, v213
	v_cvt_f32_f16_e32 v41, v35
	v_add_f32_e32 v35, v60, v34
	v_cvt_f32_f16_e32 v40, v32
	v_add_f32_e32 v32, v57, v38
	v_add_nc_u32_e32 v38, 64, v213
	v_dual_add_f32 v28, v56, v31 :: v_dual_add_f32 v31, v62, v30
	v_add_f32_e32 v30, v63, v41
	v_add_f32_e32 v34, v61, v40
	s_delay_alu instid0(VALU_DEP_4)
	v_add_nc_u32_e32 v38, 0x3c00, v38
	v_add_nc_u32_e32 v40, 0x3c00, v39
	ds_load_2addr_b32 v[38:39], v38 offset1:1
	ds_load_2addr_b32 v[40:41], v40 offset1:1
	;; [unrolled: 1-line block ×3, first 2 shown]
	s_wait_dscnt 0x3
	v_cvt_f32_f16_e32 v48, v36
	v_lshrrev_b32_e32 v36, 16, v36
	v_lshrrev_b32_e32 v49, 16, v37
	v_cvt_f32_f16_e32 v37, v37
	v_add_f32_e32 v50, v64, v44
	v_cvt_f32_f16_e32 v45, v45
	v_cvt_f32_f16_e32 v36, v36
	;; [unrolled: 1-line block ×3, first 2 shown]
	v_add_f32_e32 v63, v70, v37
	v_cvt_f32_f16_e32 v49, v49
	v_add_f32_e32 v55, v65, v45
	s_delay_alu instid0(VALU_DEP_4) | instskip(NEXT) | instid1(VALU_DEP_3)
	v_dual_add_f32 v64, v69, v36 :: v_dual_add_f32 v59, v67, v47
	v_dual_add_f32 v67, v68, v48 :: v_dual_add_f32 v60, v71, v49
	s_wait_dscnt 0x2
	v_cvt_f32_f16_e32 v36, v38
	v_lshrrev_b32_e32 v37, 16, v38
	v_cvt_f32_f16_e32 v38, v39
	v_lshrrev_b32_e32 v39, 16, v39
	s_wait_dscnt 0x1
	v_cvt_f32_f16_e32 v44, v40
	v_lshrrev_b32_e32 v40, 16, v40
	v_lshrrev_b32_e32 v45, 16, v41
	v_add_f32_e32 v51, v74, v38
	v_cvt_f32_f16_e32 v39, v39
	v_add_nc_u32_e32 v38, 0x3c00, v253
	v_cvt_f32_f16_e32 v40, v40
	v_add_f32_e32 v107, v76, v44
	v_cvt_f32_f16_e32 v45, v45
	v_add_f32_e32 v52, v75, v39
	ds_load_2addr_b32 v[38:39], v38 offset1:1
	v_add_f32_e32 v106, v77, v40
	s_wait_dscnt 0x1
	v_lshrrev_b32_e32 v40, 16, v42
	v_add_f32_e32 v96, v79, v45
	s_wait_dscnt 0x0
	v_cvt_f32_f16_e32 v44, v38
	v_lshrrev_b32_e32 v38, 16, v38
	v_lshrrev_b32_e32 v45, 16, v39
	s_delay_alu instid0(VALU_DEP_3) | instskip(NEXT) | instid1(VALU_DEP_3)
	v_add_f32_e32 v104, v84, v44
	v_cvt_f32_f16_e32 v47, v38
	v_add_f32_e32 v56, v66, v46
	v_cvt_f32_f16_e32 v46, v41
	v_cvt_f32_f16_e32 v41, v37
	v_add_f32_e32 v37, v72, v36
	v_cvt_f32_f16_e32 v36, v42
	v_cvt_f32_f16_e32 v42, v43
	v_lshrrev_b32_e32 v43, 16, v43
	v_add_f32_e32 v105, v78, v46
	v_cvt_f32_f16_e32 v46, v39
	v_cvt_f32_f16_e32 v39, v40
	v_add_f32_e32 v38, v80, v36
	v_cvt_f32_f16_e32 v40, v43
	v_add_f32_e32 v36, 0x40051340, v28
	s_delay_alu instid0(VALU_DEP_4) | instskip(SKIP_1) | instid1(VALU_DEP_4)
	v_dual_add_f32 v44, 0x40051340, v33 :: v_dual_add_f32 v39, v81, v39
	v_cvt_f32_f16_e32 v45, v45
	v_add_f32_e32 v43, v83, v40
	v_dual_add_f32 v40, 0x40051340, v32 :: v_dual_add_f32 v103, v85, v47
	v_add_f32_e32 v41, v73, v41
	s_delay_alu instid0(VALU_DEP_4) | instskip(NEXT) | instid1(VALU_DEP_3)
	v_dual_add_f32 v97, v87, v45 :: v_dual_add_f32 v42, v82, v42
	v_max3_num_f32 v36, v234, v36, v40
	v_add_f32_e32 v40, 0x40051340, v29
	v_add_f32_e32 v102, v86, v46
	s_delay_alu instid0(VALU_DEP_2) | instskip(SKIP_2) | instid1(VALU_DEP_1)
	v_max3_num_f32 v36, v36, v40, v44
	v_add_f32_e32 v40, 0x40051340, v35
	v_add_f32_e32 v44, 0x40051340, v34
	v_max3_num_f32 v36, v36, v40, v44
	v_add_f32_e32 v40, 0x40051340, v31
	v_add_f32_e32 v44, 0x40051340, v30
	s_delay_alu instid0(VALU_DEP_1) | instskip(SKIP_2) | instid1(VALU_DEP_1)
	v_max3_num_f32 v36, v36, v40, v44
	v_add_f32_e32 v40, 0x40051340, v50
	v_add_f32_e32 v44, 0x40051340, v55
	v_max3_num_f32 v36, v36, v40, v44
	v_add_f32_e32 v40, 0x40051340, v56
	v_add_f32_e32 v44, 0x40051340, v59
	s_delay_alu instid0(VALU_DEP_1) | instskip(SKIP_2) | instid1(VALU_DEP_1)
	;; [unrolled: 7-line block ×6, first 2 shown]
	v_max3_num_f32 v36, v36, v40, v44
	v_add_f32_e32 v40, 0x40051340, v104
	v_add_f32_e32 v44, 0x40051340, v103
	v_max3_num_f32 v36, v36, v40, v44
	v_add_f32_e32 v40, 0x40051340, v102
	v_add_f32_e32 v44, 0x40051340, v97
	s_delay_alu instid0(VALU_DEP_1) | instskip(SKIP_4) | instid1(VALU_DEP_1)
	v_max3_num_f32 v36, v36, v40, v44
	scratch_load_b32 v40, off, off offset:16 ; 4-byte Folded Reload
	s_wait_loadcnt 0x0
	s_wait_alu 0xfffd
	v_cndmask_b32_e32 v40, v40, v235, vcc_lo
	v_lshlrev_b32_e32 v101, 2, v40
	ds_bpermute_b32 v40, v101, v36
	s_wait_dscnt 0x0
	v_max_num_f32_e32 v40, v40, v40
	s_delay_alu instid0(VALU_DEP_1) | instskip(NEXT) | instid1(VALU_DEP_1)
	v_max_num_f32_e32 v100, v36, v40
	v_sub_f32_e32 v36, v234, v100
	v_sub_f32_e32 v35, v35, v100
	;; [unrolled: 1-line block ×5, first 2 shown]
	v_mul_f32_e32 v40, 0x3fb8aa3b, v36
	v_cmp_ngt_f32_e32 vcc_lo, 0xc2ce8ed0, v36
	v_cmp_ngt_f32_e64 s5, 0xc2ce8ed0, v35
	v_sub_f32_e32 v33, v33, v100
	v_cmp_ngt_f32_e64 s4, 0xc2ce8ed0, v30
	v_fma_f32 v44, 0x3fb8aa3b, v36, -v40
	v_rndne_f32_e32 v45, v40
	v_sub_f32_e32 v29, v29, v100
	s_delay_alu instid0(VALU_DEP_3) | instskip(NEXT) | instid1(VALU_DEP_3)
	v_fmac_f32_e32 v44, 0x32a5705f, v36
	v_sub_f32_e32 v40, v40, v45
	s_delay_alu instid0(VALU_DEP_1) | instskip(SKIP_1) | instid1(VALU_DEP_2)
	v_add_f32_e32 v40, v40, v44
	v_cvt_i32_f32_e32 v44, v45
	v_exp_f32_e32 v40, v40
	s_delay_alu instid0(TRANS32_DEP_1) | instskip(SKIP_1) | instid1(VALU_DEP_1)
	v_ldexp_f32 v40, v40, v44
	s_wait_alu 0xfffd
	v_cndmask_b32_e32 v40, 0, v40, vcc_lo
	v_cmp_nlt_f32_e32 vcc_lo, 0x42b17218, v36
	s_wait_alu 0xfffd
	s_delay_alu instid0(VALU_DEP_2) | instskip(SKIP_2) | instid1(VALU_DEP_2)
	v_cndmask_b32_e32 v40, 0x7f800000, v40, vcc_lo
	v_cmp_le_f32_e32 vcc_lo, 0xc1a00000, v36
	s_wait_alu 0xfffd
	v_cndmask_b32_e32 v108, 0, v40, vcc_lo
	s_delay_alu instid0(VALU_DEP_1) | instskip(NEXT) | instid1(VALU_DEP_1)
	v_cvt_f16_f32_e32 v36, v108
	v_and_b32_e32 v36, 0xffff, v36
	s_delay_alu instid0(VALU_DEP_1) | instskip(NEXT) | instid1(VALU_DEP_1)
	v_mul_u32_u24_e32 v36, 0x10001, v36
	v_pk_mul_f16 v24, v24, v36
	v_pk_mul_f16 v25, v25, v36
	;; [unrolled: 1-line block ×28, first 2 shown]
	s_wait_alu 0xfffe
	v_add_co_u32 v36, vcc_lo, s2, v242
	s_wait_alu 0xfffd
	v_add_co_ci_u32_e64 v40, null, s3, v243, vcc_lo
	s_delay_alu instid0(VALU_DEP_2) | instskip(SKIP_1) | instid1(VALU_DEP_2)
	v_add_co_u32 v44, vcc_lo, v36, v159
	s_wait_alu 0xfffd
	v_add_co_ci_u32_e64 v45, null, 0, v40, vcc_lo
	v_add_co_u32 v36, vcc_lo, s2, v244
	s_wait_alu 0xfffd
	v_add_co_ci_u32_e64 v40, null, s3, v245, vcc_lo
	s_delay_alu instid0(VALU_DEP_2) | instskip(SKIP_1) | instid1(VALU_DEP_2)
	v_add_co_u32 v48, vcc_lo, v36, v195
	s_wait_alu 0xfffd
	v_add_co_ci_u32_e64 v49, null, 0, v40, vcc_lo
	s_clause 0x1
	global_load_b128 v[44:47], v[44:45], off offset:192
	global_load_b128 v[68:71], v[48:49], off offset:128
	v_add_co_u32 v36, vcc_lo, s2, v229
	s_wait_alu 0xfffd
	v_add_co_ci_u32_e64 v40, null, s3, v230, vcc_lo
	s_wait_loadcnt 0x1
	ds_store_b128 v204, v[44:47]
	v_add_co_u32 v44, vcc_lo, v36, v195
	s_wait_alu 0xfffd
	v_add_co_ci_u32_e64 v45, null, 0, v40, vcc_lo
	v_add_co_u32 v36, vcc_lo, s2, v151
	s_wait_alu 0xfffd
	v_add_co_ci_u32_e64 v40, null, s3, v152, vcc_lo
	s_delay_alu instid0(VALU_DEP_2) | instskip(SKIP_1) | instid1(VALU_DEP_2)
	v_add_co_u32 v48, vcc_lo, v36, v196
	s_wait_alu 0xfffd
	v_add_co_ci_u32_e64 v49, null, 0, v40, vcc_lo
	s_clause 0x1
	global_load_b128 v[44:47], v[44:45], off offset:128
	global_load_b128 v[72:75], v[48:49], off
	v_add_co_u32 v36, vcc_lo, s2, v177
	s_wait_alu 0xfffd
	v_add_co_ci_u32_e64 v40, null, s3, v178, vcc_lo
	s_wait_loadcnt 0x2
	ds_store_b128 v205, v[68:71]
	s_wait_loadcnt 0x1
	ds_store_b128 v206, v[44:47]
	v_add_co_u32 v44, vcc_lo, v36, v196
	s_wait_alu 0xfffd
	v_add_co_ci_u32_e64 v45, null, 0, v40, vcc_lo
	v_add_co_u32 v36, vcc_lo, s2, v246
	s_wait_alu 0xfffd
	v_add_co_ci_u32_e64 v40, null, s3, v247, vcc_lo
	s_delay_alu instid0(VALU_DEP_2) | instskip(SKIP_1) | instid1(VALU_DEP_2)
	v_add_co_u32 v48, vcc_lo, v36, v196
	s_wait_alu 0xfffd
	v_add_co_ci_u32_e64 v49, null, 0, v40, vcc_lo
	s_clause 0x1
	global_load_b128 v[44:47], v[44:45], off
	global_load_b128 v[68:71], v[48:49], off
	v_add_co_u32 v36, vcc_lo, s2, v236
	s_wait_alu 0xfffd
	v_add_co_ci_u32_e64 v40, null, s3, v237, vcc_lo
	v_cmp_ngt_f32_e64 s3, 0xc2ce8ed0, v31
	s_wait_loadcnt 0x2
	ds_store_b128 v207, v[72:75]
	s_wait_loadcnt 0x1
	ds_store_b128 v208, v[44:47]
	v_add_co_u32 v44, vcc_lo, v36, v196
	s_wait_alu 0xfffd
	v_add_co_ci_u32_e64 v45, null, 0, v40, vcc_lo
	v_mul_f32_e32 v36, 0x3fb8aa3b, v35
	v_cmp_ngt_f32_e32 vcc_lo, 0xc2ce8ed0, v34
	global_load_b128 v[44:47], v[44:45], off
	s_wait_loadcnt 0x1
	ds_store_b128 v209, v[68:71]
	s_wait_loadcnt 0x0
	ds_store_b128 v211, v[44:47]
	v_fma_f32 v40, 0x3fb8aa3b, v35, -v36
	v_rndne_f32_e32 v44, v36
	s_wait_dscnt 0x0
	s_barrier_signal -1
	s_barrier_wait -1
	v_fmac_f32_e32 v40, 0x32a5705f, v35
	v_sub_f32_e32 v36, v36, v44
	v_cvt_i32_f32_e32 v44, v44
	global_inv scope:SCOPE_SE
	v_add_f32_e32 v36, v36, v40
	v_mul_f32_e32 v40, 0x3fb8aa3b, v34
	s_delay_alu instid0(VALU_DEP_2) | instskip(NEXT) | instid1(VALU_DEP_1)
	v_exp_f32_e32 v36, v36
	v_fma_f32 v45, 0x3fb8aa3b, v34, -v40
	v_rndne_f32_e32 v46, v40
	s_delay_alu instid0(VALU_DEP_2) | instskip(NEXT) | instid1(VALU_DEP_2)
	v_fmac_f32_e32 v45, 0x32a5705f, v34
	v_sub_f32_e32 v40, v40, v46
	s_delay_alu instid0(TRANS32_DEP_1) | instskip(SKIP_1) | instid1(VALU_DEP_3)
	v_ldexp_f32 v36, v36, v44
	v_cvt_i32_f32_e32 v44, v46
	v_dual_add_f32 v40, v40, v45 :: v_dual_mul_f32 v45, 0x3fb8aa3b, v31
	s_delay_alu instid0(VALU_DEP_1) | instskip(NEXT) | instid1(VALU_DEP_1)
	v_exp_f32_e32 v40, v40
	v_fma_f32 v47, 0x3fb8aa3b, v31, -v45
	v_rndne_f32_e32 v48, v45
	s_delay_alu instid0(VALU_DEP_2) | instskip(NEXT) | instid1(VALU_DEP_2)
	v_fmac_f32_e32 v47, 0x32a5705f, v31
	v_sub_f32_e32 v45, v45, v48
	s_delay_alu instid0(TRANS32_DEP_1) | instskip(NEXT) | instid1(VALU_DEP_2)
	v_ldexp_f32 v40, v40, v44
	v_add_f32_e32 v45, v45, v47
	s_wait_alu 0xfffd
	s_delay_alu instid0(VALU_DEP_2) | instskip(SKIP_1) | instid1(VALU_DEP_3)
	v_dual_mul_f32 v47, 0x3fb8aa3b, v30 :: v_dual_cndmask_b32 v40, 0, v40
	v_cmp_nlt_f32_e32 vcc_lo, 0x42b17218, v34
	v_exp_f32_e32 v44, v45
	s_delay_alu instid0(VALU_DEP_2)
	v_fma_f32 v49, 0x3fb8aa3b, v30, -v47
	v_rndne_f32_e32 v53, v47
	v_cvt_i32_f32_e32 v45, v48
	s_wait_alu 0xfffd
	v_cndmask_b32_e32 v112, 0x7f800000, v40, vcc_lo
	v_cmp_ngt_f32_e32 vcc_lo, 0xc2ce8ed0, v33
	v_fmac_f32_e32 v49, 0x32a5705f, v30
	v_sub_f32_e32 v47, v47, v53
	v_cvt_i32_f32_e32 v46, v53
	v_ldexp_f32 v44, v44, v45
	s_delay_alu instid0(VALU_DEP_3) | instskip(SKIP_1) | instid1(VALU_DEP_2)
	v_add_f32_e32 v47, v47, v49
	s_wait_alu 0xf1ff
	v_cndmask_b32_e64 v34, 0, v44, s3
	v_cmp_nlt_f32_e64 s3, 0x42b17218, v31
	s_delay_alu instid0(VALU_DEP_3) | instskip(SKIP_1) | instid1(VALU_DEP_1)
	v_exp_f32_e32 v45, v47
	s_wait_alu 0xf1ff
	v_cndmask_b32_e64 v109, 0x7f800000, v34, s3
	v_cmp_ngt_f32_e64 s3, 0xc2ce8ed0, v29
	s_delay_alu instid0(TRANS32_DEP_1) | instskip(NEXT) | instid1(VALU_DEP_1)
	v_ldexp_f32 v45, v45, v46
	v_cndmask_b32_e64 v31, 0, v45, s4
	v_cmp_nlt_f32_e64 s4, 0x42b17218, v30
	v_cndmask_b32_e64 v30, 0, v36, s5
	v_cmp_nlt_f32_e64 s5, 0x42b17218, v35
	v_cvt_f16_f32_e32 v35, v112
	s_wait_alu 0xf1ff
	v_cndmask_b32_e64 v110, 0x7f800000, v31, s4
	v_cvt_f16_f32_e32 v31, v109
	v_cndmask_b32_e64 v111, 0x7f800000, v30, s5
	s_delay_alu instid0(VALU_DEP_3) | instskip(NEXT) | instid1(VALU_DEP_2)
	v_cvt_f16_f32_e32 v34, v110
	v_cvt_f16_f32_e32 v30, v111
	s_delay_alu instid0(VALU_DEP_2) | instskip(SKIP_1) | instid1(VALU_DEP_3)
	v_pack_b32_f16 v31, v31, v34
	v_mul_f32_e32 v34, 0x3fb8aa3b, v33
	v_pack_b32_f16 v30, v30, v35
	s_delay_alu instid0(VALU_DEP_2) | instskip(SKIP_1) | instid1(VALU_DEP_1)
	v_fma_f32 v35, 0x3fb8aa3b, v33, -v34
	v_rndne_f32_e32 v36, v34
	v_dual_fmac_f32 v35, 0x32a5705f, v33 :: v_dual_sub_f32 v34, v34, v36
	v_cvt_i32_f32_e32 v36, v36
	s_delay_alu instid0(VALU_DEP_2) | instskip(SKIP_2) | instid1(VALU_DEP_3)
	v_dual_add_f32 v34, v34, v35 :: v_dual_mul_f32 v35, 0x3fb8aa3b, v29
	v_sub_f32_e32 v32, v32, v100
	v_sub_f32_e32 v28, v28, v100
	v_exp_f32_e32 v34, v34
	s_delay_alu instid0(VALU_DEP_3) | instskip(SKIP_1) | instid1(VALU_DEP_1)
	v_fma_f32 v40, 0x3fb8aa3b, v29, -v35
	v_rndne_f32_e32 v44, v35
	v_dual_fmac_f32 v40, 0x32a5705f, v29 :: v_dual_sub_f32 v35, v35, v44
	s_delay_alu instid0(TRANS32_DEP_1) | instskip(SKIP_2) | instid1(VALU_DEP_2)
	v_ldexp_f32 v34, v34, v36
	v_cvt_i32_f32_e32 v36, v44
	s_wait_alu 0xfffd
	v_dual_add_f32 v35, v35, v40 :: v_dual_cndmask_b32 v34, 0, v34
	v_cmp_nlt_f32_e32 vcc_lo, 0x42b17218, v33
	s_delay_alu instid0(VALU_DEP_2) | instskip(SKIP_1) | instid1(VALU_DEP_2)
	v_exp_f32_e32 v35, v35
	s_wait_alu 0xfffd
	v_cndmask_b32_e32 v114, 0x7f800000, v34, vcc_lo
	v_cmp_ngt_f32_e32 vcc_lo, 0xc2ce8ed0, v32
	s_delay_alu instid0(TRANS32_DEP_1) | instskip(NEXT) | instid1(VALU_DEP_1)
	v_ldexp_f32 v35, v35, v36
	v_cndmask_b32_e64 v33, 0, v35, s3
	v_cmp_nlt_f32_e64 s3, 0x42b17218, v29
	s_wait_alu 0xf1ff
	s_delay_alu instid0(VALU_DEP_1) | instskip(SKIP_2) | instid1(VALU_DEP_3)
	v_cndmask_b32_e64 v113, 0x7f800000, v33, s3
	v_cvt_f16_f32_e32 v33, v114
	v_cmp_ngt_f32_e64 s3, 0xc2ce8ed0, v28
	v_cvt_f16_f32_e32 v29, v113
	s_delay_alu instid0(VALU_DEP_1) | instskip(SKIP_1) | instid1(VALU_DEP_1)
	v_pack_b32_f16 v29, v29, v33
	v_mul_f32_e32 v33, 0x3fb8aa3b, v32
	v_fma_f32 v34, 0x3fb8aa3b, v32, -v33
	v_rndne_f32_e32 v35, v33
	s_delay_alu instid0(VALU_DEP_1) | instskip(SKIP_1) | instid1(VALU_DEP_2)
	v_dual_fmac_f32 v34, 0x32a5705f, v32 :: v_dual_sub_f32 v33, v33, v35
	v_cvt_i32_f32_e32 v35, v35
	v_dual_add_f32 v33, v33, v34 :: v_dual_mul_f32 v34, 0x3fb8aa3b, v28
	s_delay_alu instid0(VALU_DEP_1) | instskip(NEXT) | instid1(VALU_DEP_1)
	v_exp_f32_e32 v33, v33
	v_fma_f32 v36, 0x3fb8aa3b, v28, -v34
	v_rndne_f32_e32 v40, v34
	s_delay_alu instid0(VALU_DEP_2) | instskip(NEXT) | instid1(VALU_DEP_2)
	v_fmac_f32_e32 v36, 0x32a5705f, v28
	v_sub_f32_e32 v34, v34, v40
	s_delay_alu instid0(TRANS32_DEP_1) | instskip(SKIP_2) | instid1(VALU_DEP_2)
	v_ldexp_f32 v33, v33, v35
	v_cvt_i32_f32_e32 v35, v40
	s_wait_alu 0xfffd
	v_dual_add_f32 v34, v34, v36 :: v_dual_cndmask_b32 v33, 0, v33
	v_cmp_nlt_f32_e32 vcc_lo, 0x42b17218, v32
	s_delay_alu instid0(VALU_DEP_2) | instskip(SKIP_1) | instid1(VALU_DEP_2)
	v_exp_f32_e32 v34, v34
	s_wait_alu 0xfffd
	v_cndmask_b32_e32 v116, 0x7f800000, v33, vcc_lo
	s_delay_alu instid0(TRANS32_DEP_1) | instskip(SKIP_1) | instid1(VALU_DEP_1)
	v_ldexp_f32 v34, v34, v35
	s_wait_alu 0xf1ff
	v_cndmask_b32_e64 v32, 0, v34, s3
	v_cmp_nlt_f32_e64 s3, 0x42b17218, v28
	s_wait_alu 0xf1ff
	s_delay_alu instid0(VALU_DEP_1) | instskip(SKIP_1) | instid1(VALU_DEP_2)
	v_cndmask_b32_e64 v115, 0x7f800000, v32, s3
	v_cvt_f16_f32_e32 v32, v116
	v_cvt_f16_f32_e32 v28, v115
	s_delay_alu instid0(VALU_DEP_1)
	v_pack_b32_f16 v28, v28, v32
	ds_load_u16 v35, v117 offset:128
	ds_load_u16 v32, v215 offset:128
	;; [unrolled: 1-line block ×7, first 2 shown]
	s_wait_dscnt 0x4
	ds_load_u16_d16_hi v46, v215 offset:720
	ds_load_u16 v89, v215 offset:640
	ds_load_u16 v34, v215 offset:1088
	;; [unrolled: 1-line block ×8, first 2 shown]
	ds_load_u16_d16_hi v32, v215 offset:368
	ds_load_u16 v87, v215 offset:512
	s_wait_dscnt 0xe
	ds_load_u16_d16_hi v88, v215 offset:400
	ds_load_u16_d16_hi v35, v118 offset:128
	s_wait_dscnt 0xf
	ds_load_u16_d16_hi v91, v118 offset:160
	s_wait_dscnt 0x8
	;; [unrolled: 2-line block ×3, first 2 shown]
	ds_load_u16_d16_hi v57, v118 offset:3840
	ds_load_u16 v83, v215 offset:576
	ds_load_u16 v84, v215 offset:1056
	ds_load_u16_d16_hi v33, v215 offset:848
	ds_load_u16_d16_hi v89, v215 offset:880
	ds_load_u16 v92, v215 offset:1024
	s_wait_dscnt 0x0
	ds_load_u16_d16_hi v92, v215 offset:1264
	ds_load_u16_d16_hi v84, v215 offset:1296
	ds_load_u16 v54, v215 offset:3840
	ds_load_u16_d16_hi v47, v215 offset:1200
	ds_load_u16_d16_hi v34, v215 offset:1328
	;; [unrolled: 1-line block ×3, first 2 shown]
	ds_load_u16 v69, v117 offset:3872
	ds_load_u16 v65, v117 offset:3904
	;; [unrolled: 1-line block ×8, first 2 shown]
	s_wait_dscnt 0x7
	ds_load_u16_d16_hi v69, v118 offset:3872
	s_wait_dscnt 0x7
	ds_load_u16_d16_hi v65, v118 offset:3904
	s_wait_dscnt 0x7
	ds_load_u16_d16_hi v61, v118 offset:3936
	s_wait_dscnt 0x7
	ds_load_u16_d16_hi v81, v118 offset:3968
	ds_load_u16_d16_hi v82, v215 offset:336
	ds_load_u16_d16_hi v121, v215 offset:1392
	ds_load_u16 v66, v215 offset:3872
	ds_load_u16 v62, v215 offset:3904
	;; [unrolled: 1-line block ×5, first 2 shown]
	ds_load_u16_d16_hi v83, v215 offset:816
	ds_load_u16 v119, v215 offset:192
	ds_load_u16 v120, v215 offset:672
	v_wmma_f16_16x16x16_f16 v[4:7], v[88:91], v[28:31], v[4:7]
	s_wait_dscnt 0x1
	ds_load_u16_d16_hi v119, v215 offset:432
	s_wait_dscnt 0x1
	ds_load_u16_d16_hi v120, v215 offset:912
	ds_load_u16 v45, v215
	ds_load_u16 v86, v215 offset:32
	ds_load_u16 v90, v215 offset:64
	;; [unrolled: 1-line block ×4, first 2 shown]
	v_wmma_f16_16x16x16_f16 v[8:11], v[32:35], v[28:31], v[8:11]
	s_wait_dscnt 0x4
	ds_load_u16_d16_hi v45, v215 offset:240
	s_wait_dscnt 0x4
	ds_load_u16_d16_hi v86, v215 offset:272
	;; [unrolled: 2-line block ×3, first 2 shown]
	ds_load_u16 v48, v117
	ds_load_u16 v44, v215 offset:12544
	ds_load_u16 v40, v215 offset:12576
	;; [unrolled: 1-line block ×4, first 2 shown]
	s_wait_dscnt 0x3
	ds_load_u16_d16_hi v44, v215 offset:12784
	s_wait_dscnt 0x3
	ds_load_u16_d16_hi v40, v215 offset:12816
	;; [unrolled: 2-line block ×4, first 2 shown]
	ds_load_u16_d16_hi v48, v118
	ds_load_u16 v98, v215 offset:12480
	s_wait_dscnt 0x0
	ds_load_u16_d16_hi v98, v215 offset:12720
	ds_load_u16 v94, v215 offset:12672
	s_wait_dscnt 0x0
	ds_load_u16_d16_hi v94, v215 offset:12912
	ds_load_u16_d16_hi v89, v118 offset:32
	;; [unrolled: 1-line block ×4, first 2 shown]
	ds_load_u16 v95, v117 offset:11712
	ds_load_u16 v88, v215 offset:992
	ds_load_u16_d16_hi v87, v215 offset:752
	ds_load_u16 v91, v215 offset:544
	v_wmma_f16_16x16x16_f16 v[0:3], v[119:122], v[28:31], v[0:3]
	v_wmma_f16_16x16x16_f16 v[24:27], v[45:48], v[28:31], v[24:27]
	s_wait_dscnt 0x4
	v_wmma_f16_16x16x16_f16 v[12:15], v[82:85], v[28:31], v[12:15]
	s_wait_dscnt 0x2
	ds_load_u16_d16_hi v88, v215 offset:1232
	s_wait_dscnt 0x1
	ds_load_u16_d16_hi v91, v215 offset:784
	s_wait_dscnt 0x1
	v_wmma_f16_16x16x16_f16 v[20:23], v[86:89], v[28:31], v[20:23]
	s_wait_dscnt 0x0
	v_wmma_f16_16x16x16_f16 v[16:19], v[90:93], v[28:31], v[16:19]
	v_sub_f32_e32 v28, v67, v100
	s_delay_alu instid0(VALU_DEP_1) | instskip(SKIP_1) | instid1(VALU_DEP_2)
	v_mul_f32_e32 v29, 0x3fb8aa3b, v28
	v_cmp_ngt_f32_e64 s5, 0xc2ce8ed0, v28
	v_fma_f32 v30, 0x3fb8aa3b, v28, -v29
	v_rndne_f32_e32 v31, v29
	s_delay_alu instid0(VALU_DEP_1) | instskip(SKIP_1) | instid1(VALU_DEP_2)
	v_dual_fmac_f32 v30, 0x32a5705f, v28 :: v_dual_sub_f32 v29, v29, v31
	v_cvt_i32_f32_e32 v31, v31
	v_dual_add_f32 v29, v29, v30 :: v_dual_sub_f32 v30, v64, v100
	s_delay_alu instid0(VALU_DEP_1) | instskip(NEXT) | instid1(VALU_DEP_1)
	v_exp_f32_e32 v29, v29
	v_mul_f32_e32 v33, 0x3fb8aa3b, v30
	v_cmp_ngt_f32_e32 vcc_lo, 0xc2ce8ed0, v30
	s_delay_alu instid0(VALU_DEP_2) | instskip(SKIP_1) | instid1(TRANS32_DEP_1)
	v_fma_f32 v34, 0x3fb8aa3b, v30, -v33
	v_rndne_f32_e32 v35, v33
	v_ldexp_f32 v29, v29, v31
	s_delay_alu instid0(VALU_DEP_2) | instskip(SKIP_1) | instid1(VALU_DEP_2)
	v_dual_fmac_f32 v34, 0x32a5705f, v30 :: v_dual_sub_f32 v33, v33, v35
	s_wait_alu 0xf1ff
	v_cndmask_b32_e64 v29, 0, v29, s5
	v_cmp_nlt_f32_e64 s5, 0x42b17218, v28
	s_delay_alu instid0(VALU_DEP_3) | instskip(SKIP_1) | instid1(VALU_DEP_2)
	v_dual_add_f32 v33, v33, v34 :: v_dual_sub_f32 v34, v63, v100
	s_wait_alu 0xf1ff
	v_cndmask_b32_e64 v123, 0x7f800000, v29, s5
	s_delay_alu instid0(VALU_DEP_2) | instskip(NEXT) | instid1(VALU_DEP_2)
	v_exp_f32_e32 v31, v33
	v_mul_f32_e32 v45, 0x3fb8aa3b, v34
	v_cvt_i32_f32_e32 v33, v35
	v_cmp_ngt_f32_e64 s3, 0xc2ce8ed0, v34
	v_cvt_f16_f32_e32 v28, v123
	s_delay_alu instid0(VALU_DEP_4) | instskip(SKIP_1) | instid1(TRANS32_DEP_1)
	v_fma_f32 v46, 0x3fb8aa3b, v34, -v45
	v_rndne_f32_e32 v47, v45
	v_ldexp_f32 v31, v31, v33
	s_delay_alu instid0(VALU_DEP_2) | instskip(SKIP_2) | instid1(VALU_DEP_3)
	v_dual_fmac_f32 v46, 0x32a5705f, v34 :: v_dual_sub_f32 v45, v45, v47
	v_cvt_i32_f32_e32 v35, v47
	s_wait_alu 0xfffd
	v_cndmask_b32_e32 v31, 0, v31, vcc_lo
	v_cmp_nlt_f32_e32 vcc_lo, 0x42b17218, v30
	v_dual_add_f32 v45, v45, v46 :: v_dual_sub_f32 v46, v60, v100
	s_wait_alu 0xfffd
	s_delay_alu instid0(VALU_DEP_3) | instskip(NEXT) | instid1(VALU_DEP_2)
	v_cndmask_b32_e32 v126, 0x7f800000, v31, vcc_lo
	v_exp_f32_e32 v33, v45
	s_delay_alu instid0(VALU_DEP_2) | instskip(SKIP_1) | instid1(VALU_DEP_2)
	v_mul_f32_e32 v48, 0x3fb8aa3b, v46
	v_cmp_ngt_f32_e64 s4, 0xc2ce8ed0, v46
	v_fma_f32 v60, 0x3fb8aa3b, v46, -v48
	v_rndne_f32_e32 v63, v48
	s_delay_alu instid0(TRANS32_DEP_1) | instskip(NEXT) | instid1(VALU_DEP_3)
	v_ldexp_f32 v33, v33, v35
	v_fmac_f32_e32 v60, 0x32a5705f, v46
	s_delay_alu instid0(VALU_DEP_3)
	v_sub_f32_e32 v48, v48, v63
	v_cvt_i32_f32_e32 v45, v63
	s_wait_alu 0xf1ff
	v_cndmask_b32_e64 v30, 0, v33, s3
	v_cmp_nlt_f32_e64 s3, 0x42b17218, v34
	v_add_f32_e32 v48, v48, v60
	s_wait_alu 0xf1ff
	s_delay_alu instid0(VALU_DEP_2) | instskip(NEXT) | instid1(VALU_DEP_2)
	v_cndmask_b32_e64 v124, 0x7f800000, v30, s3
	v_exp_f32_e32 v35, v48
	s_delay_alu instid0(VALU_DEP_1) | instskip(NEXT) | instid1(TRANS32_DEP_1)
	v_cvt_f16_f32_e32 v29, v124
	v_ldexp_f32 v35, v35, v45
	s_delay_alu instid0(VALU_DEP_1) | instskip(SKIP_2) | instid1(VALU_DEP_1)
	v_cndmask_b32_e64 v33, 0, v35, s4
	v_cmp_nlt_f32_e64 s4, 0x42b17218, v46
	s_wait_alu 0xf1ff
	v_cndmask_b32_e64 v125, 0x7f800000, v33, s4
	v_cvt_f16_f32_e32 v33, v126
	s_delay_alu instid0(VALU_DEP_2) | instskip(NEXT) | instid1(VALU_DEP_1)
	v_cvt_f16_f32_e32 v30, v125
	v_pack_b32_f16 v31, v29, v30
	s_delay_alu instid0(VALU_DEP_3) | instskip(SKIP_1) | instid1(VALU_DEP_1)
	v_pack_b32_f16 v30, v28, v33
	v_sub_f32_e32 v28, v59, v100
	v_mul_f32_e32 v29, 0x3fb8aa3b, v28
	v_cmp_ngt_f32_e32 vcc_lo, 0xc2ce8ed0, v28
	s_delay_alu instid0(VALU_DEP_2) | instskip(SKIP_1) | instid1(VALU_DEP_2)
	v_fma_f32 v33, 0x3fb8aa3b, v28, -v29
	v_rndne_f32_e32 v34, v29
	v_fmac_f32_e32 v33, 0x32a5705f, v28
	s_delay_alu instid0(VALU_DEP_2) | instskip(SKIP_1) | instid1(VALU_DEP_2)
	v_sub_f32_e32 v29, v29, v34
	v_cvt_i32_f32_e32 v34, v34
	v_add_f32_e32 v29, v29, v33
	v_sub_f32_e32 v33, v56, v100
	s_delay_alu instid0(VALU_DEP_2) | instskip(NEXT) | instid1(VALU_DEP_1)
	v_exp_f32_e32 v29, v29
	v_mul_f32_e32 v35, 0x3fb8aa3b, v33
	v_cmp_ngt_f32_e64 s3, 0xc2ce8ed0, v33
	s_delay_alu instid0(VALU_DEP_2) | instskip(SKIP_1) | instid1(TRANS32_DEP_1)
	v_fma_f32 v45, 0x3fb8aa3b, v33, -v35
	v_rndne_f32_e32 v46, v35
	v_ldexp_f32 v29, v29, v34
	s_delay_alu instid0(VALU_DEP_3) | instskip(NEXT) | instid1(VALU_DEP_3)
	v_fmac_f32_e32 v45, 0x32a5705f, v33
	v_sub_f32_e32 v35, v35, v46
	s_wait_alu 0xfffd
	s_delay_alu instid0(VALU_DEP_3) | instskip(SKIP_1) | instid1(VALU_DEP_3)
	v_cndmask_b32_e32 v29, 0, v29, vcc_lo
	v_cmp_nlt_f32_e32 vcc_lo, 0x42b17218, v28
	v_add_f32_e32 v35, v35, v45
	s_wait_alu 0xfffd
	s_delay_alu instid0(VALU_DEP_3) | instskip(NEXT) | instid1(VALU_DEP_2)
	v_cndmask_b32_e32 v128, 0x7f800000, v29, vcc_lo
	v_exp_f32_e32 v34, v35
	v_cvt_i32_f32_e32 v35, v46
	s_delay_alu instid0(VALU_DEP_2)
	v_cvt_f16_f32_e64 v29, v128
	s_delay_alu instid0(TRANS32_DEP_1) | instid1(VALU_DEP_2)
	v_ldexp_f32 v34, v34, v35
	s_wait_alu 0xf1ff
	s_delay_alu instid0(VALU_DEP_1) | instskip(SKIP_2) | instid1(VALU_DEP_1)
	v_cndmask_b32_e64 v28, 0, v34, s3
	v_cmp_nlt_f32_e64 s3, 0x42b17218, v33
	s_wait_alu 0xf1ff
	v_cndmask_b32_e64 v127, 0x7f800000, v28, s3
	s_delay_alu instid0(VALU_DEP_1) | instskip(NEXT) | instid1(VALU_DEP_1)
	v_cvt_f16_f32_e32 v28, v127
	v_pack_b32_f16 v29, v28, v29
	v_sub_f32_e32 v28, v55, v100
	ds_load_u16 v55, v215 offset:4320
	ds_load_u16 v79, v215 offset:4448
	;; [unrolled: 1-line block ×6, first 2 shown]
	v_mul_f32_e32 v33, 0x3fb8aa3b, v28
	v_cmp_ngt_f32_e32 vcc_lo, 0xc2ce8ed0, v28
	s_delay_alu instid0(VALU_DEP_2) | instskip(SKIP_1) | instid1(VALU_DEP_1)
	v_fma_f32 v34, 0x3fb8aa3b, v28, -v33
	v_rndne_f32_e32 v35, v33
	v_dual_fmac_f32 v34, 0x32a5705f, v28 :: v_dual_sub_f32 v33, v33, v35
	v_cvt_i32_f32_e32 v35, v35
	s_delay_alu instid0(VALU_DEP_2)
	v_dual_add_f32 v33, v33, v34 :: v_dual_sub_f32 v34, v50, v100
	s_wait_dscnt 0x5
	ds_load_u16_d16_hi v55, v215 offset:4560
	ds_load_u16 v59, v215 offset:4416
	s_wait_dscnt 0x6
	ds_load_u16_d16_hi v79, v215 offset:4688
	ds_load_u16 v76, v215 offset:4960
	ds_load_u16 v72, v215 offset:4992
	;; [unrolled: 1-line block ×3, first 2 shown]
	s_wait_dscnt 0x9
	ds_load_u16_d16_hi v56, v215 offset:5040
	ds_load_u16 v60, v215 offset:4896
	s_wait_dscnt 0xa
	ds_load_u16_d16_hi v80, v215 offset:5168
	ds_load_u16_d16_hi v78, v215 offset:4208
	;; [unrolled: 1-line block ×4, first 2 shown]
	s_wait_dscnt 0xd
	ds_load_u16_d16_hi v75, v215 offset:4720
	s_wait_dscnt 0xd
	ds_load_u16_d16_hi v71, v215 offset:4752
	v_exp_f32_e32 v33, v33
	v_mul_f32_e32 v45, 0x3fb8aa3b, v34
	v_cmp_ngt_f32_e64 s3, 0xc2ce8ed0, v34
	s_delay_alu instid0(VALU_DEP_2) | instskip(SKIP_1) | instid1(TRANS32_DEP_1)
	v_fma_f32 v46, 0x3fb8aa3b, v34, -v45
	v_rndne_f32_e32 v47, v45
	v_ldexp_f32 v33, v33, v35
	s_delay_alu instid0(VALU_DEP_2) | instskip(SKIP_1) | instid1(VALU_DEP_2)
	v_dual_fmac_f32 v46, 0x32a5705f, v34 :: v_dual_sub_f32 v45, v45, v47
	s_wait_alu 0xfffd
	v_cndmask_b32_e32 v33, 0, v33, vcc_lo
	v_cmp_nlt_f32_e32 vcc_lo, 0x42b17218, v28
	s_delay_alu instid0(VALU_DEP_3)
	v_add_f32_e32 v45, v45, v46
	s_wait_dscnt 0xc
	ds_load_u16_d16_hi v59, v215 offset:4656
	s_wait_dscnt 0xb
	ds_load_u16_d16_hi v76, v215 offset:5200
	;; [unrolled: 2-line block ×3, first 2 shown]
	ds_load_u16 v46, v215 offset:7712
	ds_load_u16 v82, v215 offset:7744
	;; [unrolled: 1-line block ×3, first 2 shown]
	s_wait_dscnt 0xc
	ds_load_u16_d16_hi v60, v215 offset:5136
	s_wait_alu 0xfffd
	v_cndmask_b32_e32 v130, 0x7f800000, v33, vcc_lo
	v_exp_f32_e32 v35, v45
	v_cvt_i32_f32_e32 v45, v47
	s_delay_alu instid0(VALU_DEP_2)
	v_cvt_f16_f32_e64 v33, v130
	s_delay_alu instid0(TRANS32_DEP_1) | instid1(VALU_DEP_2)
	v_ldexp_f32 v35, v35, v45
	s_wait_alu 0xf1ff
	s_delay_alu instid0(VALU_DEP_1) | instskip(SKIP_2) | instid1(VALU_DEP_1)
	v_cndmask_b32_e64 v28, 0, v35, s3
	v_cmp_nlt_f32_e64 s3, 0x42b17218, v34
	s_wait_alu 0xf1ff
	v_cndmask_b32_e64 v129, 0x7f800000, v28, s3
	s_delay_alu instid0(VALU_DEP_1) | instskip(NEXT) | instid1(VALU_DEP_1)
	v_cvt_f16_f32_e64 v28, v129
	v_pack_b32_f16 v28, v28, v33
	s_wait_dscnt 0xb
	s_delay_alu instid0(VALU_DEP_1)
	v_wmma_f16_16x16x16_f16 v[8:11], v[78:81], v[28:31], v[8:11]
	ds_load_u16_d16_hi v77, v118 offset:4000
	ds_load_u16_d16_hi v73, v118 offset:4032
	;; [unrolled: 1-line block ×4, first 2 shown]
	ds_load_u16 v85, v117 offset:7744
	ds_load_u16 v89, v117 offset:7776
	;; [unrolled: 1-line block ×7, first 2 shown]
	s_wait_dscnt 0x6
	ds_load_u16_d16_hi v85, v118 offset:7744
	s_wait_dscnt 0x6
	ds_load_u16_d16_hi v89, v118 offset:7776
	s_wait_dscnt 0x4
	ds_load_u16_d16_hi v78, v118 offset:7808
	s_wait_dscnt 0x4
	ds_load_u16_d16_hi v93, v118 offset:7840
	ds_load_u16 v70, v215 offset:4032
	ds_load_u16_d16_hi v62, v215 offset:4144
	ds_load_u16_d16_hi v54, v215 offset:4080
	s_wait_dscnt 0x2
	ds_load_u16_d16_hi v70, v215 offset:4272
	ds_load_u16 v67, v215 offset:4352
	ds_load_u16 v68, v215 offset:4832
	;; [unrolled: 1-line block ×3, first 2 shown]
	ds_load_u16_d16_hi v66, v215 offset:4112
	s_wait_dscnt 0x2
	ds_load_u16_d16_hi v68, v215 offset:5072
	ds_load_u16_d16_hi v67, v215 offset:4592
	s_wait_dscnt 0x3
	ds_load_u16_d16_hi v63, v215 offset:4624
	ds_load_u16 v64, v215 offset:4864
	v_wmma_f16_16x16x16_f16 v[4:7], v[74:77], v[28:31], v[4:7]
	v_wmma_f16_16x16x16_f16 v[0:3], v[70:73], v[28:31], v[0:3]
	;; [unrolled: 1-line block ×4, first 2 shown]
	s_wait_dscnt 0x2
	v_wmma_f16_16x16x16_f16 v[20:23], v[66:69], v[28:31], v[20:23]
	s_wait_dscnt 0x0
	ds_load_u16_d16_hi v64, v215 offset:5104
	s_wait_dscnt 0x0
	v_wmma_f16_16x16x16_f16 v[16:19], v[62:65], v[28:31], v[16:19]
	v_sub_f32_e32 v28, v107, v100
	s_delay_alu instid0(VALU_DEP_1) | instskip(SKIP_1) | instid1(VALU_DEP_2)
	v_mul_f32_e32 v29, 0x3fb8aa3b, v28
	v_cmp_ngt_f32_e64 s5, 0xc2ce8ed0, v28
	v_fma_f32 v30, 0x3fb8aa3b, v28, -v29
	v_rndne_f32_e32 v31, v29
	s_delay_alu instid0(VALU_DEP_1) | instskip(SKIP_1) | instid1(VALU_DEP_2)
	v_dual_fmac_f32 v30, 0x32a5705f, v28 :: v_dual_sub_f32 v29, v29, v31
	v_cvt_i32_f32_e32 v31, v31
	v_dual_add_f32 v29, v29, v30 :: v_dual_sub_f32 v30, v106, v100
	s_delay_alu instid0(VALU_DEP_1) | instskip(NEXT) | instid1(VALU_DEP_1)
	v_exp_f32_e32 v29, v29
	v_mul_f32_e32 v33, 0x3fb8aa3b, v30
	v_cmp_ngt_f32_e32 vcc_lo, 0xc2ce8ed0, v30
	s_delay_alu instid0(VALU_DEP_2) | instskip(SKIP_1) | instid1(TRANS32_DEP_1)
	v_fma_f32 v34, 0x3fb8aa3b, v30, -v33
	v_rndne_f32_e32 v35, v33
	v_ldexp_f32 v29, v29, v31
	s_delay_alu instid0(VALU_DEP_2) | instskip(SKIP_1) | instid1(VALU_DEP_2)
	v_dual_fmac_f32 v34, 0x32a5705f, v30 :: v_dual_sub_f32 v33, v33, v35
	s_wait_alu 0xf1ff
	v_cndmask_b32_e64 v29, 0, v29, s5
	v_cmp_nlt_f32_e64 s5, 0x42b17218, v28
	s_delay_alu instid0(VALU_DEP_3) | instskip(SKIP_1) | instid1(VALU_DEP_2)
	v_add_f32_e32 v33, v33, v34
	v_sub_f32_e32 v34, v105, v100
	v_exp_f32_e32 v31, v33
	s_delay_alu instid0(VALU_DEP_1) | instskip(SKIP_2) | instid1(VALU_DEP_3)
	v_mul_f32_e32 v47, 0x3fb8aa3b, v34
	v_cvt_i32_f32_e32 v33, v35
	v_cmp_ngt_f32_e64 s3, 0xc2ce8ed0, v34
	v_fma_f32 v48, 0x3fb8aa3b, v34, -v47
	v_rndne_f32_e32 v54, v47
	s_delay_alu instid0(TRANS32_DEP_1) | instid1(VALU_DEP_4)
	v_ldexp_f32 v31, v31, v33
	s_delay_alu instid0(VALU_DEP_3) | instskip(NEXT) | instid1(VALU_DEP_3)
	v_fmac_f32_e32 v48, 0x32a5705f, v34
	v_sub_f32_e32 v47, v47, v54
	v_cvt_i32_f32_e32 v35, v54
	s_wait_alu 0xf1ff
	v_cndmask_b32_e64 v54, 0x7f800000, v29, s5
	s_wait_alu 0xfffd
	v_cndmask_b32_e32 v31, 0, v31, vcc_lo
	v_cmp_nlt_f32_e32 vcc_lo, 0x42b17218, v30
	v_add_f32_e32 v47, v47, v48
	v_sub_f32_e32 v48, v96, v100
	v_cvt_f16_f32_e32 v28, v54
	s_delay_alu instid0(VALU_DEP_3) | instskip(NEXT) | instid1(VALU_DEP_2)
	v_exp_f32_e32 v33, v47
	v_mul_f32_e32 v55, 0x3fb8aa3b, v48
	v_cmp_ngt_f32_e64 s4, 0xc2ce8ed0, v48
	s_delay_alu instid0(VALU_DEP_2) | instskip(SKIP_1) | instid1(TRANS32_DEP_1)
	v_fma_f32 v56, 0x3fb8aa3b, v48, -v55
	v_rndne_f32_e32 v57, v55
	v_ldexp_f32 v33, v33, v35
	s_delay_alu instid0(VALU_DEP_2)
	v_dual_fmac_f32 v56, 0x32a5705f, v48 :: v_dual_sub_f32 v55, v55, v57
	v_cvt_i32_f32_e32 v47, v57
	s_wait_alu 0xfffd
	v_cndmask_b32_e32 v57, 0x7f800000, v31, vcc_lo
	v_cndmask_b32_e64 v30, 0, v33, s3
	v_cmp_nlt_f32_e64 s3, 0x42b17218, v34
	v_add_f32_e32 v55, v55, v56
	s_delay_alu instid0(VALU_DEP_1) | instskip(SKIP_1) | instid1(VALU_DEP_2)
	v_exp_f32_e32 v35, v55
	s_wait_alu 0xf1ff
	v_cndmask_b32_e64 v55, 0x7f800000, v30, s3
	s_delay_alu instid0(VALU_DEP_1) | instskip(NEXT) | instid1(TRANS32_DEP_1)
	v_cvt_f16_f32_e32 v29, v55
	v_ldexp_f32 v35, v35, v47
	s_delay_alu instid0(VALU_DEP_1) | instskip(SKIP_2) | instid1(VALU_DEP_1)
	v_cndmask_b32_e64 v33, 0, v35, s4
	v_cmp_nlt_f32_e64 s4, 0x42b17218, v48
	s_wait_alu 0xf1ff
	v_cndmask_b32_e64 v56, 0x7f800000, v33, s4
	v_cvt_f16_f32_e32 v33, v57
	s_delay_alu instid0(VALU_DEP_2) | instskip(NEXT) | instid1(VALU_DEP_1)
	v_cvt_f16_f32_e32 v30, v56
	v_pack_b32_f16 v31, v29, v30
	s_delay_alu instid0(VALU_DEP_3) | instskip(SKIP_1) | instid1(VALU_DEP_1)
	v_pack_b32_f16 v30, v28, v33
	v_sub_f32_e32 v28, v52, v100
	v_mul_f32_e32 v29, 0x3fb8aa3b, v28
	v_cmp_ngt_f32_e32 vcc_lo, 0xc2ce8ed0, v28
	s_delay_alu instid0(VALU_DEP_2) | instskip(SKIP_1) | instid1(VALU_DEP_2)
	v_fma_f32 v33, 0x3fb8aa3b, v28, -v29
	v_rndne_f32_e32 v34, v29
	v_fmac_f32_e32 v33, 0x32a5705f, v28
	s_delay_alu instid0(VALU_DEP_2) | instskip(SKIP_1) | instid1(VALU_DEP_2)
	v_sub_f32_e32 v29, v29, v34
	v_cvt_i32_f32_e32 v34, v34
	v_add_f32_e32 v29, v29, v33
	v_sub_f32_e32 v33, v51, v100
	s_delay_alu instid0(VALU_DEP_2) | instskip(NEXT) | instid1(VALU_DEP_1)
	v_exp_f32_e32 v29, v29
	v_mul_f32_e32 v35, 0x3fb8aa3b, v33
	v_cmp_ngt_f32_e64 s3, 0xc2ce8ed0, v33
	s_delay_alu instid0(VALU_DEP_2) | instskip(SKIP_1) | instid1(TRANS32_DEP_1)
	v_fma_f32 v47, 0x3fb8aa3b, v33, -v35
	v_rndne_f32_e32 v48, v35
	v_ldexp_f32 v29, v29, v34
	s_delay_alu instid0(VALU_DEP_3) | instskip(NEXT) | instid1(VALU_DEP_3)
	v_fmac_f32_e32 v47, 0x32a5705f, v33
	v_sub_f32_e32 v35, v35, v48
	s_wait_alu 0xfffd
	s_delay_alu instid0(VALU_DEP_3) | instskip(SKIP_1) | instid1(VALU_DEP_3)
	v_cndmask_b32_e32 v29, 0, v29, vcc_lo
	v_cmp_nlt_f32_e32 vcc_lo, 0x42b17218, v28
	v_add_f32_e32 v35, v35, v47
	s_wait_alu 0xfffd
	s_delay_alu instid0(VALU_DEP_3) | instskip(NEXT) | instid1(VALU_DEP_2)
	v_cndmask_b32_e32 v59, 0x7f800000, v29, vcc_lo
	v_exp_f32_e32 v34, v35
	v_cvt_i32_f32_e32 v35, v48
	s_delay_alu instid0(VALU_DEP_2)
	v_cvt_f16_f32_e32 v29, v59
	s_delay_alu instid0(TRANS32_DEP_1) | instid1(VALU_DEP_2)
	v_ldexp_f32 v34, v34, v35
	s_wait_alu 0xf1ff
	s_delay_alu instid0(VALU_DEP_1) | instskip(SKIP_2) | instid1(VALU_DEP_1)
	v_cndmask_b32_e64 v28, 0, v34, s3
	v_cmp_nlt_f32_e64 s3, 0x42b17218, v33
	s_wait_alu 0xf1ff
	v_cndmask_b32_e64 v58, 0x7f800000, v28, s3
	s_delay_alu instid0(VALU_DEP_1) | instskip(NEXT) | instid1(VALU_DEP_1)
	v_cvt_f16_f32_e32 v28, v58
	v_pack_b32_f16 v29, v28, v29
	v_sub_f32_e32 v28, v41, v100
	s_delay_alu instid0(VALU_DEP_1) | instskip(SKIP_1) | instid1(VALU_DEP_2)
	v_mul_f32_e32 v33, 0x3fb8aa3b, v28
	v_cmp_ngt_f32_e32 vcc_lo, 0xc2ce8ed0, v28
	v_fma_f32 v34, 0x3fb8aa3b, v28, -v33
	v_rndne_f32_e32 v35, v33
	s_delay_alu instid0(VALU_DEP_1) | instskip(SKIP_1) | instid1(VALU_DEP_2)
	v_dual_fmac_f32 v34, 0x32a5705f, v28 :: v_dual_sub_f32 v33, v33, v35
	v_cvt_i32_f32_e32 v35, v35
	v_add_f32_e32 v33, v33, v34
	v_sub_f32_e32 v34, v37, v100
	s_delay_alu instid0(VALU_DEP_2) | instskip(NEXT) | instid1(VALU_DEP_1)
	v_exp_f32_e32 v33, v33
	v_mul_f32_e32 v37, 0x3fb8aa3b, v34
	v_cmp_ngt_f32_e64 s3, 0xc2ce8ed0, v34
	s_delay_alu instid0(VALU_DEP_2) | instskip(SKIP_1) | instid1(TRANS32_DEP_1)
	v_fma_f32 v41, 0x3fb8aa3b, v34, -v37
	v_rndne_f32_e32 v47, v37
	v_ldexp_f32 v33, v33, v35
	s_delay_alu instid0(VALU_DEP_3) | instskip(NEXT) | instid1(VALU_DEP_3)
	v_fmac_f32_e32 v41, 0x32a5705f, v34
	v_sub_f32_e32 v37, v37, v47
	s_wait_alu 0xfffd
	s_delay_alu instid0(VALU_DEP_3) | instskip(SKIP_1) | instid1(VALU_DEP_3)
	v_cndmask_b32_e32 v33, 0, v33, vcc_lo
	v_cmp_nlt_f32_e32 vcc_lo, 0x42b17218, v28
	v_add_f32_e32 v37, v37, v41
	s_wait_alu 0xfffd
	s_delay_alu instid0(VALU_DEP_3) | instskip(NEXT) | instid1(VALU_DEP_2)
	v_cndmask_b32_e32 v61, 0x7f800000, v33, vcc_lo
	v_exp_f32_e32 v35, v37
	v_cvt_i32_f32_e32 v37, v47
	ds_load_u16 v51, v215 offset:8160
	ds_load_u16 v91, v215 offset:8320
	;; [unrolled: 1-line block ×3, first 2 shown]
	ds_load_u16_d16_hi v46, v215 offset:7952
	ds_load_u16_d16_hi v82, v215 offset:7984
	;; [unrolled: 1-line block ×3, first 2 shown]
	ds_load_u16 v119, v215 offset:7872
	ds_load_u16 v47, v215 offset:8192
	;; [unrolled: 1-line block ×5, first 2 shown]
	s_wait_dscnt 0xa
	ds_load_u16_d16_hi v51, v215 offset:8400
	s_wait_dscnt 0xa
	ds_load_u16_d16_hi v91, v215 offset:8560
	;; [unrolled: 2-line block ×3, first 2 shown]
	ds_load_u16_d16_hi v50, v215 offset:7920
	ds_load_u16 v90, v215 offset:7840
	s_wait_dscnt 0x9
	ds_load_u16_d16_hi v119, v215 offset:8112
	s_wait_dscnt 0x9
	ds_load_u16_d16_hi v47, v215 offset:8432
	;; [unrolled: 2-line block ×5, first 2 shown]
	ds_load_u16 v120, v215 offset:8352
	ds_load_u16 v121, v215 offset:8832
	;; [unrolled: 1-line block ×7, first 2 shown]
	s_wait_dscnt 0x6
	ds_load_u16_d16_hi v120, v215 offset:8592
	v_ldexp_f32 v35, v35, v37
	s_wait_dscnt 0x5
	ds_load_u16_d16_hi v48, v215 offset:8912
	s_wait_dscnt 0x5
	ds_load_u16_d16_hi v84, v215 offset:8944
	;; [unrolled: 2-line block ×5, first 2 shown]
	ds_load_u16_d16_hi v121, v215 offset:9072
	ds_load_u16 v96, v215 offset:11520
	ds_load_u16 v75, v215 offset:7808
	s_wait_alu 0xf1ff
	v_cndmask_b32_e64 v28, 0, v35, s3
	v_cmp_nlt_f32_e64 s3, 0x42b17218, v34
	v_cvt_f16_f32_e32 v33, v61
	s_wait_dscnt 0x0
	ds_load_u16_d16_hi v75, v215 offset:8048
	ds_load_u16_d16_hi v90, v215 offset:8080
	s_wait_alu 0xf1ff
	v_cndmask_b32_e64 v60, 0x7f800000, v28, s3
	s_delay_alu instid0(VALU_DEP_1) | instskip(NEXT) | instid1(VALU_DEP_1)
	v_cvt_f16_f32_e32 v28, v60
	v_pack_b32_f16 v28, v28, v33
	s_delay_alu instid0(VALU_DEP_1)
	v_wmma_f16_16x16x16_f16 v[20:23], v[46:49], v[28:31], v[20:23]
	ds_load_u16 v41, v117 offset:11616
	ds_load_u16 v37, v117 offset:11648
	;; [unrolled: 1-line block ×3, first 2 shown]
	ds_load_u16_d16_hi v122, v118 offset:7872
	ds_load_u16_d16_hi v99, v118 offset:11520
	ds_load_u16 v49, v117 offset:11552
	v_wmma_f16_16x16x16_f16 v[24:27], v[50:53], v[28:31], v[24:27]
	v_wmma_f16_16x16x16_f16 v[16:19], v[82:85], v[28:31], v[16:19]
	;; [unrolled: 1-line block ×3, first 2 shown]
	s_wait_dscnt 0x7
	v_wmma_f16_16x16x16_f16 v[8:11], v[75:78], v[28:31], v[8:11]
	s_wait_dscnt 0x6
	v_wmma_f16_16x16x16_f16 v[4:7], v[90:93], v[28:31], v[4:7]
	s_wait_dscnt 0x0
	ds_load_u16_d16_hi v49, v118 offset:11552
	ds_load_u16_d16_hi v45, v118 offset:11584
	;; [unrolled: 1-line block ×6, first 2 shown]
	v_wmma_f16_16x16x16_f16 v[0:3], v[119:122], v[28:31], v[0:3]
	v_sub_f32_e32 v28, v104, v100
	s_delay_alu instid0(VALU_DEP_1) | instskip(SKIP_1) | instid1(VALU_DEP_2)
	v_mul_f32_e32 v29, 0x3fb8aa3b, v28
	v_cmp_ngt_f32_e64 s5, 0xc2ce8ed0, v28
	v_fma_f32 v30, 0x3fb8aa3b, v28, -v29
	v_rndne_f32_e32 v31, v29
	s_delay_alu instid0(VALU_DEP_1) | instskip(SKIP_1) | instid1(VALU_DEP_2)
	v_dual_fmac_f32 v30, 0x32a5705f, v28 :: v_dual_sub_f32 v29, v29, v31
	v_cvt_i32_f32_e32 v31, v31
	v_dual_add_f32 v29, v29, v30 :: v_dual_sub_f32 v30, v103, v100
	s_delay_alu instid0(VALU_DEP_1) | instskip(NEXT) | instid1(VALU_DEP_1)
	v_exp_f32_e32 v29, v29
	v_mul_f32_e32 v34, 0x3fb8aa3b, v30
	v_cmp_ngt_f32_e32 vcc_lo, 0xc2ce8ed0, v30
	s_delay_alu instid0(VALU_DEP_2) | instskip(SKIP_1) | instid1(TRANS32_DEP_1)
	v_fma_f32 v35, 0x3fb8aa3b, v30, -v34
	v_rndne_f32_e32 v46, v34
	v_ldexp_f32 v29, v29, v31
	s_delay_alu instid0(VALU_DEP_3) | instskip(NEXT) | instid1(VALU_DEP_3)
	v_fmac_f32_e32 v35, 0x32a5705f, v30
	v_sub_f32_e32 v34, v34, v46
	s_wait_alu 0xf1ff
	s_delay_alu instid0(VALU_DEP_3) | instskip(SKIP_1) | instid1(VALU_DEP_3)
	v_cndmask_b32_e64 v29, 0, v29, s5
	v_cmp_nlt_f32_e64 s5, 0x42b17218, v28
	v_add_f32_e32 v34, v34, v35
	s_wait_alu 0xf1ff
	s_delay_alu instid0(VALU_DEP_2) | instskip(NEXT) | instid1(VALU_DEP_2)
	v_cndmask_b32_e64 v28, 0x7f800000, v29, s5
	v_exp_f32_e32 v31, v34
	v_cvt_i32_f32_e32 v34, v46
	s_delay_alu instid0(TRANS32_DEP_1) | instid1(VALU_DEP_1)
	v_ldexp_f32 v31, v31, v34
	s_wait_alu 0xfffd
	s_delay_alu instid0(VALU_DEP_1) | instskip(NEXT) | instid1(VALU_DEP_1)
	v_dual_sub_f32 v34, v102, v100 :: v_dual_cndmask_b32 v31, 0, v31
	v_mul_f32_e32 v35, 0x3fb8aa3b, v34
	v_cmp_nlt_f32_e32 vcc_lo, 0x42b17218, v30
	v_cmp_ngt_f32_e64 s3, 0xc2ce8ed0, v34
	s_delay_alu instid0(VALU_DEP_3) | instskip(SKIP_3) | instid1(VALU_DEP_2)
	v_fma_f32 v46, 0x3fb8aa3b, v34, -v35
	v_rndne_f32_e32 v47, v35
	s_wait_alu 0xfffd
	v_cndmask_b32_e32 v63, 0x7f800000, v31, vcc_lo
	v_dual_fmac_f32 v46, 0x32a5705f, v34 :: v_dual_sub_f32 v35, v35, v47
	s_delay_alu instid0(VALU_DEP_1) | instskip(NEXT) | instid1(VALU_DEP_1)
	v_dual_add_f32 v35, v35, v46 :: v_dual_sub_f32 v46, v97, v100
	v_exp_f32_e32 v30, v35
	s_delay_alu instid0(VALU_DEP_1) | instskip(SKIP_2) | instid1(VALU_DEP_3)
	v_mul_f32_e32 v48, 0x3fb8aa3b, v46
	v_cvt_i32_f32_e32 v35, v47
	v_cmp_ngt_f32_e64 s4, 0xc2ce8ed0, v46
	v_fma_f32 v50, 0x3fb8aa3b, v46, -v48
	v_rndne_f32_e32 v51, v48
	s_delay_alu instid0(TRANS32_DEP_1) | instid1(VALU_DEP_4)
	v_ldexp_f32 v30, v30, v35
	s_delay_alu instid0(VALU_DEP_3) | instskip(NEXT) | instid1(VALU_DEP_3)
	v_fmac_f32_e32 v50, 0x32a5705f, v46
	v_sub_f32_e32 v48, v48, v51
	v_cvt_i32_f32_e32 v47, v51
	s_wait_alu 0xf1ff
	v_cndmask_b32_e64 v30, 0, v30, s3
	v_cmp_nlt_f32_e64 s3, 0x42b17218, v34
	v_add_f32_e32 v48, v48, v50
	s_wait_alu 0xf1ff
	s_delay_alu instid0(VALU_DEP_2) | instskip(NEXT) | instid1(VALU_DEP_2)
	v_cndmask_b32_e64 v29, 0x7f800000, v30, s3
	v_exp_f32_e32 v35, v48
	v_cvt_f16_f32_e32 v30, v28
	s_delay_alu instid0(VALU_DEP_2) | instskip(NEXT) | instid1(TRANS32_DEP_1)
	v_cvt_f16_f32_e32 v31, v29
	v_ldexp_f32 v35, v35, v47
	s_delay_alu instid0(VALU_DEP_1) | instskip(SKIP_3) | instid1(VALU_DEP_2)
	v_cndmask_b32_e64 v34, 0, v35, s4
	v_cmp_nlt_f32_e64 s4, 0x42b17218, v46
	v_cvt_f16_f32_e32 v35, v63
	s_wait_alu 0xf1ff
	v_cndmask_b32_e64 v62, 0x7f800000, v34, s4
	s_delay_alu instid0(VALU_DEP_2) | instskip(SKIP_1) | instid1(VALU_DEP_3)
	v_pack_b32_f16 v52, v30, v35
	v_sub_f32_e32 v30, v43, v100
	v_cvt_f16_f32_e32 v34, v62
	s_delay_alu instid0(VALU_DEP_2) | instskip(NEXT) | instid1(VALU_DEP_2)
	v_cmp_ngt_f32_e32 vcc_lo, 0xc2ce8ed0, v30
	v_pack_b32_f16 v53, v31, v34
	v_mul_f32_e32 v31, 0x3fb8aa3b, v30
	s_delay_alu instid0(VALU_DEP_1) | instskip(SKIP_1) | instid1(VALU_DEP_1)
	v_fma_f32 v34, 0x3fb8aa3b, v30, -v31
	v_rndne_f32_e32 v35, v31
	v_dual_fmac_f32 v34, 0x32a5705f, v30 :: v_dual_sub_f32 v31, v31, v35
	v_cvt_i32_f32_e32 v35, v35
	s_delay_alu instid0(VALU_DEP_2) | instskip(NEXT) | instid1(VALU_DEP_1)
	v_dual_add_f32 v31, v31, v34 :: v_dual_sub_f32 v34, v42, v100
	v_exp_f32_e32 v31, v31
	s_delay_alu instid0(VALU_DEP_1) | instskip(SKIP_1) | instid1(VALU_DEP_2)
	v_mul_f32_e32 v42, 0x3fb8aa3b, v34
	v_cmp_ngt_f32_e64 s3, 0xc2ce8ed0, v34
	v_fma_f32 v43, 0x3fb8aa3b, v34, -v42
	v_rndne_f32_e32 v46, v42
	s_delay_alu instid0(TRANS32_DEP_1) | instskip(NEXT) | instid1(VALU_DEP_3)
	v_ldexp_f32 v31, v31, v35
	v_fmac_f32_e32 v43, 0x32a5705f, v34
	s_wait_alu 0xfffd
	s_delay_alu instid0(VALU_DEP_2) | instskip(SKIP_1) | instid1(VALU_DEP_2)
	v_dual_sub_f32 v42, v42, v46 :: v_dual_cndmask_b32 v31, 0, v31
	v_cmp_nlt_f32_e32 vcc_lo, 0x42b17218, v30
	v_add_f32_e32 v42, v42, v43
	s_wait_alu 0xfffd
	s_delay_alu instid0(VALU_DEP_3) | instskip(NEXT) | instid1(VALU_DEP_2)
	v_cndmask_b32_e32 v65, 0x7f800000, v31, vcc_lo
	v_exp_f32_e32 v35, v42
	v_cvt_i32_f32_e32 v42, v46
	s_delay_alu instid0(VALU_DEP_2)
	v_cvt_f16_f32_e32 v31, v65
	s_delay_alu instid0(TRANS32_DEP_1) | instid1(VALU_DEP_2)
	v_ldexp_f32 v35, v35, v42
	s_wait_alu 0xf1ff
	s_delay_alu instid0(VALU_DEP_1) | instskip(SKIP_2) | instid1(VALU_DEP_1)
	v_cndmask_b32_e64 v30, 0, v35, s3
	v_cmp_nlt_f32_e64 s3, 0x42b17218, v34
	s_wait_alu 0xf1ff
	v_cndmask_b32_e64 v64, 0x7f800000, v30, s3
	s_delay_alu instid0(VALU_DEP_1) | instskip(NEXT) | instid1(VALU_DEP_1)
	v_cvt_f16_f32_e32 v30, v64
	v_pack_b32_f16 v51, v30, v31
	v_sub_f32_e32 v30, v39, v100
	s_delay_alu instid0(VALU_DEP_1) | instskip(SKIP_1) | instid1(VALU_DEP_2)
	v_mul_f32_e32 v31, 0x3fb8aa3b, v30
	v_cmp_ngt_f32_e32 vcc_lo, 0xc2ce8ed0, v30
	v_fma_f32 v34, 0x3fb8aa3b, v30, -v31
	v_rndne_f32_e32 v35, v31
	s_delay_alu instid0(VALU_DEP_1) | instskip(SKIP_1) | instid1(VALU_DEP_2)
	v_dual_fmac_f32 v34, 0x32a5705f, v30 :: v_dual_sub_f32 v31, v31, v35
	v_cvt_i32_f32_e32 v35, v35
	v_dual_add_f32 v31, v31, v34 :: v_dual_sub_f32 v34, v38, v100
	s_delay_alu instid0(VALU_DEP_1) | instskip(NEXT) | instid1(VALU_DEP_1)
	v_exp_f32_e32 v31, v31
	v_mul_f32_e32 v38, 0x3fb8aa3b, v34
	v_cmp_ngt_f32_e64 s3, 0xc2ce8ed0, v34
	s_delay_alu instid0(VALU_DEP_2) | instskip(SKIP_1) | instid1(TRANS32_DEP_1)
	v_fma_f32 v39, 0x3fb8aa3b, v34, -v38
	v_rndne_f32_e32 v42, v38
	v_ldexp_f32 v31, v31, v35
	s_delay_alu instid0(VALU_DEP_3) | instskip(SKIP_1) | instid1(VALU_DEP_2)
	v_fmac_f32_e32 v39, 0x32a5705f, v34
	s_wait_alu 0xfffd
	v_dual_sub_f32 v38, v38, v42 :: v_dual_cndmask_b32 v31, 0, v31
	v_cmp_nlt_f32_e32 vcc_lo, 0x42b17218, v30
	s_delay_alu instid0(VALU_DEP_2)
	v_add_f32_e32 v38, v38, v39
	ds_load_u16 v43, v215 offset:12064
	ds_load_u16 v39, v215 offset:12096
	;; [unrolled: 1-line block ×3, first 2 shown]
	ds_load_u16_d16_hi v96, v215 offset:11760
	s_wait_dscnt 0x3
	ds_load_u16_d16_hi v43, v215 offset:12304
	s_wait_dscnt 0x3
	;; [unrolled: 2-line block ×3, first 2 shown]
	ds_load_u16_d16_hi v97, v215 offset:12240
	v_exp_f32_e32 v35, v38
	v_cvt_i32_f32_e32 v38, v42
	ds_load_u16 v46, v215 offset:11552
	ds_load_u16 v92, v215 offset:11712
	;; [unrolled: 1-line block ×5, first 2 shown]
	s_wait_alu 0xfffd
	v_cndmask_b32_e32 v67, 0x7f800000, v31, vcc_lo
	s_delay_alu instid0(VALU_DEP_1) | instskip(SKIP_2) | instid1(VALU_DEP_1)
	v_cvt_f16_f32_e32 v31, v67
	v_ldexp_f32 v35, v35, v38
	s_wait_alu 0xf1ff
	v_cndmask_b32_e64 v30, 0, v35, s3
	v_cmp_nlt_f32_e64 s3, 0x42b17218, v34
	s_wait_alu 0xf1ff
	s_delay_alu instid0(VALU_DEP_1) | instskip(NEXT) | instid1(VALU_DEP_1)
	v_cndmask_b32_e64 v66, 0x7f800000, v30, s3
	v_cvt_f16_f32_e32 v30, v66
	s_delay_alu instid0(VALU_DEP_1)
	v_pack_b32_f16 v50, v30, v31
	s_wait_dscnt 0x4
	ds_load_u16_d16_hi v46, v215 offset:11792
	ds_load_u16 v30, v215 offset:11680
	s_wait_dscnt 0x5
	ds_load_u16_d16_hi v92, v215 offset:11952
	s_wait_dscnt 0x5
	ds_load_u16_d16_hi v47, v215 offset:12272
	ds_load_u16 v31, v215 offset:12160
	s_wait_dscnt 0x6
	ds_load_u16_d16_hi v93, v215 offset:12432
	s_wait_dscnt 0x6
	ds_load_u16_d16_hi v48, v215 offset:12752
	ds_load_u16 v42, v215 offset:11584
	ds_load_u16 v38, v215 offset:11616
	;; [unrolled: 1-line block ×3, first 2 shown]
	s_wait_dscnt 0x2
	ds_load_u16_d16_hi v42, v215 offset:11824
	s_wait_dscnt 0x2
	ds_load_u16_d16_hi v38, v215 offset:11856
	;; [unrolled: 2-line block ×3, first 2 shown]
	ds_load_u16_d16_hi v30, v215 offset:11920
	ds_load_u16 v35, v215 offset:12128
	s_wait_dscnt 0x0
	ds_load_u16_d16_hi v35, v215 offset:12368
	ds_load_u16_d16_hi v31, v215 offset:12400
	v_wmma_f16_16x16x16_f16 v[24:27], v[96:99], v[50:53], v[24:27]
	v_wmma_f16_16x16x16_f16 v[20:23], v[46:49], v[50:53], v[20:23]
	;; [unrolled: 1-line block ×5, first 2 shown]
	s_wait_loadcnt_dscnt 0x0
	s_barrier_signal -1
	s_barrier_wait -1
	global_inv scope:SCOPE_SE
	v_wmma_f16_16x16x16_f16 v[8:11], v[34:37], v[50:53], v[8:11]
	v_wmma_f16_16x16x16_f16 v[4:7], v[30:33], v[50:53], v[4:7]
	v_add_f32_e32 v30, v115, v116
	s_delay_alu instid0(VALU_DEP_1) | instskip(NEXT) | instid1(VALU_DEP_1)
	v_add_f32_e32 v30, v113, v30
	v_add_f32_e32 v30, v114, v30
	s_delay_alu instid0(VALU_DEP_1) | instskip(NEXT) | instid1(VALU_DEP_1)
	v_add_f32_e32 v30, v111, v30
	;; [unrolled: 3-line block ×15, first 2 shown]
	v_add_f32_e32 v28, v62, v28
	s_delay_alu instid0(VALU_DEP_1)
	v_fmac_f32_e32 v28, v233, v108
	ds_bpermute_b32 v29, v101, v28
	s_wait_dscnt 0x0
	v_add_f32_e32 v101, v28, v29
	s_cbranch_scc1 .LBB19_134
; %bb.133:                              ;   in Loop: Header=BB19_9 Depth=1
	scratch_load_b32 v28, off, off offset:256 ; 4-byte Folded Reload
	v_max_num_f32_e32 v29, v100, v100
	s_wait_loadcnt 0x0
	v_lshlrev_b32_e32 v28, 2, v28
	global_load_b32 v28, v28, s[74:75]
	s_wait_loadcnt 0x0
	v_max_num_f32_e32 v30, v28, v28
	s_delay_alu instid0(VALU_DEP_1) | instskip(NEXT) | instid1(VALU_DEP_1)
	v_max_num_f32_e32 v29, v29, v30
	v_sub_f32_e32 v30, v100, v29
	v_sub_f32_e32 v28, v28, v29
	s_delay_alu instid0(VALU_DEP_2) | instskip(NEXT) | instid1(VALU_DEP_1)
	v_dual_mov_b32 v100, v29 :: v_dual_mul_f32 v31, 0x3fb8aa3b, v30
	v_fma_f32 v32, 0x3fb8aa3b, v30, -v31
	v_rndne_f32_e32 v33, v31
	s_delay_alu instid0(VALU_DEP_1) | instskip(SKIP_1) | instid1(VALU_DEP_2)
	v_dual_fmac_f32 v32, 0x32a5705f, v30 :: v_dual_sub_f32 v31, v31, v33
	v_cvt_i32_f32_e32 v33, v33
	v_add_f32_e32 v31, v31, v32
	v_cmp_ngt_f32_e32 vcc_lo, 0xc2ce8ed0, v30
	s_delay_alu instid0(VALU_DEP_2) | instskip(NEXT) | instid1(TRANS32_DEP_1)
	v_exp_f32_e32 v31, v31
	v_ldexp_f32 v31, v31, v33
	s_wait_alu 0xfffd
	s_delay_alu instid0(VALU_DEP_1) | instskip(SKIP_1) | instid1(VALU_DEP_2)
	v_dual_mul_f32 v32, 0x3fb8aa3b, v28 :: v_dual_cndmask_b32 v31, 0, v31
	v_cmp_nlt_f32_e32 vcc_lo, 0x42b17218, v30
	v_fma_f32 v34, 0x3fb8aa3b, v28, -v32
	v_rndne_f32_e32 v35, v32
	s_wait_alu 0xfffd
	v_cndmask_b32_e32 v31, 0x7f800000, v31, vcc_lo
	v_cmp_le_f32_e32 vcc_lo, 0xc1a00000, v30
	s_delay_alu instid0(VALU_DEP_3)
	v_sub_f32_e32 v32, v32, v35
	v_cvt_i32_f32_e32 v33, v35
	s_wait_alu 0xfffd
	v_cndmask_b32_e32 v30, 0, v31, vcc_lo
	v_cmp_ngt_f32_e32 vcc_lo, 0xc2ce8ed0, v28
	v_fmac_f32_e32 v34, 0x32a5705f, v28
	s_delay_alu instid0(VALU_DEP_1) | instskip(NEXT) | instid1(VALU_DEP_1)
	v_add_f32_e32 v32, v32, v34
	v_exp_f32_e32 v32, v32
	s_delay_alu instid0(TRANS32_DEP_1) | instskip(SKIP_1) | instid1(VALU_DEP_1)
	v_ldexp_f32 v31, v32, v33
	s_wait_alu 0xfffd
	v_cndmask_b32_e32 v31, 0, v31, vcc_lo
	v_cmp_nlt_f32_e32 vcc_lo, 0x42b17218, v28
	s_wait_alu 0xfffd
	s_delay_alu instid0(VALU_DEP_2) | instskip(NEXT) | instid1(VALU_DEP_1)
	v_cndmask_b32_e32 v28, 0x7f800000, v31, vcc_lo
	v_fmac_f32_e32 v28, v101, v30
	s_delay_alu instid0(VALU_DEP_1) | instskip(SKIP_1) | instid1(VALU_DEP_1)
	v_mov_b32_e32 v101, v28
	v_cvt_f16_f32_e32 v32, v30
	v_and_b32_e32 v32, 0xffff, v32
	s_delay_alu instid0(VALU_DEP_1) | instskip(NEXT) | instid1(VALU_DEP_1)
	v_mul_u32_u24_e32 v31, 0x10001, v32
	v_pk_mul_f16 v24, v24, v31
	v_pk_mul_f16 v25, v25, v31
	;; [unrolled: 1-line block ×28, first 2 shown]
.LBB19_134:                             ;   in Loop: Header=BB19_9 Depth=1
	s_clause 0x16
	scratch_load_b64 v[30:31], off, off offset:160
	scratch_load_b64 v[35:36], off, off offset:232
	scratch_load_b32 v37, off, off offset:44
	scratch_load_b32 v38, off, off offset:48
	;; [unrolled: 1-line block ×21, first 2 shown]
	s_wait_loadcnt 0x0
	s_barrier_signal -1
	s_barrier_wait -1
	global_inv scope:SCOPE_SE
	s_mov_b32 s0, exec_lo
	scratch_load_b64 v[31:32], off, off offset:204 ; 8-byte Folded Reload
	s_wait_loadcnt 0x0
	scratch_load_b64 v[32:33], off, off offset:216 ; 8-byte Folded Reload
	s_wait_loadcnt 0x0
	s_clause 0x1
	scratch_load_b64 v[33:34], off, off offset:224
	scratch_load_b32 v180, off, off offset:20
	s_wait_loadcnt 0x1
	s_clause 0x1
	scratch_load_b32 v34, off, off offset:32
	scratch_load_b32 v36, off, off offset:36
	v_readlane_b32 s2, v255, 19
	s_wait_alu 0xfffe
	s_and_b32 s2, s0, s2
	s_wait_alu 0xfffe
	s_mov_b32 exec_lo, s2
	s_cbranch_execz .LBB19_136
; %bb.135:                              ;   in Loop: Header=BB19_9 Depth=1
	scratch_load_b64 v[28:29], off, off offset:524 ; 8-byte Folded Reload
	s_wait_loadcnt 0x0
	global_store_b64 v[28:29], v[100:101], off
.LBB19_136:                             ;   in Loop: Header=BB19_9 Depth=1
	s_or_b32 exec_lo, exec_lo, s0
	v_add_nc_u32_e32 v28, v149, v226
	v_cmp_gt_i32_e64 s4, s33, v176
	v_cmp_le_i32_e32 vcc_lo, s33, v176
	ds_store_2addr_b32 v28, v24, v25 offset1:1
	ds_store_2addr_b32 v28, v26, v27 offset0:2 offset1:3
	ds_store_2addr_b32 v28, v20, v21 offset0:8 offset1:9
	;; [unrolled: 1-line block ×13, first 2 shown]
	s_wait_storecnt 0x0
	s_wait_loadcnt_dscnt 0x0
	scratch_load_b32 v1, off, off offset:132 ; 4-byte Folded Reload
	v_mov_b32_e32 v0, 50
	s_barrier_signal -1
	s_barrier_wait -1
	s_wait_loadcnt 0x0
	global_inv scope:SCOPE_SE
	v_cmp_gt_i32_e64 s3, s24, v1
	s_and_b32 s2, s3, s4
	s_wait_alu 0xfffe
	s_and_saveexec_b32 s0, s2
	s_cbranch_execz .LBB19_138
; %bb.137:                              ;   in Loop: Header=BB19_9 Depth=1
	v_add_nc_u32_e32 v0, v219, v203
	ds_load_b32 v2, v0
	v_mad_co_u64_u32 v[0:1], null, v1, s25, v[132:133]
	s_delay_alu instid0(VALU_DEP_1) | instskip(NEXT) | instid1(VALU_DEP_1)
	v_mad_co_u64_u32 v[0:1], null, v0, 56, v[141:142]
	v_ashrrev_i32_e32 v1, 31, v0
	s_wait_dscnt 0x0
	v_lshrrev_b32_e32 v3, 16, v2
	v_cvt_f32_f16_e32 v2, v2
	s_delay_alu instid0(VALU_DEP_3) | instskip(NEXT) | instid1(VALU_DEP_3)
	v_lshlrev_b64_e32 v[0:1], 3, v[0:1]
	v_cvt_f32_f16_e32 v3, v3
	s_delay_alu instid0(VALU_DEP_3) | instskip(NEXT) | instid1(VALU_DEP_3)
	v_add_f32_e32 v2, 0, v2
	v_add_co_u32 v4, s3, s72, v0
	s_delay_alu instid0(VALU_DEP_3)
	v_add_f32_e32 v3, 0, v3
	s_wait_alu 0xf1ff
	v_add_co_ci_u32_e64 v5, null, s73, v1, s3
	v_mov_b32_e32 v0, 0
	global_store_b64 v[4:5], v[2:3], off
.LBB19_138:                             ;   in Loop: Header=BB19_9 Depth=1
	s_wait_alu 0xfffe
	s_or_b32 exec_lo, exec_lo, s0
	s_mov_b32 s2, -1
	s_mov_b32 s0, exec_lo
	v_cmpx_gt_i32_e32 50, v0
; %bb.139:                              ;   in Loop: Header=BB19_9 Depth=1
	v_cmp_eq_u32_e64 s3, 0, v0
	s_or_not1_b32 s2, s3, exec_lo
; %bb.140:                              ;   in Loop: Header=BB19_9 Depth=1
	s_wait_alu 0xfffe
	s_or_b32 exec_lo, exec_lo, s0
	s_and_saveexec_b32 s0, s2
	s_cbranch_execz .LBB19_213
; %bb.141:                              ;   in Loop: Header=BB19_9 Depth=1
	v_cmp_gt_i32_e64 s3, s24, v57
	v_mov_b32_e32 v0, 50
	s_xor_b32 s2, vcc_lo, -1
	s_wait_alu 0xfffe
	s_and_b32 s4, s3, s2
	s_wait_alu 0xfffe
	s_and_saveexec_b32 s3, s4
	s_cbranch_execz .LBB19_143
; %bb.142:                              ;   in Loop: Header=BB19_9 Depth=1
	v_add_nc_u32_e32 v0, v219, v240
	ds_load_b32 v2, v0
	v_mad_co_u64_u32 v[0:1], null, v57, s25, v[132:133]
	s_delay_alu instid0(VALU_DEP_1) | instskip(NEXT) | instid1(VALU_DEP_1)
	v_mad_co_u64_u32 v[0:1], null, v0, 56, v[141:142]
	v_ashrrev_i32_e32 v1, 31, v0
	s_wait_dscnt 0x0
	v_lshrrev_b32_e32 v3, 16, v2
	v_cvt_f32_f16_e32 v2, v2
	s_delay_alu instid0(VALU_DEP_3) | instskip(NEXT) | instid1(VALU_DEP_3)
	v_lshlrev_b64_e32 v[0:1], 3, v[0:1]
	v_cvt_f32_f16_e32 v3, v3
	s_delay_alu instid0(VALU_DEP_3) | instskip(NEXT) | instid1(VALU_DEP_3)
	v_add_f32_e32 v2, 0, v2
	v_add_co_u32 v4, vcc_lo, s72, v0
	s_delay_alu instid0(VALU_DEP_3)
	v_add_f32_e32 v3, 0, v3
	s_wait_alu 0xfffd
	v_add_co_ci_u32_e64 v5, null, s73, v1, vcc_lo
	v_mov_b32_e32 v0, 0
	global_store_b64 v[4:5], v[2:3], off
.LBB19_143:                             ;   in Loop: Header=BB19_9 Depth=1
	s_wait_alu 0xfffe
	s_or_b32 exec_lo, exec_lo, s3
	s_mov_b32 s3, -1
	s_mov_b32 s4, exec_lo
	v_cmpx_gt_i32_e32 50, v0
; %bb.144:                              ;   in Loop: Header=BB19_9 Depth=1
	v_cmp_eq_u32_e32 vcc_lo, 0, v0
	s_or_not1_b32 s3, vcc_lo, exec_lo
; %bb.145:                              ;   in Loop: Header=BB19_9 Depth=1
	s_wait_alu 0xfffe
	s_or_b32 exec_lo, exec_lo, s4
	s_delay_alu instid0(SALU_CYCLE_1)
	s_and_b32 exec_lo, exec_lo, s3
	s_cbranch_execz .LBB19_213
; %bb.146:                              ;   in Loop: Header=BB19_9 Depth=1
	v_cmp_gt_i32_e32 vcc_lo, s24, v56
	v_mov_b32_e32 v0, 50
	s_and_b32 s4, vcc_lo, s2
	s_wait_alu 0xfffe
	s_and_saveexec_b32 s3, s4
	s_cbranch_execz .LBB19_148
; %bb.147:                              ;   in Loop: Header=BB19_9 Depth=1
	v_add_nc_u32_e32 v0, v219, v254
	ds_load_b32 v2, v0
	v_mad_co_u64_u32 v[0:1], null, v56, s25, v[132:133]
	s_delay_alu instid0(VALU_DEP_1) | instskip(NEXT) | instid1(VALU_DEP_1)
	v_mad_co_u64_u32 v[0:1], null, v0, 56, v[141:142]
	v_ashrrev_i32_e32 v1, 31, v0
	s_wait_dscnt 0x0
	v_lshrrev_b32_e32 v3, 16, v2
	v_cvt_f32_f16_e32 v2, v2
	s_delay_alu instid0(VALU_DEP_3) | instskip(NEXT) | instid1(VALU_DEP_3)
	v_lshlrev_b64_e32 v[0:1], 3, v[0:1]
	v_cvt_f32_f16_e32 v3, v3
	s_delay_alu instid0(VALU_DEP_3) | instskip(NEXT) | instid1(VALU_DEP_3)
	v_add_f32_e32 v2, 0, v2
	v_add_co_u32 v4, vcc_lo, s72, v0
	s_delay_alu instid0(VALU_DEP_3)
	v_add_f32_e32 v3, 0, v3
	s_wait_alu 0xfffd
	v_add_co_ci_u32_e64 v5, null, s73, v1, vcc_lo
	v_mov_b32_e32 v0, 0
	global_store_b64 v[4:5], v[2:3], off
.LBB19_148:                             ;   in Loop: Header=BB19_9 Depth=1
	s_wait_alu 0xfffe
	s_or_b32 exec_lo, exec_lo, s3
	s_mov_b32 s3, -1
	s_mov_b32 s4, exec_lo
	v_cmpx_gt_i32_e32 50, v0
; %bb.149:                              ;   in Loop: Header=BB19_9 Depth=1
	v_cmp_eq_u32_e32 vcc_lo, 0, v0
	s_or_not1_b32 s3, vcc_lo, exec_lo
; %bb.150:                              ;   in Loop: Header=BB19_9 Depth=1
	s_wait_alu 0xfffe
	s_or_b32 exec_lo, exec_lo, s4
	s_delay_alu instid0(SALU_CYCLE_1)
	s_and_b32 exec_lo, exec_lo, s3
	s_cbranch_execz .LBB19_213
; %bb.151:                              ;   in Loop: Header=BB19_9 Depth=1
	v_cmp_gt_i32_e32 vcc_lo, s24, v55
	v_mov_b32_e32 v0, 50
	s_and_b32 s4, vcc_lo, s2
	s_wait_alu 0xfffe
	s_and_saveexec_b32 s3, s4
	s_cbranch_execz .LBB19_153
; %bb.152:                              ;   in Loop: Header=BB19_9 Depth=1
	scratch_load_b32 v0, off, off offset:136 ; 4-byte Folded Reload
	s_wait_loadcnt 0x0
	v_add_nc_u32_e32 v0, v219, v0
	ds_load_b32 v2, v0
	v_mad_co_u64_u32 v[0:1], null, v55, s25, v[132:133]
	s_delay_alu instid0(VALU_DEP_1) | instskip(NEXT) | instid1(VALU_DEP_1)
	v_mad_co_u64_u32 v[0:1], null, v0, 56, v[141:142]
	v_ashrrev_i32_e32 v1, 31, v0
	s_wait_dscnt 0x0
	v_lshrrev_b32_e32 v3, 16, v2
	v_cvt_f32_f16_e32 v2, v2
	s_delay_alu instid0(VALU_DEP_3) | instskip(NEXT) | instid1(VALU_DEP_3)
	v_lshlrev_b64_e32 v[0:1], 3, v[0:1]
	v_cvt_f32_f16_e32 v3, v3
	s_delay_alu instid0(VALU_DEP_3) | instskip(NEXT) | instid1(VALU_DEP_3)
	v_add_f32_e32 v2, 0, v2
	v_add_co_u32 v4, vcc_lo, s72, v0
	s_delay_alu instid0(VALU_DEP_3)
	v_add_f32_e32 v3, 0, v3
	s_wait_alu 0xfffd
	v_add_co_ci_u32_e64 v5, null, s73, v1, vcc_lo
	v_mov_b32_e32 v0, 0
	global_store_b64 v[4:5], v[2:3], off
.LBB19_153:                             ;   in Loop: Header=BB19_9 Depth=1
	s_wait_alu 0xfffe
	s_or_b32 exec_lo, exec_lo, s3
	s_mov_b32 s3, -1
	s_mov_b32 s4, exec_lo
	v_cmpx_gt_i32_e32 50, v0
; %bb.154:                              ;   in Loop: Header=BB19_9 Depth=1
	v_cmp_eq_u32_e32 vcc_lo, 0, v0
	s_or_not1_b32 s3, vcc_lo, exec_lo
; %bb.155:                              ;   in Loop: Header=BB19_9 Depth=1
	s_wait_alu 0xfffe
	s_or_b32 exec_lo, exec_lo, s4
	s_delay_alu instid0(SALU_CYCLE_1)
	s_and_b32 exec_lo, exec_lo, s3
	s_cbranch_execz .LBB19_213
; %bb.156:                              ;   in Loop: Header=BB19_9 Depth=1
	v_cmp_gt_i32_e32 vcc_lo, s24, v54
	v_mov_b32_e32 v0, 50
	s_and_b32 s4, vcc_lo, s2
	s_wait_alu 0xfffe
	s_and_saveexec_b32 s3, s4
	s_cbranch_execz .LBB19_158
; %bb.157:                              ;   in Loop: Header=BB19_9 Depth=1
	scratch_load_b32 v0, off, off offset:812 ; 4-byte Folded Reload
	s_wait_loadcnt 0x0
	ds_load_b32 v2, v0
	v_mad_co_u64_u32 v[0:1], null, v54, s25, v[132:133]
	s_delay_alu instid0(VALU_DEP_1) | instskip(NEXT) | instid1(VALU_DEP_1)
	v_mad_co_u64_u32 v[0:1], null, v0, 56, v[141:142]
	v_ashrrev_i32_e32 v1, 31, v0
	s_wait_dscnt 0x0
	v_lshrrev_b32_e32 v3, 16, v2
	v_cvt_f32_f16_e32 v2, v2
	s_delay_alu instid0(VALU_DEP_3) | instskip(NEXT) | instid1(VALU_DEP_3)
	v_lshlrev_b64_e32 v[0:1], 3, v[0:1]
	v_cvt_f32_f16_e32 v3, v3
	s_delay_alu instid0(VALU_DEP_3) | instskip(NEXT) | instid1(VALU_DEP_3)
	v_add_f32_e32 v2, 0, v2
	v_add_co_u32 v4, vcc_lo, s72, v0
	s_delay_alu instid0(VALU_DEP_3)
	v_add_f32_e32 v3, 0, v3
	s_wait_alu 0xfffd
	v_add_co_ci_u32_e64 v5, null, s73, v1, vcc_lo
	v_mov_b32_e32 v0, 0
	global_store_b64 v[4:5], v[2:3], off
.LBB19_158:                             ;   in Loop: Header=BB19_9 Depth=1
	s_wait_alu 0xfffe
	s_or_b32 exec_lo, exec_lo, s3
	s_mov_b32 s3, -1
	s_mov_b32 s4, exec_lo
	v_cmpx_gt_i32_e32 50, v0
; %bb.159:                              ;   in Loop: Header=BB19_9 Depth=1
	v_cmp_eq_u32_e32 vcc_lo, 0, v0
	s_or_not1_b32 s3, vcc_lo, exec_lo
; %bb.160:                              ;   in Loop: Header=BB19_9 Depth=1
	s_wait_alu 0xfffe
	s_or_b32 exec_lo, exec_lo, s4
	s_delay_alu instid0(SALU_CYCLE_1)
	s_and_b32 exec_lo, exec_lo, s3
	s_cbranch_execz .LBB19_213
; %bb.161:                              ;   in Loop: Header=BB19_9 Depth=1
	v_cmp_gt_i32_e32 vcc_lo, s24, v53
	v_mov_b32_e32 v0, 50
	s_and_b32 s4, vcc_lo, s2
	s_wait_alu 0xfffe
	s_and_saveexec_b32 s3, s4
	s_cbranch_execz .LBB19_163
; %bb.162:                              ;   in Loop: Header=BB19_9 Depth=1
	scratch_load_b32 v0, off, off offset:136 ; 4-byte Folded Reload
	s_wait_loadcnt 0x0
	v_add_nc_u32_e32 v0, v219, v0
	ds_load_b32 v2, v0 offset:1920
	v_mad_co_u64_u32 v[0:1], null, v53, s25, v[132:133]
	s_delay_alu instid0(VALU_DEP_1) | instskip(NEXT) | instid1(VALU_DEP_1)
	v_mad_co_u64_u32 v[0:1], null, v0, 56, v[141:142]
	v_ashrrev_i32_e32 v1, 31, v0
	s_wait_dscnt 0x0
	v_lshrrev_b32_e32 v3, 16, v2
	v_cvt_f32_f16_e32 v2, v2
	s_delay_alu instid0(VALU_DEP_3) | instskip(NEXT) | instid1(VALU_DEP_3)
	v_lshlrev_b64_e32 v[0:1], 3, v[0:1]
	v_cvt_f32_f16_e32 v3, v3
	s_delay_alu instid0(VALU_DEP_3) | instskip(NEXT) | instid1(VALU_DEP_3)
	v_add_f32_e32 v2, 0, v2
	v_add_co_u32 v4, vcc_lo, s72, v0
	s_delay_alu instid0(VALU_DEP_3)
	v_add_f32_e32 v3, 0, v3
	s_wait_alu 0xfffd
	v_add_co_ci_u32_e64 v5, null, s73, v1, vcc_lo
	v_mov_b32_e32 v0, 0
	global_store_b64 v[4:5], v[2:3], off
.LBB19_163:                             ;   in Loop: Header=BB19_9 Depth=1
	s_wait_alu 0xfffe
	s_or_b32 exec_lo, exec_lo, s3
	s_mov_b32 s3, -1
	s_mov_b32 s4, exec_lo
	v_cmpx_gt_i32_e32 50, v0
; %bb.164:                              ;   in Loop: Header=BB19_9 Depth=1
	v_cmp_eq_u32_e32 vcc_lo, 0, v0
	s_or_not1_b32 s3, vcc_lo, exec_lo
; %bb.165:                              ;   in Loop: Header=BB19_9 Depth=1
	s_wait_alu 0xfffe
	s_or_b32 exec_lo, exec_lo, s4
	s_delay_alu instid0(SALU_CYCLE_1)
	s_and_b32 exec_lo, exec_lo, s3
	s_cbranch_execz .LBB19_213
; %bb.166:                              ;   in Loop: Header=BB19_9 Depth=1
	v_cmp_gt_i32_e32 vcc_lo, s24, v52
	v_mov_b32_e32 v0, 50
	s_and_b32 s4, vcc_lo, s2
	s_wait_alu 0xfffe
	s_and_saveexec_b32 s3, s4
	s_cbranch_execz .LBB19_168
; %bb.167:                              ;   in Loop: Header=BB19_9 Depth=1
	scratch_load_b32 v0, off, off offset:136 ; 4-byte Folded Reload
	s_wait_loadcnt 0x0
	v_add_nc_u32_e32 v0, v219, v0
	ds_load_b32 v2, v0 offset:2880
	v_mad_co_u64_u32 v[0:1], null, v52, s25, v[132:133]
	s_delay_alu instid0(VALU_DEP_1) | instskip(NEXT) | instid1(VALU_DEP_1)
	v_mad_co_u64_u32 v[0:1], null, v0, 56, v[141:142]
	v_ashrrev_i32_e32 v1, 31, v0
	s_wait_dscnt 0x0
	v_lshrrev_b32_e32 v3, 16, v2
	v_cvt_f32_f16_e32 v2, v2
	s_delay_alu instid0(VALU_DEP_3) | instskip(NEXT) | instid1(VALU_DEP_3)
	v_lshlrev_b64_e32 v[0:1], 3, v[0:1]
	v_cvt_f32_f16_e32 v3, v3
	s_delay_alu instid0(VALU_DEP_3) | instskip(NEXT) | instid1(VALU_DEP_3)
	v_add_f32_e32 v2, 0, v2
	v_add_co_u32 v4, vcc_lo, s72, v0
	s_delay_alu instid0(VALU_DEP_3)
	v_add_f32_e32 v3, 0, v3
	s_wait_alu 0xfffd
	v_add_co_ci_u32_e64 v5, null, s73, v1, vcc_lo
	v_mov_b32_e32 v0, 0
	global_store_b64 v[4:5], v[2:3], off
.LBB19_168:                             ;   in Loop: Header=BB19_9 Depth=1
	;; [unrolled: 46-line block ×3, first 2 shown]
	s_wait_alu 0xfffe
	s_or_b32 exec_lo, exec_lo, s3
	s_mov_b32 s3, -1
	s_mov_b32 s4, exec_lo
	v_cmpx_gt_i32_e32 50, v0
; %bb.174:                              ;   in Loop: Header=BB19_9 Depth=1
	v_cmp_eq_u32_e32 vcc_lo, 0, v0
	s_or_not1_b32 s3, vcc_lo, exec_lo
; %bb.175:                              ;   in Loop: Header=BB19_9 Depth=1
	s_wait_alu 0xfffe
	s_or_b32 exec_lo, exec_lo, s4
	s_delay_alu instid0(SALU_CYCLE_1)
	s_and_b32 exec_lo, exec_lo, s3
	s_cbranch_execz .LBB19_213
; %bb.176:                              ;   in Loop: Header=BB19_9 Depth=1
	v_cmp_gt_i32_e32 vcc_lo, s24, v50
	v_mov_b32_e32 v0, 50
	s_and_b32 s4, vcc_lo, s2
	s_wait_alu 0xfffe
	s_and_saveexec_b32 s3, s4
	s_cbranch_execz .LBB19_178
; %bb.177:                              ;   in Loop: Header=BB19_9 Depth=1
	scratch_load_b32 v0, off, off offset:872 ; 4-byte Folded Reload
	s_wait_loadcnt 0x0
	ds_load_b32 v2, v0
	v_mad_co_u64_u32 v[0:1], null, v50, s25, v[132:133]
	s_delay_alu instid0(VALU_DEP_1) | instskip(NEXT) | instid1(VALU_DEP_1)
	v_mad_co_u64_u32 v[0:1], null, v0, 56, v[141:142]
	v_ashrrev_i32_e32 v1, 31, v0
	s_wait_dscnt 0x0
	v_lshrrev_b32_e32 v3, 16, v2
	v_cvt_f32_f16_e32 v2, v2
	s_delay_alu instid0(VALU_DEP_3) | instskip(NEXT) | instid1(VALU_DEP_3)
	v_lshlrev_b64_e32 v[0:1], 3, v[0:1]
	v_cvt_f32_f16_e32 v3, v3
	s_delay_alu instid0(VALU_DEP_3) | instskip(NEXT) | instid1(VALU_DEP_3)
	v_add_f32_e32 v2, 0, v2
	v_add_co_u32 v4, vcc_lo, s72, v0
	s_delay_alu instid0(VALU_DEP_3)
	v_add_f32_e32 v3, 0, v3
	s_wait_alu 0xfffd
	v_add_co_ci_u32_e64 v5, null, s73, v1, vcc_lo
	v_mov_b32_e32 v0, 0
	global_store_b64 v[4:5], v[2:3], off
.LBB19_178:                             ;   in Loop: Header=BB19_9 Depth=1
	s_wait_alu 0xfffe
	s_or_b32 exec_lo, exec_lo, s3
	s_mov_b32 s3, -1
	s_mov_b32 s4, exec_lo
	v_cmpx_gt_i32_e32 50, v0
; %bb.179:                              ;   in Loop: Header=BB19_9 Depth=1
	v_cmp_eq_u32_e32 vcc_lo, 0, v0
	s_or_not1_b32 s3, vcc_lo, exec_lo
; %bb.180:                              ;   in Loop: Header=BB19_9 Depth=1
	s_wait_alu 0xfffe
	s_or_b32 exec_lo, exec_lo, s4
	s_delay_alu instid0(SALU_CYCLE_1)
	s_and_b32 exec_lo, exec_lo, s3
	s_cbranch_execz .LBB19_213
; %bb.181:                              ;   in Loop: Header=BB19_9 Depth=1
	v_cmp_gt_i32_e32 vcc_lo, s24, v49
	v_mov_b32_e32 v0, 50
	s_and_b32 s4, vcc_lo, s2
	s_wait_alu 0xfffe
	s_and_saveexec_b32 s3, s4
	s_cbranch_execz .LBB19_183
; %bb.182:                              ;   in Loop: Header=BB19_9 Depth=1
	scratch_load_b32 v0, off, off offset:136 ; 4-byte Folded Reload
	s_wait_loadcnt 0x0
	v_add_nc_u32_e32 v0, v219, v0
	ds_load_b32 v2, v0 offset:5760
	v_mad_co_u64_u32 v[0:1], null, v49, s25, v[132:133]
	s_delay_alu instid0(VALU_DEP_1) | instskip(NEXT) | instid1(VALU_DEP_1)
	v_mad_co_u64_u32 v[0:1], null, v0, 56, v[141:142]
	v_ashrrev_i32_e32 v1, 31, v0
	s_wait_dscnt 0x0
	v_lshrrev_b32_e32 v3, 16, v2
	v_cvt_f32_f16_e32 v2, v2
	s_delay_alu instid0(VALU_DEP_3) | instskip(NEXT) | instid1(VALU_DEP_3)
	v_lshlrev_b64_e32 v[0:1], 3, v[0:1]
	v_cvt_f32_f16_e32 v3, v3
	s_delay_alu instid0(VALU_DEP_3) | instskip(NEXT) | instid1(VALU_DEP_3)
	v_add_f32_e32 v2, 0, v2
	v_add_co_u32 v4, vcc_lo, s72, v0
	s_delay_alu instid0(VALU_DEP_3)
	v_add_f32_e32 v3, 0, v3
	s_wait_alu 0xfffd
	v_add_co_ci_u32_e64 v5, null, s73, v1, vcc_lo
	v_mov_b32_e32 v0, 0
	global_store_b64 v[4:5], v[2:3], off
.LBB19_183:                             ;   in Loop: Header=BB19_9 Depth=1
	s_wait_alu 0xfffe
	s_or_b32 exec_lo, exec_lo, s3
	s_mov_b32 s3, -1
	s_mov_b32 s4, exec_lo
	v_cmpx_gt_i32_e32 50, v0
; %bb.184:                              ;   in Loop: Header=BB19_9 Depth=1
	v_cmp_eq_u32_e32 vcc_lo, 0, v0
	s_or_not1_b32 s3, vcc_lo, exec_lo
; %bb.185:                              ;   in Loop: Header=BB19_9 Depth=1
	s_wait_alu 0xfffe
	s_or_b32 exec_lo, exec_lo, s4
	s_delay_alu instid0(SALU_CYCLE_1)
	s_and_b32 exec_lo, exec_lo, s3
	s_cbranch_execz .LBB19_213
; %bb.186:                              ;   in Loop: Header=BB19_9 Depth=1
	v_cmp_gt_i32_e32 vcc_lo, s24, v48
	v_mov_b32_e32 v0, 50
	s_and_b32 s4, vcc_lo, s2
	s_wait_alu 0xfffe
	s_and_saveexec_b32 s3, s4
	s_cbranch_execz .LBB19_188
; %bb.187:                              ;   in Loop: Header=BB19_9 Depth=1
	scratch_load_b32 v0, off, off offset:136 ; 4-byte Folded Reload
	s_wait_loadcnt 0x0
	v_add_nc_u32_e32 v0, v219, v0
	ds_load_b32 v2, v0 offset:6720
	v_mad_co_u64_u32 v[0:1], null, v48, s25, v[132:133]
	s_delay_alu instid0(VALU_DEP_1) | instskip(NEXT) | instid1(VALU_DEP_1)
	v_mad_co_u64_u32 v[0:1], null, v0, 56, v[141:142]
	v_ashrrev_i32_e32 v1, 31, v0
	s_wait_dscnt 0x0
	v_lshrrev_b32_e32 v3, 16, v2
	v_cvt_f32_f16_e32 v2, v2
	s_delay_alu instid0(VALU_DEP_3) | instskip(NEXT) | instid1(VALU_DEP_3)
	v_lshlrev_b64_e32 v[0:1], 3, v[0:1]
	v_cvt_f32_f16_e32 v3, v3
	s_delay_alu instid0(VALU_DEP_3) | instskip(NEXT) | instid1(VALU_DEP_3)
	v_add_f32_e32 v2, 0, v2
	v_add_co_u32 v4, vcc_lo, s72, v0
	s_delay_alu instid0(VALU_DEP_3)
	v_add_f32_e32 v3, 0, v3
	s_wait_alu 0xfffd
	v_add_co_ci_u32_e64 v5, null, s73, v1, vcc_lo
	v_mov_b32_e32 v0, 0
	global_store_b64 v[4:5], v[2:3], off
.LBB19_188:                             ;   in Loop: Header=BB19_9 Depth=1
	;; [unrolled: 46-line block ×3, first 2 shown]
	s_wait_alu 0xfffe
	s_or_b32 exec_lo, exec_lo, s3
	s_mov_b32 s3, -1
	s_mov_b32 s4, exec_lo
	v_cmpx_gt_i32_e32 50, v0
; %bb.194:                              ;   in Loop: Header=BB19_9 Depth=1
	v_cmp_eq_u32_e32 vcc_lo, 0, v0
	s_or_not1_b32 s3, vcc_lo, exec_lo
; %bb.195:                              ;   in Loop: Header=BB19_9 Depth=1
	s_wait_alu 0xfffe
	s_or_b32 exec_lo, exec_lo, s4
	s_delay_alu instid0(SALU_CYCLE_1)
	s_and_b32 exec_lo, exec_lo, s3
	s_cbranch_execz .LBB19_213
; %bb.196:                              ;   in Loop: Header=BB19_9 Depth=1
	v_cmp_gt_i32_e32 vcc_lo, s24, v46
	v_mov_b32_e32 v0, 50
	s_and_b32 s4, vcc_lo, s2
	s_wait_alu 0xfffe
	s_and_saveexec_b32 s3, s4
	s_cbranch_execz .LBB19_198
; %bb.197:                              ;   in Loop: Header=BB19_9 Depth=1
	scratch_load_b32 v0, off, off offset:892 ; 4-byte Folded Reload
	s_wait_loadcnt 0x0
	ds_load_b32 v2, v0
	v_mad_co_u64_u32 v[0:1], null, v46, s25, v[132:133]
	s_delay_alu instid0(VALU_DEP_1) | instskip(NEXT) | instid1(VALU_DEP_1)
	v_mad_co_u64_u32 v[0:1], null, v0, 56, v[141:142]
	v_ashrrev_i32_e32 v1, 31, v0
	s_wait_dscnt 0x0
	v_lshrrev_b32_e32 v3, 16, v2
	v_cvt_f32_f16_e32 v2, v2
	s_delay_alu instid0(VALU_DEP_3) | instskip(NEXT) | instid1(VALU_DEP_3)
	v_lshlrev_b64_e32 v[0:1], 3, v[0:1]
	v_cvt_f32_f16_e32 v3, v3
	s_delay_alu instid0(VALU_DEP_3) | instskip(NEXT) | instid1(VALU_DEP_3)
	v_add_f32_e32 v2, 0, v2
	v_add_co_u32 v4, vcc_lo, s72, v0
	s_delay_alu instid0(VALU_DEP_3)
	v_add_f32_e32 v3, 0, v3
	s_wait_alu 0xfffd
	v_add_co_ci_u32_e64 v5, null, s73, v1, vcc_lo
	v_mov_b32_e32 v0, 0
	global_store_b64 v[4:5], v[2:3], off
.LBB19_198:                             ;   in Loop: Header=BB19_9 Depth=1
	s_wait_alu 0xfffe
	s_or_b32 exec_lo, exec_lo, s3
	s_mov_b32 s3, -1
	s_mov_b32 s4, exec_lo
	v_cmpx_gt_i32_e32 50, v0
; %bb.199:                              ;   in Loop: Header=BB19_9 Depth=1
	v_cmp_eq_u32_e32 vcc_lo, 0, v0
	s_or_not1_b32 s3, vcc_lo, exec_lo
; %bb.200:                              ;   in Loop: Header=BB19_9 Depth=1
	s_wait_alu 0xfffe
	s_or_b32 exec_lo, exec_lo, s4
	s_delay_alu instid0(SALU_CYCLE_1)
	s_and_b32 exec_lo, exec_lo, s3
	s_cbranch_execz .LBB19_213
; %bb.201:                              ;   in Loop: Header=BB19_9 Depth=1
	v_cmp_gt_i32_e32 vcc_lo, s24, v45
	v_mov_b32_e32 v0, 50
	s_and_b32 s4, vcc_lo, s2
	s_wait_alu 0xfffe
	s_and_saveexec_b32 s3, s4
	s_cbranch_execz .LBB19_203
; %bb.202:                              ;   in Loop: Header=BB19_9 Depth=1
	scratch_load_b32 v0, off, off offset:136 ; 4-byte Folded Reload
	s_wait_loadcnt 0x0
	v_add_nc_u32_e32 v0, v219, v0
	ds_load_b32 v2, v0 offset:9600
	v_mad_co_u64_u32 v[0:1], null, v45, s25, v[132:133]
	s_delay_alu instid0(VALU_DEP_1) | instskip(NEXT) | instid1(VALU_DEP_1)
	v_mad_co_u64_u32 v[0:1], null, v0, 56, v[141:142]
	v_ashrrev_i32_e32 v1, 31, v0
	s_wait_dscnt 0x0
	v_lshrrev_b32_e32 v3, 16, v2
	v_cvt_f32_f16_e32 v2, v2
	s_delay_alu instid0(VALU_DEP_3) | instskip(NEXT) | instid1(VALU_DEP_3)
	v_lshlrev_b64_e32 v[0:1], 3, v[0:1]
	v_cvt_f32_f16_e32 v3, v3
	s_delay_alu instid0(VALU_DEP_3) | instskip(NEXT) | instid1(VALU_DEP_3)
	v_add_f32_e32 v2, 0, v2
	v_add_co_u32 v4, vcc_lo, s72, v0
	s_delay_alu instid0(VALU_DEP_3)
	v_add_f32_e32 v3, 0, v3
	s_wait_alu 0xfffd
	v_add_co_ci_u32_e64 v5, null, s73, v1, vcc_lo
	v_mov_b32_e32 v0, 0
	global_store_b64 v[4:5], v[2:3], off
.LBB19_203:                             ;   in Loop: Header=BB19_9 Depth=1
	s_wait_alu 0xfffe
	s_or_b32 exec_lo, exec_lo, s3
	s_mov_b32 s3, -1
	s_mov_b32 s4, exec_lo
	v_cmpx_gt_i32_e32 50, v0
; %bb.204:                              ;   in Loop: Header=BB19_9 Depth=1
	v_cmp_eq_u32_e32 vcc_lo, 0, v0
	s_or_not1_b32 s3, vcc_lo, exec_lo
; %bb.205:                              ;   in Loop: Header=BB19_9 Depth=1
	s_wait_alu 0xfffe
	s_or_b32 exec_lo, exec_lo, s4
	s_delay_alu instid0(SALU_CYCLE_1)
	s_and_b32 exec_lo, exec_lo, s3
	s_cbranch_execz .LBB19_213
; %bb.206:                              ;   in Loop: Header=BB19_9 Depth=1
	v_cmp_gt_i32_e32 vcc_lo, s24, v44
	v_mov_b32_e32 v0, 50
	s_and_b32 s4, vcc_lo, s2
	s_wait_alu 0xfffe
	s_and_saveexec_b32 s3, s4
	s_cbranch_execz .LBB19_208
; %bb.207:                              ;   in Loop: Header=BB19_9 Depth=1
	scratch_load_b32 v0, off, off offset:136 ; 4-byte Folded Reload
	s_wait_loadcnt 0x0
	v_add_nc_u32_e32 v0, v219, v0
	ds_load_b32 v2, v0 offset:10560
	v_mad_co_u64_u32 v[0:1], null, v44, s25, v[132:133]
	s_delay_alu instid0(VALU_DEP_1) | instskip(NEXT) | instid1(VALU_DEP_1)
	v_mad_co_u64_u32 v[0:1], null, v0, 56, v[141:142]
	v_ashrrev_i32_e32 v1, 31, v0
	s_wait_dscnt 0x0
	v_lshrrev_b32_e32 v3, 16, v2
	v_cvt_f32_f16_e32 v2, v2
	s_delay_alu instid0(VALU_DEP_3) | instskip(NEXT) | instid1(VALU_DEP_3)
	v_lshlrev_b64_e32 v[0:1], 3, v[0:1]
	v_cvt_f32_f16_e32 v3, v3
	s_delay_alu instid0(VALU_DEP_3) | instskip(NEXT) | instid1(VALU_DEP_3)
	v_add_f32_e32 v2, 0, v2
	v_add_co_u32 v4, vcc_lo, s72, v0
	s_delay_alu instid0(VALU_DEP_3)
	v_add_f32_e32 v3, 0, v3
	s_wait_alu 0xfffd
	v_add_co_ci_u32_e64 v5, null, s73, v1, vcc_lo
	v_mov_b32_e32 v0, 0
	global_store_b64 v[4:5], v[2:3], off
.LBB19_208:                             ;   in Loop: Header=BB19_9 Depth=1
	s_wait_alu 0xfffe
	s_or_b32 exec_lo, exec_lo, s3
	s_mov_b32 s3, -1
	s_mov_b32 s4, exec_lo
	v_cmpx_gt_i32_e32 50, v0
; %bb.209:                              ;   in Loop: Header=BB19_9 Depth=1
	v_cmp_eq_u32_e32 vcc_lo, 0, v0
	s_or_not1_b32 s3, vcc_lo, exec_lo
; %bb.210:                              ;   in Loop: Header=BB19_9 Depth=1
	s_wait_alu 0xfffe
	s_or_b32 exec_lo, exec_lo, s4
	s_delay_alu instid0(SALU_CYCLE_1)
	s_and_b32 exec_lo, exec_lo, s3
	s_cbranch_execz .LBB19_213
; %bb.211:                              ;   in Loop: Header=BB19_9 Depth=1
	scratch_load_b32 v0, off, off offset:244 ; 4-byte Folded Reload
	s_wait_loadcnt 0x0
	v_cmp_gt_i32_e32 vcc_lo, s24, v0
	s_and_b32 s2, vcc_lo, s2
	s_wait_alu 0xfffe
	s_and_b32 exec_lo, exec_lo, s2
	s_cbranch_execz .LBB19_213
; %bb.212:                              ;   in Loop: Header=BB19_9 Depth=1
	scratch_load_b32 v0, off, off offset:136 ; 4-byte Folded Reload
	s_wait_loadcnt 0x0
	v_add_nc_u32_e32 v0, v219, v0
	ds_load_b32 v2, v0 offset:11520
	scratch_load_b32 v0, off, off offset:244 th:TH_LOAD_LU ; 4-byte Folded Reload
	s_wait_dscnt 0x0
	v_lshrrev_b32_e32 v3, 16, v2
	v_cvt_f32_f16_e32 v2, v2
	s_delay_alu instid0(VALU_DEP_2) | instskip(NEXT) | instid1(VALU_DEP_1)
	v_cvt_f32_f16_e32 v3, v3
	v_dual_add_f32 v2, 0, v2 :: v_dual_add_f32 v3, 0, v3
	s_wait_loadcnt 0x0
	v_mad_co_u64_u32 v[0:1], null, v0, s25, v[132:133]
	s_delay_alu instid0(VALU_DEP_1) | instskip(NEXT) | instid1(VALU_DEP_1)
	v_mad_co_u64_u32 v[0:1], null, v0, 56, v[141:142]
	v_ashrrev_i32_e32 v1, 31, v0
	s_delay_alu instid0(VALU_DEP_1) | instskip(NEXT) | instid1(VALU_DEP_1)
	v_lshlrev_b64_e32 v[0:1], 3, v[0:1]
	v_add_co_u32 v0, vcc_lo, s72, v0
	s_wait_alu 0xfffd
	s_delay_alu instid0(VALU_DEP_2)
	v_add_co_ci_u32_e64 v1, null, s73, v1, vcc_lo
	global_store_b64 v[0:1], v[2:3], off
.LBB19_213:                             ;   in Loop: Header=BB19_9 Depth=1
	s_wait_alu 0xfffe
	s_or_b32 exec_lo, exec_lo, s0
	scratch_load_b32 v0, off, off offset:72 th:TH_LOAD_LU ; 4-byte Folded Reload
	v_cmp_gt_i32_e64 s3, s24, v43
	s_wait_loadcnt 0x0
	v_cmp_gt_i32_e64 s4, s33, v0
	v_cmp_le_i32_e32 vcc_lo, s33, v0
	v_mov_b32_e32 v0, 50
	s_and_b32 s2, s3, s4
	s_wait_alu 0xfffe
	s_and_saveexec_b32 s0, s2
	s_cbranch_execz .LBB19_215
; %bb.214:                              ;   in Loop: Header=BB19_9 Depth=1
	v_add_nc_u32_e32 v0, v227, v155
	ds_load_b32 v2, v0 offset:128
	v_mad_co_u64_u32 v[0:1], null, v43, s25, v[30:31]
	s_delay_alu instid0(VALU_DEP_1) | instskip(NEXT) | instid1(VALU_DEP_1)
	v_mul_lo_u32 v0, v0, 56
	v_ashrrev_i32_e32 v1, 31, v0
	v_add_co_u32 v0, s3, v0, v144
	s_wait_dscnt 0x0
	v_lshrrev_b32_e32 v3, 16, v2
	v_cvt_f32_f16_e32 v2, v2
	s_wait_alu 0xf1ff
	v_add_co_ci_u32_e64 v1, null, 0, v1, s3
	s_delay_alu instid0(VALU_DEP_3) | instskip(NEXT) | instid1(VALU_DEP_3)
	v_cvt_f32_f16_e32 v3, v3
	v_add_f32_e32 v2, 0, v2
	s_delay_alu instid0(VALU_DEP_3) | instskip(NEXT) | instid1(VALU_DEP_3)
	v_lshlrev_b64_e32 v[0:1], 3, v[0:1]
	v_add_f32_e32 v3, 0, v3
	s_delay_alu instid0(VALU_DEP_2) | instskip(SKIP_1) | instid1(VALU_DEP_3)
	v_add_co_u32 v4, s3, s72, v0
	s_wait_alu 0xf1ff
	v_add_co_ci_u32_e64 v5, null, s73, v1, s3
	v_mov_b32_e32 v0, 0
	global_store_b64 v[4:5], v[2:3], off offset:256
.LBB19_215:                             ;   in Loop: Header=BB19_9 Depth=1
	s_wait_alu 0xfffe
	s_or_b32 exec_lo, exec_lo, s0
	s_mov_b32 s2, -1
	s_mov_b32 s0, exec_lo
	v_cmpx_gt_i32_e32 50, v0
; %bb.216:                              ;   in Loop: Header=BB19_9 Depth=1
	v_cmp_eq_u32_e64 s3, 0, v0
	s_or_not1_b32 s2, s3, exec_lo
; %bb.217:                              ;   in Loop: Header=BB19_9 Depth=1
	s_wait_alu 0xfffe
	s_or_b32 exec_lo, exec_lo, s0
	s_and_saveexec_b32 s0, s2
	s_cbranch_execz .LBB19_250
; %bb.218:                              ;   in Loop: Header=BB19_9 Depth=1
	v_cmp_gt_i32_e64 s3, s24, v42
	v_mov_b32_e32 v0, 50
	s_xor_b32 s2, vcc_lo, -1
	s_wait_alu 0xfffe
	s_and_b32 s4, s3, s2
	s_wait_alu 0xfffe
	s_and_saveexec_b32 s3, s4
	s_cbranch_execz .LBB19_220
; %bb.219:                              ;   in Loop: Header=BB19_9 Depth=1
	v_add_nc_u32_e32 v0, v227, v155
	ds_load_b32 v2, v0 offset:2048
	v_mad_co_u64_u32 v[0:1], null, v42, s25, v[30:31]
	s_delay_alu instid0(VALU_DEP_1) | instskip(NEXT) | instid1(VALU_DEP_1)
	v_mul_lo_u32 v0, v0, 56
	v_ashrrev_i32_e32 v1, 31, v0
	v_add_co_u32 v0, vcc_lo, v0, v144
	s_wait_dscnt 0x0
	v_lshrrev_b32_e32 v3, 16, v2
	v_cvt_f32_f16_e32 v2, v2
	s_wait_alu 0xfffd
	v_add_co_ci_u32_e64 v1, null, 0, v1, vcc_lo
	s_delay_alu instid0(VALU_DEP_3) | instskip(NEXT) | instid1(VALU_DEP_3)
	v_cvt_f32_f16_e32 v3, v3
	v_add_f32_e32 v2, 0, v2
	s_delay_alu instid0(VALU_DEP_3) | instskip(NEXT) | instid1(VALU_DEP_3)
	v_lshlrev_b64_e32 v[0:1], 3, v[0:1]
	v_add_f32_e32 v3, 0, v3
	s_delay_alu instid0(VALU_DEP_2) | instskip(SKIP_1) | instid1(VALU_DEP_3)
	v_add_co_u32 v4, vcc_lo, s72, v0
	s_wait_alu 0xfffd
	v_add_co_ci_u32_e64 v5, null, s73, v1, vcc_lo
	v_mov_b32_e32 v0, 0
	global_store_b64 v[4:5], v[2:3], off offset:256
.LBB19_220:                             ;   in Loop: Header=BB19_9 Depth=1
	s_wait_alu 0xfffe
	s_or_b32 exec_lo, exec_lo, s3
	s_mov_b32 s3, -1
	s_mov_b32 s4, exec_lo
	v_cmpx_gt_i32_e32 50, v0
; %bb.221:                              ;   in Loop: Header=BB19_9 Depth=1
	v_cmp_eq_u32_e32 vcc_lo, 0, v0
	s_or_not1_b32 s3, vcc_lo, exec_lo
; %bb.222:                              ;   in Loop: Header=BB19_9 Depth=1
	s_wait_alu 0xfffe
	s_or_b32 exec_lo, exec_lo, s4
	s_delay_alu instid0(SALU_CYCLE_1)
	s_and_b32 exec_lo, exec_lo, s3
	s_cbranch_execz .LBB19_250
; %bb.223:                              ;   in Loop: Header=BB19_9 Depth=1
	v_cmp_gt_i32_e32 vcc_lo, s24, v41
	v_mov_b32_e32 v0, 50
	s_and_b32 s4, vcc_lo, s2
	s_wait_alu 0xfffe
	s_and_saveexec_b32 s3, s4
	s_cbranch_execz .LBB19_225
; %bb.224:                              ;   in Loop: Header=BB19_9 Depth=1
	scratch_load_b32 v0, off, off offset:760 ; 4-byte Folded Reload
	s_wait_loadcnt 0x0
	ds_load_b32 v2, v0 offset:128
	v_mad_co_u64_u32 v[0:1], null, v41, s25, v[30:31]
	s_delay_alu instid0(VALU_DEP_1) | instskip(NEXT) | instid1(VALU_DEP_1)
	v_mul_lo_u32 v0, v0, 56
	v_ashrrev_i32_e32 v1, 31, v0
	v_add_co_u32 v0, vcc_lo, v0, v144
	s_wait_dscnt 0x0
	v_lshrrev_b32_e32 v3, 16, v2
	v_cvt_f32_f16_e32 v2, v2
	s_wait_alu 0xfffd
	v_add_co_ci_u32_e64 v1, null, 0, v1, vcc_lo
	s_delay_alu instid0(VALU_DEP_3) | instskip(NEXT) | instid1(VALU_DEP_3)
	v_cvt_f32_f16_e32 v3, v3
	v_add_f32_e32 v2, 0, v2
	s_delay_alu instid0(VALU_DEP_3) | instskip(NEXT) | instid1(VALU_DEP_3)
	v_lshlrev_b64_e32 v[0:1], 3, v[0:1]
	v_add_f32_e32 v3, 0, v3
	s_delay_alu instid0(VALU_DEP_2) | instskip(SKIP_1) | instid1(VALU_DEP_3)
	v_add_co_u32 v4, vcc_lo, s72, v0
	s_wait_alu 0xfffd
	v_add_co_ci_u32_e64 v5, null, s73, v1, vcc_lo
	v_mov_b32_e32 v0, 0
	global_store_b64 v[4:5], v[2:3], off offset:256
.LBB19_225:                             ;   in Loop: Header=BB19_9 Depth=1
	s_wait_alu 0xfffe
	s_or_b32 exec_lo, exec_lo, s3
	s_mov_b32 s3, -1
	s_mov_b32 s4, exec_lo
	v_cmpx_gt_i32_e32 50, v0
; %bb.226:                              ;   in Loop: Header=BB19_9 Depth=1
	v_cmp_eq_u32_e32 vcc_lo, 0, v0
	s_or_not1_b32 s3, vcc_lo, exec_lo
; %bb.227:                              ;   in Loop: Header=BB19_9 Depth=1
	s_wait_alu 0xfffe
	s_or_b32 exec_lo, exec_lo, s4
	s_delay_alu instid0(SALU_CYCLE_1)
	s_and_b32 exec_lo, exec_lo, s3
	s_cbranch_execz .LBB19_250
; %bb.228:                              ;   in Loop: Header=BB19_9 Depth=1
	v_cmp_gt_i32_e32 vcc_lo, s24, v40
	v_mov_b32_e32 v0, 50
	s_and_b32 s4, vcc_lo, s2
	s_wait_alu 0xfffe
	s_and_saveexec_b32 s3, s4
	s_cbranch_execz .LBB19_230
; %bb.229:                              ;   in Loop: Header=BB19_9 Depth=1
	v_add_nc_u32_e32 v0, v227, v155
	ds_load_b32 v2, v0 offset:5888
	v_mad_co_u64_u32 v[0:1], null, v40, s25, v[30:31]
	s_delay_alu instid0(VALU_DEP_1) | instskip(NEXT) | instid1(VALU_DEP_1)
	v_mul_lo_u32 v0, v0, 56
	v_ashrrev_i32_e32 v1, 31, v0
	v_add_co_u32 v0, vcc_lo, v0, v144
	s_wait_dscnt 0x0
	v_lshrrev_b32_e32 v3, 16, v2
	v_cvt_f32_f16_e32 v2, v2
	s_wait_alu 0xfffd
	v_add_co_ci_u32_e64 v1, null, 0, v1, vcc_lo
	s_delay_alu instid0(VALU_DEP_3) | instskip(NEXT) | instid1(VALU_DEP_3)
	v_cvt_f32_f16_e32 v3, v3
	v_add_f32_e32 v2, 0, v2
	s_delay_alu instid0(VALU_DEP_3) | instskip(NEXT) | instid1(VALU_DEP_3)
	v_lshlrev_b64_e32 v[0:1], 3, v[0:1]
	v_add_f32_e32 v3, 0, v3
	s_delay_alu instid0(VALU_DEP_2) | instskip(SKIP_1) | instid1(VALU_DEP_3)
	v_add_co_u32 v4, vcc_lo, s72, v0
	s_wait_alu 0xfffd
	v_add_co_ci_u32_e64 v5, null, s73, v1, vcc_lo
	v_mov_b32_e32 v0, 0
	global_store_b64 v[4:5], v[2:3], off offset:256
.LBB19_230:                             ;   in Loop: Header=BB19_9 Depth=1
	s_wait_alu 0xfffe
	s_or_b32 exec_lo, exec_lo, s3
	s_mov_b32 s3, -1
	s_mov_b32 s4, exec_lo
	v_cmpx_gt_i32_e32 50, v0
; %bb.231:                              ;   in Loop: Header=BB19_9 Depth=1
	v_cmp_eq_u32_e32 vcc_lo, 0, v0
	s_or_not1_b32 s3, vcc_lo, exec_lo
; %bb.232:                              ;   in Loop: Header=BB19_9 Depth=1
	s_wait_alu 0xfffe
	s_or_b32 exec_lo, exec_lo, s4
	s_delay_alu instid0(SALU_CYCLE_1)
	s_and_b32 exec_lo, exec_lo, s3
	s_cbranch_execz .LBB19_250
; %bb.233:                              ;   in Loop: Header=BB19_9 Depth=1
	v_cmp_gt_i32_e32 vcc_lo, s24, v39
	v_mov_b32_e32 v0, 50
	s_and_b32 s4, vcc_lo, s2
	s_wait_alu 0xfffe
	s_and_saveexec_b32 s3, s4
	s_cbranch_execz .LBB19_235
; %bb.234:                              ;   in Loop: Header=BB19_9 Depth=1
	scratch_load_b32 v0, off, off offset:816 ; 4-byte Folded Reload
	s_wait_loadcnt 0x0
	ds_load_b32 v2, v0 offset:128
	v_mad_co_u64_u32 v[0:1], null, v39, s25, v[30:31]
	s_delay_alu instid0(VALU_DEP_1) | instskip(NEXT) | instid1(VALU_DEP_1)
	v_mul_lo_u32 v0, v0, 56
	v_ashrrev_i32_e32 v1, 31, v0
	v_add_co_u32 v0, vcc_lo, v0, v144
	s_wait_dscnt 0x0
	v_lshrrev_b32_e32 v3, 16, v2
	v_cvt_f32_f16_e32 v2, v2
	s_wait_alu 0xfffd
	v_add_co_ci_u32_e64 v1, null, 0, v1, vcc_lo
	s_delay_alu instid0(VALU_DEP_3) | instskip(NEXT) | instid1(VALU_DEP_3)
	v_cvt_f32_f16_e32 v3, v3
	v_add_f32_e32 v2, 0, v2
	s_delay_alu instid0(VALU_DEP_3) | instskip(NEXT) | instid1(VALU_DEP_3)
	v_lshlrev_b64_e32 v[0:1], 3, v[0:1]
	v_add_f32_e32 v3, 0, v3
	s_delay_alu instid0(VALU_DEP_2) | instskip(SKIP_1) | instid1(VALU_DEP_3)
	v_add_co_u32 v4, vcc_lo, s72, v0
	s_wait_alu 0xfffd
	v_add_co_ci_u32_e64 v5, null, s73, v1, vcc_lo
	v_mov_b32_e32 v0, 0
	global_store_b64 v[4:5], v[2:3], off offset:256
.LBB19_235:                             ;   in Loop: Header=BB19_9 Depth=1
	s_wait_alu 0xfffe
	s_or_b32 exec_lo, exec_lo, s3
	s_mov_b32 s3, -1
	s_mov_b32 s4, exec_lo
	v_cmpx_gt_i32_e32 50, v0
; %bb.236:                              ;   in Loop: Header=BB19_9 Depth=1
	v_cmp_eq_u32_e32 vcc_lo, 0, v0
	s_or_not1_b32 s3, vcc_lo, exec_lo
; %bb.237:                              ;   in Loop: Header=BB19_9 Depth=1
	s_wait_alu 0xfffe
	s_or_b32 exec_lo, exec_lo, s4
	s_delay_alu instid0(SALU_CYCLE_1)
	s_and_b32 exec_lo, exec_lo, s3
	s_cbranch_execz .LBB19_250
; %bb.238:                              ;   in Loop: Header=BB19_9 Depth=1
	v_cmp_gt_i32_e32 vcc_lo, s24, v38
	v_mov_b32_e32 v0, 50
	s_and_b32 s4, vcc_lo, s2
	s_wait_alu 0xfffe
	s_and_saveexec_b32 s3, s4
	s_cbranch_execz .LBB19_240
; %bb.239:                              ;   in Loop: Header=BB19_9 Depth=1
	v_add_nc_u32_e32 v0, v227, v155
	ds_load_b32 v2, v0 offset:9728
	v_mad_co_u64_u32 v[0:1], null, v38, s25, v[30:31]
	s_delay_alu instid0(VALU_DEP_1) | instskip(NEXT) | instid1(VALU_DEP_1)
	v_mul_lo_u32 v0, v0, 56
	v_ashrrev_i32_e32 v1, 31, v0
	v_add_co_u32 v0, vcc_lo, v0, v144
	s_wait_dscnt 0x0
	v_lshrrev_b32_e32 v3, 16, v2
	v_cvt_f32_f16_e32 v2, v2
	s_wait_alu 0xfffd
	v_add_co_ci_u32_e64 v1, null, 0, v1, vcc_lo
	s_delay_alu instid0(VALU_DEP_3) | instskip(NEXT) | instid1(VALU_DEP_3)
	v_cvt_f32_f16_e32 v3, v3
	v_add_f32_e32 v2, 0, v2
	s_delay_alu instid0(VALU_DEP_3) | instskip(NEXT) | instid1(VALU_DEP_3)
	v_lshlrev_b64_e32 v[0:1], 3, v[0:1]
	v_add_f32_e32 v3, 0, v3
	s_delay_alu instid0(VALU_DEP_2) | instskip(SKIP_1) | instid1(VALU_DEP_3)
	v_add_co_u32 v4, vcc_lo, s72, v0
	s_wait_alu 0xfffd
	v_add_co_ci_u32_e64 v5, null, s73, v1, vcc_lo
	v_mov_b32_e32 v0, 0
	global_store_b64 v[4:5], v[2:3], off offset:256
.LBB19_240:                             ;   in Loop: Header=BB19_9 Depth=1
	s_wait_alu 0xfffe
	s_or_b32 exec_lo, exec_lo, s3
	s_mov_b32 s3, -1
	s_mov_b32 s4, exec_lo
	v_cmpx_gt_i32_e32 50, v0
; %bb.241:                              ;   in Loop: Header=BB19_9 Depth=1
	v_cmp_eq_u32_e32 vcc_lo, 0, v0
	s_or_not1_b32 s3, vcc_lo, exec_lo
; %bb.242:                              ;   in Loop: Header=BB19_9 Depth=1
	s_wait_alu 0xfffe
	s_or_b32 exec_lo, exec_lo, s4
	s_delay_alu instid0(SALU_CYCLE_1)
	s_and_b32 exec_lo, exec_lo, s3
	s_cbranch_execz .LBB19_250
; %bb.243:                              ;   in Loop: Header=BB19_9 Depth=1
	v_cmp_gt_i32_e32 vcc_lo, s24, v37
	v_mov_b32_e32 v0, 50
	s_and_b32 s4, vcc_lo, s2
	s_wait_alu 0xfffe
	s_and_saveexec_b32 s3, s4
	s_cbranch_execz .LBB19_245
; %bb.244:                              ;   in Loop: Header=BB19_9 Depth=1
	scratch_load_b32 v0, off, off offset:844 ; 4-byte Folded Reload
	s_wait_loadcnt 0x0
	ds_load_b32 v2, v0 offset:128
	v_mad_co_u64_u32 v[0:1], null, v37, s25, v[30:31]
	s_delay_alu instid0(VALU_DEP_1) | instskip(NEXT) | instid1(VALU_DEP_1)
	v_mul_lo_u32 v0, v0, 56
	v_ashrrev_i32_e32 v1, 31, v0
	v_add_co_u32 v0, vcc_lo, v0, v144
	s_wait_dscnt 0x0
	v_lshrrev_b32_e32 v3, 16, v2
	v_cvt_f32_f16_e32 v2, v2
	s_wait_alu 0xfffd
	v_add_co_ci_u32_e64 v1, null, 0, v1, vcc_lo
	s_delay_alu instid0(VALU_DEP_3) | instskip(NEXT) | instid1(VALU_DEP_3)
	v_cvt_f32_f16_e32 v3, v3
	v_add_f32_e32 v2, 0, v2
	s_delay_alu instid0(VALU_DEP_3) | instskip(NEXT) | instid1(VALU_DEP_3)
	v_lshlrev_b64_e32 v[0:1], 3, v[0:1]
	v_add_f32_e32 v3, 0, v3
	s_delay_alu instid0(VALU_DEP_2) | instskip(SKIP_1) | instid1(VALU_DEP_3)
	v_add_co_u32 v4, vcc_lo, s72, v0
	s_wait_alu 0xfffd
	v_add_co_ci_u32_e64 v5, null, s73, v1, vcc_lo
	v_mov_b32_e32 v0, 0
	global_store_b64 v[4:5], v[2:3], off offset:256
.LBB19_245:                             ;   in Loop: Header=BB19_9 Depth=1
	s_wait_alu 0xfffe
	s_or_b32 exec_lo, exec_lo, s3
	s_mov_b32 s3, -1
	s_mov_b32 s4, exec_lo
	v_cmpx_gt_i32_e32 50, v0
; %bb.246:                              ;   in Loop: Header=BB19_9 Depth=1
	v_cmp_eq_u32_e32 vcc_lo, 0, v0
	s_or_not1_b32 s3, vcc_lo, exec_lo
; %bb.247:                              ;   in Loop: Header=BB19_9 Depth=1
	s_wait_alu 0xfffe
	s_or_b32 exec_lo, exec_lo, s4
	s_delay_alu instid0(SALU_CYCLE_1)
	s_and_b32 exec_lo, exec_lo, s3
	s_cbranch_execz .LBB19_250
; %bb.248:                              ;   in Loop: Header=BB19_9 Depth=1
	scratch_load_b32 v0, off, off offset:240 ; 4-byte Folded Reload
	s_wait_loadcnt 0x0
	v_cmp_gt_i32_e32 vcc_lo, s24, v0
	s_and_b32 s2, vcc_lo, s2
	s_wait_alu 0xfffe
	s_and_b32 exec_lo, exec_lo, s2
	s_cbranch_execz .LBB19_250
; %bb.249:                              ;   in Loop: Header=BB19_9 Depth=1
	v_add_nc_u32_e32 v0, v227, v155
	ds_load_b32 v2, v0 offset:13568
	scratch_load_b32 v0, off, off offset:240 th:TH_LOAD_LU ; 4-byte Folded Reload
	s_wait_dscnt 0x0
	v_lshrrev_b32_e32 v3, 16, v2
	v_cvt_f32_f16_e32 v2, v2
	s_delay_alu instid0(VALU_DEP_2) | instskip(NEXT) | instid1(VALU_DEP_1)
	v_cvt_f32_f16_e32 v3, v3
	v_dual_add_f32 v2, 0, v2 :: v_dual_add_f32 v3, 0, v3
	s_wait_loadcnt 0x0
	v_mad_co_u64_u32 v[0:1], null, v0, s25, v[30:31]
	s_delay_alu instid0(VALU_DEP_1) | instskip(NEXT) | instid1(VALU_DEP_1)
	v_mul_lo_u32 v0, v0, 56
	v_ashrrev_i32_e32 v1, 31, v0
	v_add_co_u32 v0, vcc_lo, v0, v144
	s_wait_alu 0xfffd
	s_delay_alu instid0(VALU_DEP_2) | instskip(NEXT) | instid1(VALU_DEP_1)
	v_add_co_ci_u32_e64 v1, null, 0, v1, vcc_lo
	v_lshlrev_b64_e32 v[0:1], 3, v[0:1]
	s_delay_alu instid0(VALU_DEP_1) | instskip(SKIP_1) | instid1(VALU_DEP_2)
	v_add_co_u32 v0, vcc_lo, s72, v0
	s_wait_alu 0xfffd
	v_add_co_ci_u32_e64 v1, null, s73, v1, vcc_lo
	global_store_b64 v[0:1], v[2:3], off offset:256
.LBB19_250:                             ;   in Loop: Header=BB19_9 Depth=1
	s_wait_alu 0xfffe
	s_or_b32 exec_lo, exec_lo, s0
	scratch_load_b32 v0, off, off offset:40 th:TH_LOAD_LU ; 4-byte Folded Reload
	v_cmp_gt_i32_e64 s3, s24, v36
	s_wait_loadcnt 0x0
	v_cmp_gt_i32_e64 s4, s33, v0
	v_cmp_le_i32_e32 vcc_lo, s33, v0
	v_mov_b32_e32 v0, 50
	s_and_b32 s2, s3, s4
	s_wait_alu 0xfffe
	s_and_saveexec_b32 s0, s2
	s_cbranch_execz .LBB19_252
; %bb.251:                              ;   in Loop: Header=BB19_9 Depth=1
	v_add_nc_u32_e32 v0, v228, v222
	ds_load_b32 v2, v0 offset:192
	v_mad_co_u64_u32 v[0:1], null, v36, s25, v[31:32]
	s_delay_alu instid0(VALU_DEP_1) | instskip(NEXT) | instid1(VALU_DEP_1)
	v_mul_lo_u32 v0, v0, 56
	v_ashrrev_i32_e32 v1, 31, v0
	v_or_b32_e32 v0, v0, v210
	s_wait_dscnt 0x0
	v_lshrrev_b32_e32 v3, 16, v2
	v_cvt_f32_f16_e32 v2, v2
	s_delay_alu instid0(VALU_DEP_3) | instskip(NEXT) | instid1(VALU_DEP_3)
	v_lshlrev_b64_e32 v[0:1], 3, v[0:1]
	v_cvt_f32_f16_e32 v3, v3
	s_delay_alu instid0(VALU_DEP_3) | instskip(NEXT) | instid1(VALU_DEP_3)
	v_add_f32_e32 v2, 0, v2
	v_add_co_u32 v4, s3, s72, v0
	s_delay_alu instid0(VALU_DEP_3)
	v_add_f32_e32 v3, 0, v3
	s_wait_alu 0xf1ff
	v_add_co_ci_u32_e64 v5, null, s73, v1, s3
	v_mov_b32_e32 v0, 0
	global_store_b64 v[4:5], v[2:3], off offset:384
.LBB19_252:                             ;   in Loop: Header=BB19_9 Depth=1
	s_wait_alu 0xfffe
	s_or_b32 exec_lo, exec_lo, s0
	s_mov_b32 s4, -1
	s_mov_b32 s0, exec_lo
	v_cmpx_gt_i32_e32 50, v0
; %bb.253:                              ;   in Loop: Header=BB19_9 Depth=1
	v_cmp_eq_u32_e64 s3, 0, v0
	s_or_not1_b32 s4, s3, exec_lo
; %bb.254:                              ;   in Loop: Header=BB19_9 Depth=1
	s_wait_alu 0xfffe
	s_or_b32 exec_lo, exec_lo, s0
	s_mov_b32 s0, 0
	s_mov_b32 s39, 0
                                        ; implicit-def: $vgpr1
	s_and_saveexec_b32 s2, s4
	s_cbranch_execz .LBB19_270
; %bb.255:                              ;   in Loop: Header=BB19_9 Depth=1
	v_cmp_gt_i32_e64 s3, s24, v34
	v_mov_b32_e32 v0, 50
	s_xor_b32 s4, vcc_lo, -1
	s_wait_alu 0xfffe
	s_and_b32 s5, s3, s4
	s_wait_alu 0xfffe
	s_and_saveexec_b32 s3, s5
	s_cbranch_execz .LBB19_257
; %bb.256:                              ;   in Loop: Header=BB19_9 Depth=1
	scratch_load_b32 v0, off, off offset:740 ; 4-byte Folded Reload
	s_wait_loadcnt 0x0
	ds_load_b32 v2, v0 offset:192
	v_mad_co_u64_u32 v[0:1], null, v34, s25, v[31:32]
	s_delay_alu instid0(VALU_DEP_1) | instskip(NEXT) | instid1(VALU_DEP_1)
	v_mul_lo_u32 v0, v0, 56
	v_ashrrev_i32_e32 v1, 31, v0
	v_or_b32_e32 v0, v0, v210
	s_wait_dscnt 0x0
	v_lshrrev_b32_e32 v3, 16, v2
	v_cvt_f32_f16_e32 v2, v2
	s_delay_alu instid0(VALU_DEP_3) | instskip(NEXT) | instid1(VALU_DEP_3)
	v_lshlrev_b64_e32 v[0:1], 3, v[0:1]
	v_cvt_f32_f16_e32 v3, v3
	s_delay_alu instid0(VALU_DEP_3) | instskip(NEXT) | instid1(VALU_DEP_3)
	v_add_f32_e32 v2, 0, v2
	v_add_co_u32 v4, vcc_lo, s72, v0
	s_delay_alu instid0(VALU_DEP_3)
	v_add_f32_e32 v3, 0, v3
	s_wait_alu 0xfffd
	v_add_co_ci_u32_e64 v5, null, s73, v1, vcc_lo
	v_mov_b32_e32 v0, 0
	global_store_b64 v[4:5], v[2:3], off offset:384
.LBB19_257:                             ;   in Loop: Header=BB19_9 Depth=1
	s_wait_alu 0xfffe
	s_or_b32 exec_lo, exec_lo, s3
	s_mov_b32 s6, -1
	s_mov_b32 s3, exec_lo
	v_cmpx_gt_i32_e32 50, v0
; %bb.258:                              ;   in Loop: Header=BB19_9 Depth=1
	v_cmp_eq_u32_e32 vcc_lo, 0, v0
	s_or_not1_b32 s6, vcc_lo, exec_lo
; %bb.259:                              ;   in Loop: Header=BB19_9 Depth=1
	s_wait_alu 0xfffe
	s_or_b32 exec_lo, exec_lo, s3
	s_mov_b32 s5, 0
                                        ; implicit-def: $vgpr1
	s_and_saveexec_b32 s3, s6
	s_cbranch_execz .LBB19_269
; %bb.260:                              ;   in Loop: Header=BB19_9 Depth=1
	v_cmp_gt_i32_e32 vcc_lo, s24, v199
	v_mov_b32_e32 v0, 50
	s_and_b32 s6, vcc_lo, s4
	s_wait_alu 0xfffe
	s_and_saveexec_b32 s5, s6
	s_cbranch_execz .LBB19_262
; %bb.261:                              ;   in Loop: Header=BB19_9 Depth=1
	scratch_load_b32 v0, off, off offset:764 ; 4-byte Folded Reload
	s_wait_loadcnt 0x0
	ds_load_b32 v2, v0 offset:192
	v_mad_co_u64_u32 v[0:1], null, v199, s25, v[31:32]
	s_delay_alu instid0(VALU_DEP_1) | instskip(NEXT) | instid1(VALU_DEP_1)
	v_mul_lo_u32 v0, v0, 56
	v_ashrrev_i32_e32 v1, 31, v0
	v_or_b32_e32 v0, v0, v210
	s_wait_dscnt 0x0
	v_lshrrev_b32_e32 v3, 16, v2
	v_cvt_f32_f16_e32 v2, v2
	s_delay_alu instid0(VALU_DEP_3) | instskip(NEXT) | instid1(VALU_DEP_3)
	v_lshlrev_b64_e32 v[0:1], 3, v[0:1]
	v_cvt_f32_f16_e32 v3, v3
	s_delay_alu instid0(VALU_DEP_3) | instskip(NEXT) | instid1(VALU_DEP_3)
	v_add_f32_e32 v2, 0, v2
	v_add_co_u32 v4, vcc_lo, s72, v0
	s_delay_alu instid0(VALU_DEP_3)
	v_add_f32_e32 v3, 0, v3
	s_wait_alu 0xfffd
	v_add_co_ci_u32_e64 v5, null, s73, v1, vcc_lo
	v_mov_b32_e32 v0, 0
	global_store_b64 v[4:5], v[2:3], off offset:384
.LBB19_262:                             ;   in Loop: Header=BB19_9 Depth=1
	s_wait_alu 0xfffe
	s_or_b32 exec_lo, exec_lo, s5
	s_mov_b32 s30, -1
	s_mov_b32 s5, exec_lo
	v_cmpx_gt_i32_e32 50, v0
; %bb.263:                              ;   in Loop: Header=BB19_9 Depth=1
	v_cmp_eq_u32_e32 vcc_lo, 0, v0
	s_or_not1_b32 s30, vcc_lo, exec_lo
; %bb.264:                              ;   in Loop: Header=BB19_9 Depth=1
	s_wait_alu 0xfffe
	s_or_b32 exec_lo, exec_lo, s5
	s_mov_b32 s6, 0
                                        ; implicit-def: $vgpr1
	s_and_saveexec_b32 s5, s30
	s_cbranch_execz .LBB19_268
; %bb.265:                              ;   in Loop: Header=BB19_9 Depth=1
	v_cmp_gt_i32_e32 vcc_lo, s24, v180
                                        ; implicit-def: $vgpr1
	s_and_b32 s6, vcc_lo, s4
	s_mov_b32 s4, 0
	s_wait_alu 0xfffe
	s_and_saveexec_b32 s30, s6
	s_wait_alu 0xfffe
	s_xor_b32 s6, exec_lo, s30
	s_cbranch_execz .LBB19_267
; %bb.266:                              ;   in Loop: Header=BB19_9 Depth=1
	scratch_load_b32 v0, off, off offset:788 ; 4-byte Folded Reload
	s_mov_b32 s4, exec_lo
	s_wait_loadcnt 0x0
	ds_load_b32 v0, v0 offset:192
	s_wait_dscnt 0x0
	v_lshrrev_b32_e32 v1, 16, v0
	v_cvt_f32_f16_e32 v0, v0
	s_delay_alu instid0(VALU_DEP_2) | instskip(NEXT) | instid1(VALU_DEP_1)
	v_cvt_f32_f16_e32 v1, v1
	v_dual_add_f32 v0, 0, v0 :: v_dual_add_f32 v1, 0, v1
.LBB19_267:                             ;   in Loop: Header=BB19_9 Depth=1
	s_wait_alu 0xfffe
	s_or_b32 exec_lo, exec_lo, s6
	s_delay_alu instid0(SALU_CYCLE_1)
	s_and_b32 s6, s4, exec_lo
.LBB19_268:                             ;   in Loop: Header=BB19_9 Depth=1
	s_wait_alu 0xfffe
	s_or_b32 exec_lo, exec_lo, s5
	s_delay_alu instid0(SALU_CYCLE_1)
	s_and_b32 s5, s6, exec_lo
.LBB19_269:                             ;   in Loop: Header=BB19_9 Depth=1
	s_wait_alu 0xfffe
	s_or_b32 exec_lo, exec_lo, s3
	s_delay_alu instid0(SALU_CYCLE_1)
	s_and_b32 s39, s5, exec_lo
.LBB19_270:                             ;   in Loop: Header=BB19_9 Depth=1
	s_wait_alu 0xfffe
	s_or_b32 exec_lo, exec_lo, s2
	s_delay_alu instid0(SALU_CYCLE_1)
	s_and_b32 vcc_lo, exec_lo, s0
	s_wait_alu 0xfffe
	s_cbranch_vccz .LBB19_529
.LBB19_271:                             ;   in Loop: Header=BB19_9 Depth=1
	s_lshl_b32 s4, s1, 5
	v_cmp_gt_i32_e32 vcc_lo, s33, v176
	s_wait_alu 0xfffe
	v_add_nc_u32_e32 v16, s4, v184
	s_delay_alu instid0(VALU_DEP_1) | instskip(SKIP_1) | instid1(SALU_CYCLE_1)
	v_cmp_gt_i32_e64 s3, s24, v16
	s_and_b32 s95, s3, vcc_lo
	s_xor_b32 s0, s95, -1
	s_wait_alu 0xfffe
	s_and_saveexec_b32 s1, s0
	s_wait_alu 0xfffe
	s_xor_b32 s0, exec_lo, s1
; %bb.272:                              ;   in Loop: Header=BB19_9 Depth=1
	v_add_nc_u32_e32 v0, v219, v203
	ds_store_b32 v0, v179
; %bb.273:                              ;   in Loop: Header=BB19_9 Depth=1
	s_wait_alu 0xfffe
	s_and_not1_saveexec_b32 s0, s0
	s_cbranch_execz .LBB19_275
; %bb.274:                              ;   in Loop: Header=BB19_9 Depth=1
	v_mad_co_u64_u32 v[0:1], null, v16, s7, v[35:36]
	s_delay_alu instid0(VALU_DEP_1) | instskip(NEXT) | instid1(VALU_DEP_1)
	v_ashrrev_i32_e32 v1, 31, v0
	v_lshlrev_b64_e32 v[0:1], 3, v[0:1]
	s_delay_alu instid0(VALU_DEP_1) | instskip(SKIP_1) | instid1(VALU_DEP_2)
	v_add_co_u32 v0, s3, s90, v0
	s_wait_alu 0xf1ff
	v_add_co_ci_u32_e64 v1, null, s91, v1, s3
	global_load_b64 v[0:1], v[0:1], off
	s_wait_loadcnt 0x0
	v_cvt_f16_f32_e32 v0, v0
	v_cvt_f16_f32_e32 v1, v1
	s_delay_alu instid0(VALU_DEP_1) | instskip(SKIP_1) | instid1(VALU_DEP_2)
	v_pack_b32_f16 v0, v0, v1
	v_add_nc_u32_e32 v1, v219, v203
	v_pk_mul_f16 v0, v0, s100
	ds_store_b32 v1, v0
.LBB19_275:                             ;   in Loop: Header=BB19_9 Depth=1
	s_wait_alu 0xfffe
	s_or_b32 exec_lo, exec_lo, s0
	v_add_nc_u32_e32 v10, s4, v221
	s_delay_alu instid0(VALU_DEP_1)
	v_cmp_gt_i32_e64 s3, s24, v10
	s_and_b32 s2, s3, vcc_lo
	s_wait_alu 0xfffe
	s_xor_b32 s0, s2, -1
	s_wait_alu 0xfffe
	s_and_saveexec_b32 s1, s0
	s_wait_alu 0xfffe
	s_xor_b32 s0, exec_lo, s1
; %bb.276:                              ;   in Loop: Header=BB19_9 Depth=1
	v_add_nc_u32_e32 v0, v219, v240
	ds_store_b32 v0, v179
; %bb.277:                              ;   in Loop: Header=BB19_9 Depth=1
	s_wait_alu 0xfffe
	s_and_not1_saveexec_b32 s0, s0
	s_cbranch_execz .LBB19_279
; %bb.278:                              ;   in Loop: Header=BB19_9 Depth=1
	v_mad_co_u64_u32 v[0:1], null, v10, s7, v[35:36]
	s_delay_alu instid0(VALU_DEP_1) | instskip(NEXT) | instid1(VALU_DEP_1)
	v_ashrrev_i32_e32 v1, 31, v0
	v_lshlrev_b64_e32 v[0:1], 3, v[0:1]
	s_delay_alu instid0(VALU_DEP_1) | instskip(SKIP_1) | instid1(VALU_DEP_2)
	v_add_co_u32 v0, s3, s90, v0
	s_wait_alu 0xf1ff
	v_add_co_ci_u32_e64 v1, null, s91, v1, s3
	global_load_b64 v[0:1], v[0:1], off
	s_wait_loadcnt 0x0
	v_cvt_f16_f32_e32 v0, v0
	v_cvt_f16_f32_e32 v1, v1
	s_delay_alu instid0(VALU_DEP_1) | instskip(SKIP_1) | instid1(VALU_DEP_2)
	v_pack_b32_f16 v0, v0, v1
	v_add_nc_u32_e32 v1, v219, v240
	v_pk_mul_f16 v0, v0, s100
	ds_store_b32 v1, v0
.LBB19_279:                             ;   in Loop: Header=BB19_9 Depth=1
	s_wait_alu 0xfffe
	s_or_b32 exec_lo, exec_lo, s0
	v_add_nc_u32_e32 v9, s4, v241
	s_delay_alu instid0(VALU_DEP_1) | instskip(SKIP_1) | instid1(SALU_CYCLE_1)
	v_cmp_gt_i32_e64 s3, s24, v9
	s_and_b32 s65, s3, vcc_lo
	s_xor_b32 s0, s65, -1
	s_wait_alu 0xfffe
	s_and_saveexec_b32 s1, s0
	s_wait_alu 0xfffe
	s_xor_b32 s0, exec_lo, s1
; %bb.280:                              ;   in Loop: Header=BB19_9 Depth=1
	v_add_nc_u32_e32 v0, v219, v254
	ds_store_b32 v0, v179
; %bb.281:                              ;   in Loop: Header=BB19_9 Depth=1
	s_wait_alu 0xfffe
	s_and_not1_saveexec_b32 s0, s0
	s_cbranch_execz .LBB19_283
; %bb.282:                              ;   in Loop: Header=BB19_9 Depth=1
	v_mad_co_u64_u32 v[0:1], null, v9, s7, v[35:36]
	s_delay_alu instid0(VALU_DEP_1) | instskip(NEXT) | instid1(VALU_DEP_1)
	v_ashrrev_i32_e32 v1, 31, v0
	v_lshlrev_b64_e32 v[0:1], 3, v[0:1]
	s_delay_alu instid0(VALU_DEP_1) | instskip(SKIP_1) | instid1(VALU_DEP_2)
	v_add_co_u32 v0, s3, s90, v0
	s_wait_alu 0xf1ff
	v_add_co_ci_u32_e64 v1, null, s91, v1, s3
	global_load_b64 v[0:1], v[0:1], off
	s_wait_loadcnt 0x0
	v_cvt_f16_f32_e32 v0, v0
	v_cvt_f16_f32_e32 v1, v1
	s_delay_alu instid0(VALU_DEP_1) | instskip(SKIP_1) | instid1(VALU_DEP_2)
	v_pack_b32_f16 v0, v0, v1
	v_add_nc_u32_e32 v1, v219, v254
	v_pk_mul_f16 v0, v0, s100
	ds_store_b32 v1, v0
.LBB19_283:                             ;   in Loop: Header=BB19_9 Depth=1
	s_wait_alu 0xfffe
	s_or_b32 exec_lo, exec_lo, s0
	scratch_load_b32 v0, off, off offset:140 ; 4-byte Folded Reload
	s_wait_loadcnt 0x0
	v_add_nc_u32_e32 v8, s4, v0
	s_delay_alu instid0(VALU_DEP_1) | instskip(SKIP_1) | instid1(SALU_CYCLE_1)
	v_cmp_gt_i32_e64 s3, s24, v8
	s_and_b32 s64, s3, vcc_lo
	s_xor_b32 s0, s64, -1
	s_wait_alu 0xfffe
	s_and_saveexec_b32 s1, s0
	s_wait_alu 0xfffe
	s_xor_b32 s0, exec_lo, s1
	s_cbranch_execz .LBB19_285
; %bb.284:                              ;   in Loop: Header=BB19_9 Depth=1
	scratch_load_b32 v0, off, off offset:136 ; 4-byte Folded Reload
	s_wait_loadcnt 0x0
	v_add_nc_u32_e32 v0, v219, v0
	ds_store_b32 v0, v179
.LBB19_285:                             ;   in Loop: Header=BB19_9 Depth=1
	s_wait_alu 0xfffe
	s_and_not1_saveexec_b32 s0, s0
	s_cbranch_execz .LBB19_287
; %bb.286:                              ;   in Loop: Header=BB19_9 Depth=1
	v_mad_co_u64_u32 v[0:1], null, v8, s7, v[35:36]
	s_delay_alu instid0(VALU_DEP_1) | instskip(NEXT) | instid1(VALU_DEP_1)
	v_ashrrev_i32_e32 v1, 31, v0
	v_lshlrev_b64_e32 v[0:1], 3, v[0:1]
	s_delay_alu instid0(VALU_DEP_1) | instskip(SKIP_1) | instid1(VALU_DEP_2)
	v_add_co_u32 v0, s3, s90, v0
	s_wait_alu 0xf1ff
	v_add_co_ci_u32_e64 v1, null, s91, v1, s3
	global_load_b64 v[0:1], v[0:1], off
	s_wait_loadcnt 0x0
	v_cvt_f16_f32_e32 v0, v0
	v_cvt_f16_f32_e32 v1, v1
	s_delay_alu instid0(VALU_DEP_1)
	v_pack_b32_f16 v0, v0, v1
	scratch_load_b32 v1, off, off offset:136 ; 4-byte Folded Reload
	v_pk_mul_f16 v0, v0, s100
	s_wait_loadcnt 0x0
	v_add_nc_u32_e32 v1, v219, v1
	ds_store_b32 v1, v0
.LBB19_287:                             ;   in Loop: Header=BB19_9 Depth=1
	s_wait_alu 0xfffe
	s_or_b32 exec_lo, exec_lo, s0
	scratch_load_b32 v0, off, off offset:144 ; 4-byte Folded Reload
	s_wait_loadcnt 0x0
	v_add_nc_u32_e32 v7, s4, v0
	s_delay_alu instid0(VALU_DEP_1) | instskip(SKIP_1) | instid1(SALU_CYCLE_1)
	v_cmp_gt_i32_e64 s3, s24, v7
	s_and_b32 s63, s3, vcc_lo
	s_xor_b32 s0, s63, -1
	s_wait_alu 0xfffe
	s_and_saveexec_b32 s1, s0
	s_wait_alu 0xfffe
	s_xor_b32 s0, exec_lo, s1
	s_cbranch_execz .LBB19_289
; %bb.288:                              ;   in Loop: Header=BB19_9 Depth=1
	scratch_load_b32 v0, off, off offset:148 ; 4-byte Folded Reload
	s_wait_loadcnt 0x0
	v_add_nc_u32_e32 v0, v219, v0
	ds_store_b32 v0, v179
.LBB19_289:                             ;   in Loop: Header=BB19_9 Depth=1
	s_wait_alu 0xfffe
	s_and_not1_saveexec_b32 s0, s0
	s_cbranch_execz .LBB19_291
; %bb.290:                              ;   in Loop: Header=BB19_9 Depth=1
	v_mad_co_u64_u32 v[0:1], null, v7, s7, v[35:36]
	s_delay_alu instid0(VALU_DEP_1) | instskip(NEXT) | instid1(VALU_DEP_1)
	v_ashrrev_i32_e32 v1, 31, v0
	v_lshlrev_b64_e32 v[0:1], 3, v[0:1]
	s_delay_alu instid0(VALU_DEP_1) | instskip(SKIP_1) | instid1(VALU_DEP_2)
	v_add_co_u32 v0, s3, s90, v0
	s_wait_alu 0xf1ff
	v_add_co_ci_u32_e64 v1, null, s91, v1, s3
	global_load_b64 v[0:1], v[0:1], off
	s_wait_loadcnt 0x0
	v_cvt_f16_f32_e32 v0, v0
	v_cvt_f16_f32_e32 v1, v1
	s_delay_alu instid0(VALU_DEP_1)
	v_pack_b32_f16 v0, v0, v1
	scratch_load_b32 v1, off, off offset:148 ; 4-byte Folded Reload
	v_pk_mul_f16 v0, v0, s100
	s_wait_loadcnt 0x0
	v_add_nc_u32_e32 v1, v219, v1
	ds_store_b32 v1, v0
.LBB19_291:                             ;   in Loop: Header=BB19_9 Depth=1
	;; [unrolled: 44-line block ×3, first 2 shown]
	s_wait_alu 0xfffe
	s_or_b32 exec_lo, exec_lo, s0
	scratch_load_b32 v0, off, off offset:168 ; 4-byte Folded Reload
	s_wait_loadcnt 0x0
	v_add_nc_u32_e32 v5, s4, v0
	s_delay_alu instid0(VALU_DEP_1) | instskip(SKIP_1) | instid1(SALU_CYCLE_1)
	v_cmp_gt_i32_e64 s3, s24, v5
	s_and_b32 s61, s3, vcc_lo
	s_xor_b32 s0, s61, -1
	s_wait_alu 0xfffe
	s_and_saveexec_b32 s1, s0
	s_wait_alu 0xfffe
	s_xor_b32 s0, exec_lo, s1
; %bb.296:                              ;   in Loop: Header=BB19_9 Depth=1
	v_add_nc_u32_e32 v0, v219, v157
	ds_store_b32 v0, v179
; %bb.297:                              ;   in Loop: Header=BB19_9 Depth=1
	s_wait_alu 0xfffe
	s_and_not1_saveexec_b32 s0, s0
	s_cbranch_execz .LBB19_299
; %bb.298:                              ;   in Loop: Header=BB19_9 Depth=1
	v_mad_co_u64_u32 v[0:1], null, v5, s7, v[35:36]
	s_delay_alu instid0(VALU_DEP_1) | instskip(NEXT) | instid1(VALU_DEP_1)
	v_ashrrev_i32_e32 v1, 31, v0
	v_lshlrev_b64_e32 v[0:1], 3, v[0:1]
	s_delay_alu instid0(VALU_DEP_1) | instskip(SKIP_1) | instid1(VALU_DEP_2)
	v_add_co_u32 v0, s3, s90, v0
	s_wait_alu 0xf1ff
	v_add_co_ci_u32_e64 v1, null, s91, v1, s3
	global_load_b64 v[0:1], v[0:1], off
	s_wait_loadcnt 0x0
	v_cvt_f16_f32_e32 v0, v0
	v_cvt_f16_f32_e32 v1, v1
	s_delay_alu instid0(VALU_DEP_1) | instskip(SKIP_1) | instid1(VALU_DEP_2)
	v_pack_b32_f16 v0, v0, v1
	v_add_nc_u32_e32 v1, v219, v157
	v_pk_mul_f16 v0, v0, s100
	ds_store_b32 v1, v0
.LBB19_299:                             ;   in Loop: Header=BB19_9 Depth=1
	s_wait_alu 0xfffe
	s_or_b32 exec_lo, exec_lo, s0
	scratch_load_b32 v0, off, off offset:172 ; 4-byte Folded Reload
	s_wait_loadcnt 0x0
	v_add_nc_u32_e32 v4, s4, v0
	s_delay_alu instid0(VALU_DEP_1) | instskip(SKIP_1) | instid1(SALU_CYCLE_1)
	v_cmp_gt_i32_e64 s3, s24, v4
	s_and_b32 s60, s3, vcc_lo
	s_xor_b32 s0, s60, -1
	s_wait_alu 0xfffe
	s_and_saveexec_b32 s1, s0
	s_wait_alu 0xfffe
	s_xor_b32 s0, exec_lo, s1
; %bb.300:                              ;   in Loop: Header=BB19_9 Depth=1
	v_add_nc_u32_e32 v0, v219, v157
	ds_store_b32 v0, v179 offset:960
; %bb.301:                              ;   in Loop: Header=BB19_9 Depth=1
	s_wait_alu 0xfffe
	s_and_not1_saveexec_b32 s0, s0
	s_cbranch_execz .LBB19_303
; %bb.302:                              ;   in Loop: Header=BB19_9 Depth=1
	v_mad_co_u64_u32 v[0:1], null, v4, s7, v[35:36]
	s_delay_alu instid0(VALU_DEP_1) | instskip(NEXT) | instid1(VALU_DEP_1)
	v_ashrrev_i32_e32 v1, 31, v0
	v_lshlrev_b64_e32 v[0:1], 3, v[0:1]
	s_delay_alu instid0(VALU_DEP_1) | instskip(SKIP_1) | instid1(VALU_DEP_2)
	v_add_co_u32 v0, s3, s90, v0
	s_wait_alu 0xf1ff
	v_add_co_ci_u32_e64 v1, null, s91, v1, s3
	global_load_b64 v[0:1], v[0:1], off
	s_wait_loadcnt 0x0
	v_cvt_f16_f32_e32 v0, v0
	v_cvt_f16_f32_e32 v1, v1
	s_delay_alu instid0(VALU_DEP_1) | instskip(SKIP_1) | instid1(VALU_DEP_2)
	v_pack_b32_f16 v0, v0, v1
	v_add_nc_u32_e32 v1, v219, v157
	v_pk_mul_f16 v0, v0, s100
	ds_store_b32 v1, v0 offset:960
.LBB19_303:                             ;   in Loop: Header=BB19_9 Depth=1
	s_wait_alu 0xfffe
	s_or_b32 exec_lo, exec_lo, s0
	scratch_load_b32 v0, off, off offset:176 ; 4-byte Folded Reload
	s_wait_loadcnt 0x0
	v_add_nc_u32_e32 v3, s4, v0
	s_delay_alu instid0(VALU_DEP_1)
	v_cmp_gt_i32_e64 s3, s24, v3
	s_and_b32 s59, s3, vcc_lo
	s_wait_alu 0xfffe
	s_xor_b32 s0, s59, -1
	s_wait_alu 0xfffe
	s_and_saveexec_b32 s1, s0
	s_wait_alu 0xfffe
	s_xor_b32 s0, exec_lo, s1
; %bb.304:                              ;   in Loop: Header=BB19_9 Depth=1
	v_add_nc_u32_e32 v0, v219, v157
	ds_store_b32 v0, v179 offset:1920
; %bb.305:                              ;   in Loop: Header=BB19_9 Depth=1
	s_wait_alu 0xfffe
	s_and_not1_saveexec_b32 s0, s0
	s_cbranch_execz .LBB19_307
; %bb.306:                              ;   in Loop: Header=BB19_9 Depth=1
	v_mad_co_u64_u32 v[0:1], null, v3, s7, v[35:36]
	s_delay_alu instid0(VALU_DEP_1) | instskip(NEXT) | instid1(VALU_DEP_1)
	v_ashrrev_i32_e32 v1, 31, v0
	v_lshlrev_b64_e32 v[0:1], 3, v[0:1]
	s_delay_alu instid0(VALU_DEP_1) | instskip(SKIP_1) | instid1(VALU_DEP_2)
	v_add_co_u32 v0, s3, s90, v0
	s_wait_alu 0xf1ff
	v_add_co_ci_u32_e64 v1, null, s91, v1, s3
	global_load_b64 v[0:1], v[0:1], off
	s_wait_loadcnt 0x0
	v_cvt_f16_f32_e32 v0, v0
	v_cvt_f16_f32_e32 v1, v1
	s_delay_alu instid0(VALU_DEP_1) | instskip(SKIP_1) | instid1(VALU_DEP_2)
	v_pack_b32_f16 v0, v0, v1
	v_add_nc_u32_e32 v1, v219, v157
	v_pk_mul_f16 v0, v0, s100
	ds_store_b32 v1, v0 offset:1920
.LBB19_307:                             ;   in Loop: Header=BB19_9 Depth=1
	s_wait_alu 0xfffe
	s_or_b32 exec_lo, exec_lo, s0
	scratch_load_b32 v0, off, off offset:180 ; 4-byte Folded Reload
	s_wait_loadcnt 0x0
	v_add_nc_u32_e32 v2, s4, v0
	s_delay_alu instid0(VALU_DEP_1)
	v_cmp_gt_i32_e64 s3, s24, v2
	s_and_b32 s58, s3, vcc_lo
	s_wait_alu 0xfffe
	;; [unrolled: 40-line block ×3, first 2 shown]
	s_xor_b32 s0, s45, -1
	s_wait_alu 0xfffe
	s_and_saveexec_b32 s1, s0
	s_wait_alu 0xfffe
	s_xor_b32 s0, exec_lo, s1
; %bb.312:                              ;   in Loop: Header=BB19_9 Depth=1
	v_add_nc_u32_e32 v0, v219, v157
	ds_store_b32 v0, v179 offset:3840
; %bb.313:                              ;   in Loop: Header=BB19_9 Depth=1
	s_wait_alu 0xfffe
	s_and_not1_saveexec_b32 s0, s0
	s_cbranch_execz .LBB19_315
; %bb.314:                              ;   in Loop: Header=BB19_9 Depth=1
	v_mad_co_u64_u32 v[0:1], null, v176, s7, v[35:36]
	s_delay_alu instid0(VALU_DEP_1) | instskip(NEXT) | instid1(VALU_DEP_1)
	v_ashrrev_i32_e32 v1, 31, v0
	v_lshlrev_b64_e32 v[0:1], 3, v[0:1]
	s_delay_alu instid0(VALU_DEP_1) | instskip(SKIP_1) | instid1(VALU_DEP_2)
	v_add_co_u32 v0, s3, s90, v0
	s_wait_alu 0xf1ff
	v_add_co_ci_u32_e64 v1, null, s91, v1, s3
	global_load_b64 v[0:1], v[0:1], off
	s_wait_loadcnt 0x0
	v_cvt_f16_f32_e32 v0, v0
	v_cvt_f16_f32_e32 v1, v1
	s_delay_alu instid0(VALU_DEP_1) | instskip(SKIP_1) | instid1(VALU_DEP_2)
	v_pack_b32_f16 v0, v0, v1
	v_add_nc_u32_e32 v1, v219, v157
	v_pk_mul_f16 v0, v0, s100
	ds_store_b32 v1, v0 offset:3840
.LBB19_315:                             ;   in Loop: Header=BB19_9 Depth=1
	s_wait_alu 0xfffe
	s_or_b32 exec_lo, exec_lo, s0
	scratch_load_b32 v0, off, off offset:188 ; 4-byte Folded Reload
	s_wait_loadcnt 0x0
	v_add_nc_u32_e32 v175, s4, v0
	s_delay_alu instid0(VALU_DEP_1) | instskip(SKIP_1) | instid1(SALU_CYCLE_1)
	v_cmp_gt_i32_e64 s3, s24, v175
	s_and_b32 s99, s3, vcc_lo
	s_xor_b32 s0, s99, -1
	s_wait_alu 0xfffe
	s_and_saveexec_b32 s1, s0
	s_wait_alu 0xfffe
	s_xor_b32 s0, exec_lo, s1
; %bb.316:                              ;   in Loop: Header=BB19_9 Depth=1
	v_add_nc_u32_e32 v0, v219, v157
	ds_store_b32 v0, v179 offset:4800
; %bb.317:                              ;   in Loop: Header=BB19_9 Depth=1
	s_wait_alu 0xfffe
	s_and_not1_saveexec_b32 s0, s0
	s_cbranch_execz .LBB19_319
; %bb.318:                              ;   in Loop: Header=BB19_9 Depth=1
	v_mad_co_u64_u32 v[0:1], null, v175, s7, v[35:36]
	s_delay_alu instid0(VALU_DEP_1) | instskip(NEXT) | instid1(VALU_DEP_1)
	v_ashrrev_i32_e32 v1, 31, v0
	v_lshlrev_b64_e32 v[0:1], 3, v[0:1]
	s_delay_alu instid0(VALU_DEP_1) | instskip(SKIP_1) | instid1(VALU_DEP_2)
	v_add_co_u32 v0, s3, s90, v0
	s_wait_alu 0xf1ff
	v_add_co_ci_u32_e64 v1, null, s91, v1, s3
	global_load_b64 v[0:1], v[0:1], off
	s_wait_loadcnt 0x0
	v_cvt_f16_f32_e32 v0, v0
	v_cvt_f16_f32_e32 v1, v1
	s_delay_alu instid0(VALU_DEP_1) | instskip(SKIP_1) | instid1(VALU_DEP_2)
	v_pack_b32_f16 v0, v0, v1
	v_add_nc_u32_e32 v1, v219, v157
	v_pk_mul_f16 v0, v0, s100
	ds_store_b32 v1, v0 offset:4800
.LBB19_319:                             ;   in Loop: Header=BB19_9 Depth=1
	s_wait_alu 0xfffe
	s_or_b32 exec_lo, exec_lo, s0
	scratch_load_b32 v0, off, off offset:192 ; 4-byte Folded Reload
	s_wait_loadcnt 0x0
	v_add_nc_u32_e32 v174, s4, v0
	s_delay_alu instid0(VALU_DEP_1) | instskip(SKIP_1) | instid1(SALU_CYCLE_1)
	v_cmp_gt_i32_e64 s3, s24, v174
	s_and_b32 s50, s3, vcc_lo
	s_xor_b32 s0, s50, -1
	s_wait_alu 0xfffe
	s_and_saveexec_b32 s1, s0
	s_wait_alu 0xfffe
	s_xor_b32 s0, exec_lo, s1
; %bb.320:                              ;   in Loop: Header=BB19_9 Depth=1
	v_add_nc_u32_e32 v0, v219, v157
	ds_store_b32 v0, v179 offset:5760
; %bb.321:                              ;   in Loop: Header=BB19_9 Depth=1
	s_wait_alu 0xfffe
	s_and_not1_saveexec_b32 s0, s0
	s_cbranch_execz .LBB19_323
; %bb.322:                              ;   in Loop: Header=BB19_9 Depth=1
	v_mad_co_u64_u32 v[0:1], null, v174, s7, v[35:36]
	s_delay_alu instid0(VALU_DEP_1) | instskip(NEXT) | instid1(VALU_DEP_1)
	v_ashrrev_i32_e32 v1, 31, v0
	v_lshlrev_b64_e32 v[0:1], 3, v[0:1]
	s_delay_alu instid0(VALU_DEP_1) | instskip(SKIP_1) | instid1(VALU_DEP_2)
	v_add_co_u32 v0, s3, s90, v0
	s_wait_alu 0xf1ff
	v_add_co_ci_u32_e64 v1, null, s91, v1, s3
	global_load_b64 v[0:1], v[0:1], off
	s_wait_loadcnt 0x0
	v_cvt_f16_f32_e32 v0, v0
	v_cvt_f16_f32_e32 v1, v1
	s_delay_alu instid0(VALU_DEP_1) | instskip(SKIP_1) | instid1(VALU_DEP_2)
	v_pack_b32_f16 v0, v0, v1
	v_add_nc_u32_e32 v1, v219, v157
	v_pk_mul_f16 v0, v0, s100
	ds_store_b32 v1, v0 offset:5760
.LBB19_323:                             ;   in Loop: Header=BB19_9 Depth=1
	s_wait_alu 0xfffe
	s_or_b32 exec_lo, exec_lo, s0
	scratch_load_b32 v0, off, off offset:196 ; 4-byte Folded Reload
	s_wait_loadcnt 0x0
	v_add_nc_u32_e32 v173, s4, v0
	s_delay_alu instid0(VALU_DEP_1)
	v_cmp_gt_i32_e64 s3, s24, v173
	s_and_b32 s30, s3, vcc_lo
	s_wait_alu 0xfffe
	s_xor_b32 s0, s30, -1
	s_wait_alu 0xfffe
	s_and_saveexec_b32 s1, s0
	s_wait_alu 0xfffe
	s_xor_b32 s0, exec_lo, s1
; %bb.324:                              ;   in Loop: Header=BB19_9 Depth=1
	v_add_nc_u32_e32 v0, v219, v157
	ds_store_b32 v0, v179 offset:6720
; %bb.325:                              ;   in Loop: Header=BB19_9 Depth=1
	s_wait_alu 0xfffe
	s_and_not1_saveexec_b32 s0, s0
	s_cbranch_execz .LBB19_327
; %bb.326:                              ;   in Loop: Header=BB19_9 Depth=1
	v_mad_co_u64_u32 v[0:1], null, v173, s7, v[35:36]
	s_delay_alu instid0(VALU_DEP_1) | instskip(NEXT) | instid1(VALU_DEP_1)
	v_ashrrev_i32_e32 v1, 31, v0
	v_lshlrev_b64_e32 v[0:1], 3, v[0:1]
	s_delay_alu instid0(VALU_DEP_1) | instskip(SKIP_1) | instid1(VALU_DEP_2)
	v_add_co_u32 v0, s3, s90, v0
	s_wait_alu 0xf1ff
	v_add_co_ci_u32_e64 v1, null, s91, v1, s3
	global_load_b64 v[0:1], v[0:1], off
	s_wait_loadcnt 0x0
	v_cvt_f16_f32_e32 v0, v0
	v_cvt_f16_f32_e32 v1, v1
	s_delay_alu instid0(VALU_DEP_1) | instskip(SKIP_1) | instid1(VALU_DEP_2)
	v_pack_b32_f16 v0, v0, v1
	v_add_nc_u32_e32 v1, v219, v157
	v_pk_mul_f16 v0, v0, s100
	ds_store_b32 v1, v0 offset:6720
.LBB19_327:                             ;   in Loop: Header=BB19_9 Depth=1
	s_wait_alu 0xfffe
	s_or_b32 exec_lo, exec_lo, s0
	scratch_load_b32 v0, off, off offset:200 ; 4-byte Folded Reload
	s_wait_loadcnt 0x0
	v_add_nc_u32_e32 v172, s4, v0
	s_delay_alu instid0(VALU_DEP_1)
	v_cmp_gt_i32_e64 s3, s24, v172
	s_and_b32 vcc_hi, s3, vcc_lo
	s_wait_alu 0xfffe
	s_xor_b32 s0, vcc_hi, -1
	s_wait_alu 0xfffe
	s_and_saveexec_b32 s1, s0
	s_wait_alu 0xfffe
	s_xor_b32 s0, exec_lo, s1
; %bb.328:                              ;   in Loop: Header=BB19_9 Depth=1
	v_add_nc_u32_e32 v0, v219, v157
	ds_store_b32 v0, v179 offset:7680
; %bb.329:                              ;   in Loop: Header=BB19_9 Depth=1
	s_wait_alu 0xfffe
	s_and_not1_saveexec_b32 s0, s0
	s_cbranch_execz .LBB19_331
; %bb.330:                              ;   in Loop: Header=BB19_9 Depth=1
	v_mad_co_u64_u32 v[0:1], null, v172, s7, v[35:36]
	s_delay_alu instid0(VALU_DEP_1) | instskip(NEXT) | instid1(VALU_DEP_1)
	v_ashrrev_i32_e32 v1, 31, v0
	v_lshlrev_b64_e32 v[0:1], 3, v[0:1]
	s_delay_alu instid0(VALU_DEP_1) | instskip(SKIP_1) | instid1(VALU_DEP_2)
	v_add_co_u32 v0, s3, s90, v0
	s_wait_alu 0xf1ff
	v_add_co_ci_u32_e64 v1, null, s91, v1, s3
	global_load_b64 v[0:1], v[0:1], off
	s_wait_loadcnt 0x0
	v_cvt_f16_f32_e32 v0, v0
	v_cvt_f16_f32_e32 v1, v1
	s_delay_alu instid0(VALU_DEP_1) | instskip(SKIP_1) | instid1(VALU_DEP_2)
	v_pack_b32_f16 v0, v0, v1
	v_add_nc_u32_e32 v1, v219, v157
	v_pk_mul_f16 v0, v0, s100
	ds_store_b32 v1, v0 offset:7680
.LBB19_331:                             ;   in Loop: Header=BB19_9 Depth=1
	s_wait_alu 0xfffe
	s_or_b32 exec_lo, exec_lo, s0
	scratch_load_b32 v0, off, off offset:212 ; 4-byte Folded Reload
	s_wait_loadcnt 0x0
	v_add_nc_u32_e32 v171, s4, v0
	s_delay_alu instid0(VALU_DEP_1)
	v_cmp_gt_i32_e64 s3, s24, v171
	s_and_b32 s43, s3, vcc_lo
	s_wait_alu 0xfffe
	s_xor_b32 s0, s43, -1
	s_wait_alu 0xfffe
	s_and_saveexec_b32 s1, s0
	s_wait_alu 0xfffe
	s_xor_b32 s0, exec_lo, s1
; %bb.332:                              ;   in Loop: Header=BB19_9 Depth=1
	v_add_nc_u32_e32 v0, v219, v157
	ds_store_b32 v0, v179 offset:8640
; %bb.333:                              ;   in Loop: Header=BB19_9 Depth=1
	s_wait_alu 0xfffe
	s_and_not1_saveexec_b32 s0, s0
	s_cbranch_execz .LBB19_335
; %bb.334:                              ;   in Loop: Header=BB19_9 Depth=1
	v_mad_co_u64_u32 v[0:1], null, v171, s7, v[35:36]
	s_delay_alu instid0(VALU_DEP_1) | instskip(NEXT) | instid1(VALU_DEP_1)
	v_ashrrev_i32_e32 v1, 31, v0
	v_lshlrev_b64_e32 v[0:1], 3, v[0:1]
	s_delay_alu instid0(VALU_DEP_1) | instskip(SKIP_1) | instid1(VALU_DEP_2)
	v_add_co_u32 v0, vcc_lo, s90, v0
	s_wait_alu 0xfffd
	v_add_co_ci_u32_e64 v1, null, s91, v1, vcc_lo
	global_load_b64 v[0:1], v[0:1], off
	s_wait_loadcnt 0x0
	v_cvt_f16_f32_e32 v0, v0
	v_cvt_f16_f32_e32 v1, v1
	s_delay_alu instid0(VALU_DEP_1) | instskip(SKIP_1) | instid1(VALU_DEP_2)
	v_pack_b32_f16 v0, v0, v1
	v_add_nc_u32_e32 v1, v219, v157
	v_pk_mul_f16 v0, v0, s100
	ds_store_b32 v1, v0 offset:8640
.LBB19_335:                             ;   in Loop: Header=BB19_9 Depth=1
	s_wait_alu 0xfffe
	s_or_b32 exec_lo, exec_lo, s0
	v_add_nc_u32_e32 v170, s4, v150
	v_or_b32_e32 v0, s67, v30
	s_delay_alu instid0(VALU_DEP_2) | instskip(NEXT) | instid1(VALU_DEP_2)
	v_cmp_gt_i32_e64 s3, s24, v170
	v_cmp_gt_i32_e32 vcc_lo, s33, v0
	s_and_b32 s42, s3, vcc_lo
	s_wait_alu 0xfffe
	s_xor_b32 s0, s42, -1
	s_wait_alu 0xfffe
	s_and_saveexec_b32 s1, s0
	s_wait_alu 0xfffe
	s_xor_b32 s0, exec_lo, s1
	s_cbranch_execz .LBB19_337
; %bb.336:                              ;   in Loop: Header=BB19_9 Depth=1
	scratch_load_b32 v0, off, off offset:248 ; 4-byte Folded Reload
	s_wait_loadcnt 0x0
	ds_store_b32 v0, v179 offset:128
.LBB19_337:                             ;   in Loop: Header=BB19_9 Depth=1
	s_wait_alu 0xfffe
	s_and_not1_saveexec_b32 s0, s0
	s_cbranch_execz .LBB19_339
; %bb.338:                              ;   in Loop: Header=BB19_9 Depth=1
	v_mad_co_u64_u32 v[0:1], null, v170, s7, v[32:33]
	s_delay_alu instid0(VALU_DEP_1) | instskip(NEXT) | instid1(VALU_DEP_1)
	v_ashrrev_i32_e32 v1, 31, v0
	v_lshlrev_b64_e32 v[0:1], 3, v[0:1]
	s_delay_alu instid0(VALU_DEP_1) | instskip(SKIP_1) | instid1(VALU_DEP_2)
	v_add_co_u32 v0, s3, s90, v0
	s_wait_alu 0xf1ff
	v_add_co_ci_u32_e64 v1, null, s91, v1, s3
	global_load_b64 v[0:1], v[0:1], off
	s_wait_loadcnt 0x0
	v_cvt_f16_f32_e32 v0, v0
	v_cvt_f16_f32_e32 v1, v1
	s_delay_alu instid0(VALU_DEP_1) | instskip(SKIP_1) | instid1(VALU_DEP_2)
	v_pack_b32_f16 v0, v0, v1
	v_add_nc_u32_e32 v1, v227, v155
	v_pk_mul_f16 v0, v0, s100
	ds_store_b32 v1, v0 offset:128
.LBB19_339:                             ;   in Loop: Header=BB19_9 Depth=1
	s_wait_alu 0xfffe
	s_or_b32 exec_lo, exec_lo, s0
	v_add_nc_u32_e32 v169, s4, v156
	s_delay_alu instid0(VALU_DEP_1)
	v_cmp_gt_i32_e64 s3, s24, v169
	s_and_b32 s41, s3, vcc_lo
	s_wait_alu 0xfffe
	s_xor_b32 s0, s41, -1
	s_wait_alu 0xfffe
	s_and_saveexec_b32 s1, s0
	s_wait_alu 0xfffe
	s_xor_b32 s0, exec_lo, s1
	s_cbranch_execz .LBB19_341
; %bb.340:                              ;   in Loop: Header=BB19_9 Depth=1
	scratch_load_b32 v0, off, off offset:260 ; 4-byte Folded Reload
	s_wait_loadcnt 0x0
	ds_store_b32 v0, v179 offset:128
.LBB19_341:                             ;   in Loop: Header=BB19_9 Depth=1
	s_wait_alu 0xfffe
	s_and_not1_saveexec_b32 s0, s0
	s_cbranch_execz .LBB19_343
; %bb.342:                              ;   in Loop: Header=BB19_9 Depth=1
	v_mad_co_u64_u32 v[0:1], null, v169, s7, v[32:33]
	s_delay_alu instid0(VALU_DEP_1) | instskip(NEXT) | instid1(VALU_DEP_1)
	v_ashrrev_i32_e32 v1, 31, v0
	v_lshlrev_b64_e32 v[0:1], 3, v[0:1]
	s_delay_alu instid0(VALU_DEP_1) | instskip(SKIP_1) | instid1(VALU_DEP_2)
	v_add_co_u32 v0, s3, s90, v0
	s_wait_alu 0xf1ff
	v_add_co_ci_u32_e64 v1, null, s91, v1, s3
	global_load_b64 v[0:1], v[0:1], off
	s_wait_loadcnt 0x0
	v_cvt_f16_f32_e32 v0, v0
	v_cvt_f16_f32_e32 v1, v1
	s_delay_alu instid0(VALU_DEP_1) | instskip(SKIP_1) | instid1(VALU_DEP_2)
	v_pack_b32_f16 v0, v0, v1
	v_add_nc_u32_e32 v1, v227, v155
	v_pk_mul_f16 v0, v0, s100
	ds_store_b32 v1, v0 offset:2048
.LBB19_343:                             ;   in Loop: Header=BB19_9 Depth=1
	s_wait_alu 0xfffe
	s_or_b32 exec_lo, exec_lo, s0
	v_add_nc_u32_e32 v168, s4, v158
	s_delay_alu instid0(VALU_DEP_1)
	v_cmp_gt_i32_e64 s3, s24, v168
	s_and_b32 s40, s3, vcc_lo
	s_wait_alu 0xfffe
	s_xor_b32 s0, s40, -1
	s_wait_alu 0xfffe
	s_and_saveexec_b32 s1, s0
	s_wait_alu 0xfffe
	s_xor_b32 s0, exec_lo, s1
	s_cbranch_execz .LBB19_345
; %bb.344:                              ;   in Loop: Header=BB19_9 Depth=1
	scratch_load_b32 v0, off, off offset:480 ; 4-byte Folded Reload
	s_wait_loadcnt 0x0
	ds_store_b32 v0, v179 offset:128
.LBB19_345:                             ;   in Loop: Header=BB19_9 Depth=1
	s_wait_alu 0xfffe
	s_and_not1_saveexec_b32 s0, s0
	s_cbranch_execz .LBB19_347
; %bb.346:                              ;   in Loop: Header=BB19_9 Depth=1
	v_mad_co_u64_u32 v[0:1], null, v168, s7, v[32:33]
	s_delay_alu instid0(VALU_DEP_1) | instskip(NEXT) | instid1(VALU_DEP_1)
	v_ashrrev_i32_e32 v1, 31, v0
	v_lshlrev_b64_e32 v[0:1], 3, v[0:1]
	s_delay_alu instid0(VALU_DEP_1) | instskip(SKIP_1) | instid1(VALU_DEP_2)
	v_add_co_u32 v0, s3, s90, v0
	s_wait_alu 0xf1ff
	v_add_co_ci_u32_e64 v1, null, s91, v1, s3
	global_load_b64 v[0:1], v[0:1], off
	s_wait_loadcnt 0x0
	v_cvt_f16_f32_e32 v0, v0
	v_cvt_f16_f32_e32 v1, v1
	s_delay_alu instid0(VALU_DEP_1) | instskip(SKIP_1) | instid1(VALU_DEP_2)
	v_pack_b32_f16 v0, v0, v1
	v_add_nc_u32_e32 v1, v227, v155
	v_pk_mul_f16 v0, v0, s100
	ds_store_b32 v1, v0 offset:3968
.LBB19_347:                             ;   in Loop: Header=BB19_9 Depth=1
	s_wait_alu 0xfffe
	s_or_b32 exec_lo, exec_lo, s0
	v_add_nc_u32_e32 v167, s4, v183
	s_delay_alu instid0(VALU_DEP_1) | instskip(SKIP_1) | instid1(SALU_CYCLE_1)
	v_cmp_gt_i32_e64 s3, s24, v167
	s_and_b32 s51, s3, vcc_lo
	s_xor_b32 s0, s51, -1
	s_wait_alu 0xfffe
	s_and_saveexec_b32 s1, s0
	s_wait_alu 0xfffe
	s_xor_b32 s0, exec_lo, s1
	s_cbranch_execz .LBB19_349
; %bb.348:                              ;   in Loop: Header=BB19_9 Depth=1
	scratch_load_b32 v0, off, off offset:484 ; 4-byte Folded Reload
	s_wait_loadcnt 0x0
	ds_store_b32 v0, v179 offset:128
.LBB19_349:                             ;   in Loop: Header=BB19_9 Depth=1
	s_wait_alu 0xfffe
	s_and_not1_saveexec_b32 s0, s0
	s_cbranch_execz .LBB19_351
; %bb.350:                              ;   in Loop: Header=BB19_9 Depth=1
	v_mad_co_u64_u32 v[0:1], null, v167, s7, v[32:33]
	s_delay_alu instid0(VALU_DEP_1) | instskip(NEXT) | instid1(VALU_DEP_1)
	v_ashrrev_i32_e32 v1, 31, v0
	v_lshlrev_b64_e32 v[0:1], 3, v[0:1]
	s_delay_alu instid0(VALU_DEP_1) | instskip(SKIP_1) | instid1(VALU_DEP_2)
	v_add_co_u32 v0, s3, s90, v0
	s_wait_alu 0xf1ff
	v_add_co_ci_u32_e64 v1, null, s91, v1, s3
	global_load_b64 v[0:1], v[0:1], off
	s_wait_loadcnt 0x0
	v_cvt_f16_f32_e32 v0, v0
	v_cvt_f16_f32_e32 v1, v1
	s_delay_alu instid0(VALU_DEP_1) | instskip(SKIP_1) | instid1(VALU_DEP_2)
	v_pack_b32_f16 v0, v0, v1
	v_add_nc_u32_e32 v1, v227, v155
	v_pk_mul_f16 v0, v0, s100
	ds_store_b32 v1, v0 offset:5888
.LBB19_351:                             ;   in Loop: Header=BB19_9 Depth=1
	s_wait_alu 0xfffe
	s_or_b32 exec_lo, exec_lo, s0
	v_add_nc_u32_e32 v166, s4, v186
	s_delay_alu instid0(VALU_DEP_1)
	v_cmp_gt_i32_e64 s3, s24, v166
	s_and_b32 s0, s3, vcc_lo
	s_wait_alu 0xfffe
	s_xor_b32 s1, s0, -1
	s_wait_alu 0xfffe
	s_and_saveexec_b32 s3, s1
	s_wait_alu 0xfffe
	s_xor_b32 s1, exec_lo, s3
	s_cbranch_execz .LBB19_353
; %bb.352:                              ;   in Loop: Header=BB19_9 Depth=1
	scratch_load_b32 v0, off, off offset:488 ; 4-byte Folded Reload
	s_wait_loadcnt 0x0
	ds_store_b32 v0, v179 offset:128
.LBB19_353:                             ;   in Loop: Header=BB19_9 Depth=1
	s_wait_alu 0xfffe
	s_and_not1_saveexec_b32 s1, s1
	s_cbranch_execz .LBB19_355
; %bb.354:                              ;   in Loop: Header=BB19_9 Depth=1
	v_mad_co_u64_u32 v[0:1], null, v166, s7, v[32:33]
	s_delay_alu instid0(VALU_DEP_1) | instskip(NEXT) | instid1(VALU_DEP_1)
	v_ashrrev_i32_e32 v1, 31, v0
	v_lshlrev_b64_e32 v[0:1], 3, v[0:1]
	s_delay_alu instid0(VALU_DEP_1) | instskip(SKIP_1) | instid1(VALU_DEP_2)
	v_add_co_u32 v0, s3, s90, v0
	s_wait_alu 0xf1ff
	v_add_co_ci_u32_e64 v1, null, s91, v1, s3
	global_load_b64 v[0:1], v[0:1], off
	s_wait_loadcnt 0x0
	v_cvt_f16_f32_e32 v0, v0
	v_cvt_f16_f32_e32 v1, v1
	s_delay_alu instid0(VALU_DEP_1) | instskip(SKIP_1) | instid1(VALU_DEP_2)
	v_pack_b32_f16 v0, v0, v1
	v_add_nc_u32_e32 v1, v227, v155
	v_pk_mul_f16 v0, v0, s100
	ds_store_b32 v1, v0 offset:7808
.LBB19_355:                             ;   in Loop: Header=BB19_9 Depth=1
	s_wait_alu 0xfffe
	s_or_b32 exec_lo, exec_lo, s1
	v_add_nc_u32_e32 v165, s4, v185
	s_delay_alu instid0(VALU_DEP_1)
	v_cmp_gt_i32_e64 s3, s24, v165
	s_and_b32 s1, s3, vcc_lo
	s_wait_alu 0xfffe
	;; [unrolled: 40-line block ×4, first 2 shown]
	s_xor_b32 s3, s6, -1
	s_wait_alu 0xfffe
	s_and_saveexec_b32 s5, s3
	s_wait_alu 0xfffe
	s_xor_b32 s3, exec_lo, s5
	s_cbranch_execz .LBB19_365
; %bb.364:                              ;   in Loop: Header=BB19_9 Depth=1
	scratch_load_b32 v0, off, off offset:500 ; 4-byte Folded Reload
	s_wait_loadcnt 0x0
	ds_store_b32 v0, v179 offset:128
.LBB19_365:                             ;   in Loop: Header=BB19_9 Depth=1
	s_wait_alu 0xfffe
	s_and_not1_saveexec_b32 s3, s3
	s_cbranch_execz .LBB19_367
; %bb.366:                              ;   in Loop: Header=BB19_9 Depth=1
	v_mad_co_u64_u32 v[0:1], null, v163, s7, v[32:33]
	s_delay_alu instid0(VALU_DEP_1) | instskip(NEXT) | instid1(VALU_DEP_1)
	v_ashrrev_i32_e32 v1, 31, v0
	v_lshlrev_b64_e32 v[0:1], 3, v[0:1]
	s_delay_alu instid0(VALU_DEP_1) | instskip(SKIP_1) | instid1(VALU_DEP_2)
	v_add_co_u32 v0, vcc_lo, s90, v0
	s_wait_alu 0xfffd
	v_add_co_ci_u32_e64 v1, null, s91, v1, vcc_lo
	global_load_b64 v[0:1], v[0:1], off
	s_wait_loadcnt 0x0
	v_cvt_f16_f32_e32 v0, v0
	v_cvt_f16_f32_e32 v1, v1
	s_delay_alu instid0(VALU_DEP_1) | instskip(SKIP_1) | instid1(VALU_DEP_2)
	v_pack_b32_f16 v0, v0, v1
	v_add_nc_u32_e32 v1, v227, v155
	v_pk_mul_f16 v0, v0, s100
	ds_store_b32 v1, v0 offset:13568
.LBB19_367:                             ;   in Loop: Header=BB19_9 Depth=1
	s_wait_alu 0xfffe
	s_or_b32 exec_lo, exec_lo, s3
	v_add_nc_u32_e32 v162, s4, v220
	v_or_b32_e32 v0, s67, v31
	s_delay_alu instid0(VALU_DEP_2) | instskip(NEXT) | instid1(VALU_DEP_2)
	v_cmp_gt_i32_e64 s3, s24, v162
	v_cmp_gt_i32_e32 vcc_lo, s33, v0
	s_and_b32 s94, s3, vcc_lo
	s_delay_alu instid0(SALU_CYCLE_1)
	s_xor_b32 s3, s94, -1
	s_wait_alu 0xfffe
	s_and_saveexec_b32 s5, s3
	s_wait_alu 0xfffe
	s_xor_b32 s3, exec_lo, s5
	s_cbranch_execz .LBB19_369
; %bb.368:                              ;   in Loop: Header=BB19_9 Depth=1
	scratch_load_b32 v0, off, off offset:252 ; 4-byte Folded Reload
	s_wait_loadcnt 0x0
	ds_store_b32 v0, v179 offset:192
.LBB19_369:                             ;   in Loop: Header=BB19_9 Depth=1
	s_wait_alu 0xfffe
	s_and_not1_saveexec_b32 s5, s3
	s_cbranch_execz .LBB19_371
; %bb.370:                              ;   in Loop: Header=BB19_9 Depth=1
	v_mad_co_u64_u32 v[0:1], null, v162, s7, v[33:34]
	s_delay_alu instid0(VALU_DEP_1) | instskip(NEXT) | instid1(VALU_DEP_1)
	v_ashrrev_i32_e32 v1, 31, v0
	v_lshlrev_b64_e32 v[0:1], 3, v[0:1]
	s_delay_alu instid0(VALU_DEP_1) | instskip(SKIP_1) | instid1(VALU_DEP_2)
	v_add_co_u32 v0, s3, s90, v0
	s_wait_alu 0xf1ff
	v_add_co_ci_u32_e64 v1, null, s91, v1, s3
	global_load_b64 v[0:1], v[0:1], off
	s_wait_loadcnt 0x0
	v_cvt_f16_f32_e32 v0, v0
	v_cvt_f16_f32_e32 v1, v1
	s_delay_alu instid0(VALU_DEP_1) | instskip(SKIP_1) | instid1(VALU_DEP_2)
	v_pack_b32_f16 v0, v0, v1
	v_add_nc_u32_e32 v1, v228, v222
	v_pk_mul_f16 v0, v0, s100
	ds_store_b32 v1, v0 offset:192
.LBB19_371:                             ;   in Loop: Header=BB19_9 Depth=1
	s_wait_alu 0xfffe
	s_or_b32 exec_lo, exec_lo, s5
	v_add_nc_u32_e32 v161, s4, v223
	s_delay_alu instid0(VALU_DEP_1) | instskip(SKIP_1) | instid1(SALU_CYCLE_1)
	v_cmp_gt_i32_e64 s3, s24, v161
	s_and_b32 s93, s3, vcc_lo
	s_xor_b32 s3, s93, -1
	s_wait_alu 0xfffe
	s_and_saveexec_b32 s5, s3
	s_wait_alu 0xfffe
	s_xor_b32 s3, exec_lo, s5
	s_cbranch_execz .LBB19_373
; %bb.372:                              ;   in Loop: Header=BB19_9 Depth=1
	scratch_load_b32 v0, off, off offset:420 ; 4-byte Folded Reload
	s_wait_loadcnt 0x0
	ds_store_b32 v0, v179 offset:192
.LBB19_373:                             ;   in Loop: Header=BB19_9 Depth=1
	s_wait_alu 0xfffe
	s_and_not1_saveexec_b32 s5, s3
	s_cbranch_execz .LBB19_375
; %bb.374:                              ;   in Loop: Header=BB19_9 Depth=1
	v_mad_co_u64_u32 v[0:1], null, v161, s7, v[33:34]
	s_delay_alu instid0(VALU_DEP_1) | instskip(NEXT) | instid1(VALU_DEP_1)
	v_ashrrev_i32_e32 v1, 31, v0
	v_lshlrev_b64_e32 v[0:1], 3, v[0:1]
	s_delay_alu instid0(VALU_DEP_1) | instskip(SKIP_1) | instid1(VALU_DEP_2)
	v_add_co_u32 v0, s3, s90, v0
	s_wait_alu 0xf1ff
	v_add_co_ci_u32_e64 v1, null, s91, v1, s3
	global_load_b64 v[0:1], v[0:1], off
	s_wait_loadcnt 0x0
	v_cvt_f16_f32_e32 v0, v0
	v_cvt_f16_f32_e32 v1, v1
	s_delay_alu instid0(VALU_DEP_1) | instskip(SKIP_1) | instid1(VALU_DEP_2)
	v_pack_b32_f16 v0, v0, v1
	v_add_nc_u32_e32 v1, v228, v222
	v_pk_mul_f16 v0, v0, s100
	ds_store_b32 v1, v0 offset:4032
.LBB19_375:                             ;   in Loop: Header=BB19_9 Depth=1
	s_wait_alu 0xfffe
	s_or_b32 exec_lo, exec_lo, s5
	v_add_nc_u32_e32 v160, s4, v224
	s_delay_alu instid0(VALU_DEP_1) | instskip(SKIP_1) | instid1(SALU_CYCLE_1)
	v_cmp_gt_i32_e64 s3, s24, v160
	s_and_b32 s92, s3, vcc_lo
	s_xor_b32 s3, s92, -1
	s_wait_alu 0xfffe
	s_and_saveexec_b32 s5, s3
	s_wait_alu 0xfffe
	s_xor_b32 s3, exec_lo, s5
	s_cbranch_execz .LBB19_377
; %bb.376:                              ;   in Loop: Header=BB19_9 Depth=1
	scratch_load_b32 v0, off, off offset:424 ; 4-byte Folded Reload
	s_wait_loadcnt 0x0
	ds_store_b32 v0, v179 offset:192
.LBB19_377:                             ;   in Loop: Header=BB19_9 Depth=1
	s_wait_alu 0xfffe
	s_and_not1_saveexec_b32 s5, s3
	s_cbranch_execz .LBB19_379
; %bb.378:                              ;   in Loop: Header=BB19_9 Depth=1
	v_mad_co_u64_u32 v[0:1], null, v160, s7, v[33:34]
	s_delay_alu instid0(VALU_DEP_1) | instskip(NEXT) | instid1(VALU_DEP_1)
	v_ashrrev_i32_e32 v1, 31, v0
	v_lshlrev_b64_e32 v[0:1], 3, v[0:1]
	s_delay_alu instid0(VALU_DEP_1) | instskip(SKIP_1) | instid1(VALU_DEP_2)
	v_add_co_u32 v0, s3, s90, v0
	s_wait_alu 0xf1ff
	v_add_co_ci_u32_e64 v1, null, s91, v1, s3
	global_load_b64 v[0:1], v[0:1], off
	s_wait_loadcnt 0x0
	v_cvt_f16_f32_e32 v0, v0
	v_cvt_f16_f32_e32 v1, v1
	s_delay_alu instid0(VALU_DEP_1) | instskip(SKIP_1) | instid1(VALU_DEP_2)
	v_pack_b32_f16 v0, v0, v1
	v_add_nc_u32_e32 v1, v228, v222
	v_pk_mul_f16 v0, v0, s100
	ds_store_b32 v1, v0 offset:7872
.LBB19_379:                             ;   in Loop: Header=BB19_9 Depth=1
	s_wait_alu 0xfffe
	s_or_b32 exec_lo, exec_lo, s5
	v_add_nc_u32_e32 v180, s4, v225
	s_delay_alu instid0(VALU_DEP_1)
	v_cmp_gt_i32_e64 s3, s24, v180
	s_and_b32 s67, s3, vcc_lo
	s_wait_alu 0xfffe
	s_xor_b32 s3, s67, -1
	s_wait_alu 0xfffe
	s_and_saveexec_b32 s5, s3
	s_wait_alu 0xfffe
	s_xor_b32 s3, exec_lo, s5
	s_cbranch_execz .LBB19_381
; %bb.380:                              ;   in Loop: Header=BB19_9 Depth=1
	scratch_load_b32 v0, off, off offset:440 ; 4-byte Folded Reload
	s_wait_loadcnt 0x0
	ds_store_b32 v0, v179 offset:192
.LBB19_381:                             ;   in Loop: Header=BB19_9 Depth=1
	s_wait_alu 0xfffe
	s_and_not1_saveexec_b32 s3, s3
	s_cbranch_execz .LBB19_383
; %bb.382:                              ;   in Loop: Header=BB19_9 Depth=1
	v_mad_co_u64_u32 v[0:1], null, v180, s7, v[33:34]
	s_delay_alu instid0(VALU_DEP_1) | instskip(NEXT) | instid1(VALU_DEP_1)
	v_ashrrev_i32_e32 v1, 31, v0
	v_lshlrev_b64_e32 v[0:1], 3, v[0:1]
	s_delay_alu instid0(VALU_DEP_1) | instskip(SKIP_1) | instid1(VALU_DEP_2)
	v_add_co_u32 v0, vcc_lo, s90, v0
	s_wait_alu 0xfffd
	v_add_co_ci_u32_e64 v1, null, s91, v1, vcc_lo
	global_load_b64 v[0:1], v[0:1], off
	s_wait_loadcnt 0x0
	v_cvt_f16_f32_e32 v0, v0
	v_cvt_f16_f32_e32 v1, v1
	s_delay_alu instid0(VALU_DEP_1) | instskip(SKIP_1) | instid1(VALU_DEP_2)
	v_pack_b32_f16 v0, v0, v1
	v_add_nc_u32_e32 v1, v228, v222
	v_pk_mul_f16 v0, v0, s100
	ds_store_b32 v1, v0 offset:11712
.LBB19_383:                             ;   in Loop: Header=BB19_9 Depth=1
	s_wait_alu 0xfffe
	s_or_b32 exec_lo, exec_lo, s3
	s_clause 0x8
	scratch_store_b32 off, v10, off offset:36
	scratch_store_b32 off, v9, off offset:40
	;; [unrolled: 1-line block ×9, first 2 shown]
	s_wait_storecnt_dscnt 0x0
	s_barrier_signal -1
	s_barrier_wait -1
	global_inv scope:SCOPE_SE
	ds_load_b128 v[52:55], v145
	ds_load_b128 v[48:51], v145 offset:32
	ds_load_b128 v[44:47], v145 offset:64
	;; [unrolled: 1-line block ×6, first 2 shown]
	s_cmp_gt_i32 s49, 1
	s_mov_b32 s3, -1
	s_wait_loadcnt_dscnt 0x0
	s_barrier_signal -1
	s_barrier_wait -1
	global_inv scope:SCOPE_SE
                                        ; implicit-def: $vgpr60_vgpr61
                                        ; implicit-def: $vgpr56_vgpr57
                                        ; implicit-def: $vgpr58_vgpr59
                                        ; implicit-def: $vgpr235
                                        ; implicit-def: $vgpr199
                                        ; implicit-def: $vgpr70_vgpr71
                                        ; implicit-def: $vgpr68_vgpr69
                                        ; implicit-def: $vgpr62_vgpr63
                                        ; implicit-def: $vgpr64_vgpr65
                                        ; implicit-def: $vgpr66_vgpr67
	s_cbranch_scc1 .LBB19_385
; %bb.384:                              ;   in Loop: Header=BB19_9 Depth=1
	v_dual_mov_b32 v199, 32 :: v_dual_add_nc_u32 v0, s4, v140
	v_add_nc_u32_e32 v7, s4, v191
	v_add_nc_u32_e32 v1, s4, v197
	;; [unrolled: 1-line block ×3, first 2 shown]
	s_delay_alu instid0(VALU_DEP_4)
	v_mul_hi_u32 v3, s36, v0
	v_add_nc_u32_e32 v4, s4, v192
	v_mul_hi_u32 v13, s36, v7
	v_mul_hi_u32 v5, s36, v1
	;; [unrolled: 1-line block ×3, first 2 shown]
	v_add_nc_u32_e32 v6, s4, v181
	v_mul_hi_u32 v11, s36, v4
	v_add_nc_u32_e32 v8, s4, v188
	v_add_nc_u32_e32 v3, v0, v3
	;; [unrolled: 1-line block ×6, first 2 shown]
	v_lshrrev_b32_e32 v3, s37, v3
	v_mul_hi_u32 v12, s36, v6
	v_mul_hi_u32 v14, s36, v8
	v_lshrrev_b32_e32 v5, s37, v5
	v_add_nc_u32_e32 v11, v4, v11
	v_mul_lo_u32 v3, v3, s24
	v_mul_hi_u32 v15, s36, v9
	v_lshrrev_b32_e32 v10, s37, v10
	v_mul_lo_u32 v5, v5, s24
	v_lshrrev_b32_e32 v11, s37, v11
	v_add_nc_u32_e32 v12, v6, v12
	s_mov_b32 s3, 0
	v_sub_nc_u32_e32 v0, v0, v3
	v_mul_lo_u32 v3, v10, s24
	v_add_nc_u32_e32 v10, v9, v15
	v_sub_nc_u32_e32 v1, v1, v5
	v_mul_lo_u32 v5, v11, s24
	v_mad_co_i64_i32 v[60:61], null, v0, s38, 0
	v_lshrrev_b32_e32 v0, s37, v13
	s_delay_alu instid0(VALU_DEP_4) | instskip(SKIP_2) | instid1(VALU_DEP_4)
	v_mad_co_i64_i32 v[56:57], null, v1, s38, 0
	v_add_nc_u32_e32 v1, v8, v14
	v_lshrrev_b32_e32 v12, s37, v12
	v_mul_lo_u32 v0, v0, s24
	v_sub_nc_u32_e32 v2, v2, v3
	v_lshrrev_b32_e32 v10, s37, v10
	v_lshrrev_b32_e32 v1, s37, v1
	v_mul_lo_u32 v3, v12, s24
	s_delay_alu instid0(VALU_DEP_4)
	v_mad_co_i64_i32 v[58:59], null, v2, s38, 0
	v_sub_nc_u32_e32 v0, v7, v0
	v_sub_nc_u32_e32 v2, v4, v5
	v_mul_lo_u32 v1, v1, s24
	v_mul_lo_u32 v4, v10, s24
	v_sub_nc_u32_e32 v3, v6, v3
	v_mad_co_i64_i32 v[62:63], null, v0, s38, 0
	scratch_load_b32 v0, off, off offset:16 ; 4-byte Folded Reload
	v_mad_co_i64_i32 v[70:71], null, v2, s38, 0
	v_sub_nc_u32_e32 v1, v8, v1
	v_sub_nc_u32_e32 v2, v9, v4
	v_mad_co_i64_i32 v[68:69], null, v3, s38, 0
	s_delay_alu instid0(VALU_DEP_3) | instskip(NEXT) | instid1(VALU_DEP_3)
	v_mad_co_i64_i32 v[64:65], null, v1, s38, 0
	v_mad_co_i64_i32 v[66:67], null, v2, s38, 0
	s_wait_loadcnt 0x0
	v_xor_b32_e32 v235, 16, v0
.LBB19_385:                             ;   in Loop: Header=BB19_9 Depth=1
	s_wait_alu 0xfffe
	s_and_not1_b32 vcc_lo, exec_lo, s3
	s_clause 0x1
	scratch_store_b32 off, v16, off offset:32
	scratch_store_b32 off, v180, off offset:20
	s_wait_alu 0xfffe
	s_cbranch_vccnz .LBB19_389
; %bb.386:                              ;   in Loop: Header=BB19_9 Depth=1
	v_add_nc_u32_e32 v1, s4, v197
	v_add_nc_u32_e32 v3, s4, v182
	s_clause 0x10
	scratch_store_b32 off, v176, off offset:240
	scratch_store_b32 off, v175, off offset:132
	;; [unrolled: 1-line block ×17, first 2 shown]
	s_clause 0x1
	scratch_load_b32 v56, off, off offset:556
	scratch_load_b32 v200, off, off offset:24
	v_mul_hi_u32 v4, s36, v1
	v_mov_b32_e32 v233, 0
	v_dual_mov_b32 v199, 32 :: v_dual_mov_b32 v234, 0xfeffffff
	s_add_nc_u64 s[82:83], s[84:85], s[82:83]
	v_add_nc_u32_e32 v190, 40, v213
	v_add_nc_u32_e32 v237, 64, v213
	;; [unrolled: 1-line block ×5, first 2 shown]
	s_add_co_i32 s49, s49, -1
	s_delay_alu instid0(SALU_CYCLE_1) | instskip(NEXT) | instid1(VALU_DEP_2)
	s_mov_b32 s56, s49
	v_lshrrev_b32_e32 v4, s37, v4
	s_delay_alu instid0(VALU_DEP_1) | instskip(NEXT) | instid1(VALU_DEP_1)
	v_mul_lo_u32 v4, v4, s24
	v_sub_nc_u32_e32 v57, v1, v4
	v_mov_b32_e32 v4, 0
	v_add_nc_u32_e32 v6, s4, v192
	v_mul_hi_u32 v5, s36, v3
	v_add_nc_u32_e32 v0, s4, v140
	v_mad_co_i64_i32 v[166:167], null, s66, v57, s[80:81]
	v_mov_b32_e32 v7, v4
	v_mul_hi_u32 v1, s36, v6
	v_dual_mov_b32 v8, v4 :: v_dual_mov_b32 v9, v4
	v_dual_mov_b32 v10, v4 :: v_dual_add_nc_u32 v5, v3, v5
	v_mov_b32_e32 v11, v4
	v_mov_b32_e32 v13, v4
	;; [unrolled: 1-line block ×3, first 2 shown]
	v_dual_mov_b32 v14, v4 :: v_dual_add_nc_u32 v1, v6, v1
	v_dual_mov_b32 v17, v4 :: v_dual_mov_b32 v16, v4
	v_mov_b32_e32 v19, v4
	s_delay_alu instid0(VALU_DEP_3) | instskip(SKIP_2) | instid1(VALU_DEP_3)
	v_lshrrev_b32_e32 v1, s37, v1
	v_dual_mov_b32 v18, v4 :: v_dual_mov_b32 v21, v4
	v_dual_mov_b32 v20, v4 :: v_dual_mov_b32 v23, v4
	v_mul_lo_u32 v1, v1, s24
	v_dual_mov_b32 v22, v4 :: v_dual_mov_b32 v25, v4
	v_dual_mov_b32 v24, v4 :: v_dual_mov_b32 v27, v4
	v_mov_b32_e32 v26, v4
	v_mov_b32_e32 v12, v4
	v_sub_nc_u32_e32 v60, v6, v1
	v_mov_b32_e32 v6, v4
	v_lshrrev_b32_e32 v5, s37, v5
	v_add_nc_u32_e32 v1, s4, v191
	s_delay_alu instid0(VALU_DEP_4) | instskip(NEXT) | instid1(VALU_DEP_3)
	v_mad_co_i64_i32 v[170:171], null, s66, v60, s[80:81]
	v_mul_lo_u32 v5, v5, s24
	s_delay_alu instid0(VALU_DEP_1)
	v_sub_nc_u32_e32 v59, v3, v5
	v_mov_b32_e32 v5, v4
	v_mul_hi_u32 v2, s36, v0
	scratch_store_b32 off, v57, off offset:244 ; 4-byte Folded Spill
	v_mov_b32_e32 v3, v4
	v_mad_co_i64_i32 v[168:169], null, s66, v59, s[80:81]
	scratch_store_b32 off, v59, off offset:280 ; 4-byte Folded Spill
	v_add_nc_u32_e32 v2, v0, v2
	s_delay_alu instid0(VALU_DEP_1) | instskip(NEXT) | instid1(VALU_DEP_1)
	v_lshrrev_b32_e32 v2, s37, v2
	v_mul_lo_u32 v2, v2, s24
	s_delay_alu instid0(VALU_DEP_1) | instskip(SKIP_1) | instid1(VALU_DEP_2)
	v_sub_nc_u32_e32 v58, v0, v2
	v_add_nc_u32_e32 v0, s4, v181
	v_mov_b32_e32 v180, v58
	s_delay_alu instid0(VALU_DEP_2) | instskip(SKIP_1) | instid1(VALU_DEP_2)
	v_mul_hi_u32 v2, s36, v0
	v_mad_co_i64_i32 v[164:165], null, s66, v58, s[80:81]
	v_add_nc_u32_e32 v2, v0, v2
	s_delay_alu instid0(VALU_DEP_1) | instskip(NEXT) | instid1(VALU_DEP_1)
	v_lshrrev_b32_e32 v2, s37, v2
	v_mul_lo_u32 v2, v2, s24
	s_delay_alu instid0(VALU_DEP_1)
	v_sub_nc_u32_e32 v61, v0, v2
	v_mul_hi_u32 v0, s36, v1
	v_mov_b32_e32 v2, v4
	scratch_store_b32 off, v60, off offset:504 ; 4-byte Folded Spill
	v_mad_co_i64_i32 v[172:173], null, s66, v61, s[80:81]
	v_add_nc_u32_e32 v0, v1, v0
	s_delay_alu instid0(VALU_DEP_1) | instskip(NEXT) | instid1(VALU_DEP_1)
	v_lshrrev_b32_e32 v0, s37, v0
	v_mul_lo_u32 v0, v0, s24
	s_delay_alu instid0(VALU_DEP_1) | instskip(SKIP_4) | instid1(VALU_DEP_1)
	v_sub_nc_u32_e32 v62, v1, v0
	v_add_nc_u32_e32 v0, s4, v188
	scratch_store_b32 off, v61, off offset:508 ; 4-byte Folded Spill
	v_mad_co_i64_i32 v[174:175], null, s66, v62, s[80:81]
	v_mul_hi_u32 v1, s36, v0
	v_add_nc_u32_e32 v1, v0, v1
	s_delay_alu instid0(VALU_DEP_1) | instskip(NEXT) | instid1(VALU_DEP_1)
	v_lshrrev_b32_e32 v1, s37, v1
	v_mul_lo_u32 v1, v1, s24
	s_delay_alu instid0(VALU_DEP_1)
	v_sub_nc_u32_e32 v63, v0, v1
	v_add_nc_u32_e32 v0, s4, v187
	s_add_nc_u64 s[4:5], s[86:87], s[88:89]
	scratch_store_b32 off, v62, off offset:512 ; 4-byte Folded Spill
	v_mad_co_i64_i32 v[176:177], null, s66, v63, s[80:81]
	v_mul_hi_u32 v1, s36, v0
	s_delay_alu instid0(VALU_DEP_1) | instskip(NEXT) | instid1(VALU_DEP_1)
	v_add_nc_u32_e32 v1, v0, v1
	v_lshrrev_b32_e32 v1, s37, v1
	s_delay_alu instid0(VALU_DEP_1) | instskip(NEXT) | instid1(VALU_DEP_1)
	v_mul_lo_u32 v1, v1, s24
	v_sub_nc_u32_e32 v64, v0, v1
	scratch_load_b32 v0, off, off offset:16 ; 4-byte Folded Reload
	v_mov_b32_e32 v1, v4
	s_clause 0x1
	scratch_store_b32 off, v63, off offset:516
	scratch_store_b32 off, v64, off offset:520
	v_mad_co_i64_i32 v[178:179], null, s66, v64, s[80:81]
	s_wait_loadcnt 0x0
	v_xor_b32_e32 v235, 16, v0
	s_delay_alu instid0(VALU_DEP_1) | instskip(SKIP_2) | instid1(VALU_DEP_1)
	v_cmp_gt_i32_e32 vcc_lo, 32, v235
	s_wait_alu 0xfffd
	v_cndmask_b32_e32 v0, v0, v235, vcc_lo
	v_lshlrev_b32_e32 v191, 2, v0
	scratch_load_b32 v0, off, off offset:540 ; 4-byte Folded Reload
	s_wait_loadcnt 0x0
	s_wait_alu 0xfffe
	v_add_co_u32 v160, vcc_lo, v0, s4
	scratch_load_b32 v0, off, off offset:544 ; 4-byte Folded Reload
	s_wait_loadcnt 0x0
	s_wait_alu 0xfffd
	v_add_co_ci_u32_e64 v161, null, s5, v0, vcc_lo
	scratch_load_b32 v0, off, off offset:620 ; 4-byte Folded Reload
	s_wait_loadcnt 0x0
	v_add_co_u32 v162, vcc_lo, v0, s82
	scratch_load_b32 v0, off, off offset:624 ; 4-byte Folded Reload
	s_wait_loadcnt 0x0
	s_wait_alu 0xfffd
	v_add_co_ci_u32_e64 v163, null, s83, v0, vcc_lo
	v_add_co_u32 v156, vcc_lo, v56, s4
	scratch_load_b32 v56, off, off offset:560 ; 4-byte Folded Reload
	v_mov_b32_e32 v0, v4
	s_wait_loadcnt 0x0
	s_wait_alu 0xfffd
	v_add_co_ci_u32_e64 v123, null, s5, v56, vcc_lo
	scratch_load_b32 v56, off, off offset:572 ; 4-byte Folded Reload
	s_wait_loadcnt 0x0
	v_add_co_u32 v226, vcc_lo, v56, s4
	scratch_load_b32 v56, off, off offset:576 ; 4-byte Folded Reload
	s_wait_loadcnt 0x0
	s_wait_alu 0xfffd
	v_add_co_ci_u32_e64 v182, null, s5, v56, vcc_lo
	scratch_load_b32 v56, off, off offset:676 ; 4-byte Folded Reload
	s_wait_loadcnt 0x0
	v_add_co_u32 v158, vcc_lo, v56, s4
	scratch_load_b32 v56, off, off offset:680 ; 4-byte Folded Reload
	;; [unrolled: 7-line block ×11, first 2 shown]
	s_wait_loadcnt 0x0
	s_wait_alu 0xfffd
	v_add_co_ci_u32_e64 v203, null, s83, v56, vcc_lo
.LBB19_387:                             ;   Parent Loop BB19_9 Depth=1
                                        ; =>  This Inner Loop Header: Depth=2
	v_add_co_u32 v56, vcc_lo, v164, v198
	s_wait_alu 0xfffd
	v_add_co_ci_u32_e64 v57, null, 0, v165, vcc_lo
	v_add_nc_u32_e32 v59, v219, v200
	s_add_co_i32 s56, s56, -1
	s_delay_alu instid0(SALU_CYCLE_1)
	s_cmp_lg_u32 s56, 0
	global_load_b32 v58, v[56:57], off
	v_add_co_u32 v56, vcc_lo, v166, v198
	s_wait_alu 0xfffd
	v_add_co_ci_u32_e64 v57, null, 0, v167, vcc_lo
	global_load_b32 v56, v[56:57], off
	v_add_nc_u32_e32 v57, 0x3c00, v59
	s_wait_loadcnt 0x0
	ds_store_2addr_b32 v57, v58, v56 offset1:144
	v_add_co_u32 v56, vcc_lo, v168, v198
	s_wait_alu 0xfffd
	v_add_co_ci_u32_e64 v57, null, 0, v169, vcc_lo
	global_load_b32 v58, v[56:57], off
	v_add_co_u32 v56, vcc_lo, v170, v198
	s_wait_alu 0xfffd
	v_add_co_ci_u32_e64 v57, null, 0, v171, vcc_lo
	global_load_b32 v56, v[56:57], off
	v_add_nc_u32_e32 v57, 0x4000, v59
	s_wait_loadcnt 0x0
	ds_store_2addr_b32 v57, v58, v56 offset0:32 offset1:176
	v_add_co_u32 v56, vcc_lo, v172, v198
	s_wait_alu 0xfffd
	v_add_co_ci_u32_e64 v57, null, 0, v173, vcc_lo
	global_load_b32 v58, v[56:57], off
	v_add_co_u32 v56, vcc_lo, v174, v198
	s_wait_alu 0xfffd
	v_add_co_ci_u32_e64 v57, null, 0, v175, vcc_lo
	global_load_b32 v56, v[56:57], off
	v_add_nc_u32_e32 v57, 0x4400, v59
	s_wait_loadcnt 0x0
	ds_store_2addr_b32 v57, v58, v56 offset0:64 offset1:208
	;; [unrolled: 11-line block ×3, first 2 shown]
	global_load_b128 v[56:59], v[162:163], off
	s_wait_loadcnt 0x0
	ds_store_b128 v204, v[56:59]
	v_add_co_u32 v56, vcc_lo, v231, v250
	s_wait_alu 0xfffd
	v_add_co_ci_u32_e64 v57, null, 0, v238, vcc_lo
	v_add_co_u32 v60, vcc_lo, v188, v250
	s_wait_alu 0xfffd
	v_add_co_ci_u32_e64 v61, null, 0, v246, vcc_lo
	global_load_b128 v[56:59], v[56:57], off
	global_load_b128 v[60:63], v[60:61], off
	s_wait_loadcnt 0x1
	ds_store_b128 v205, v[56:59]
	s_wait_loadcnt 0x0
	ds_store_b128 v206, v[60:63]
	v_add_co_u32 v56, vcc_lo, v254, v202
	s_wait_alu 0xfffd
	v_add_co_ci_u32_e64 v57, null, 0, v248, vcc_lo
	v_add_co_u32 v60, vcc_lo, v183, v202
	s_wait_alu 0xfffd
	v_add_co_ci_u32_e64 v61, null, 0, v189, vcc_lo
	global_load_b128 v[56:59], v[56:57], off
	global_load_b128 v[60:63], v[60:61], off
	s_wait_loadcnt 0x1
	ds_store_b128 v207, v[56:59]
	;; [unrolled: 12-line block ×3, first 2 shown]
	s_wait_loadcnt 0x0
	ds_store_b128 v211, v[60:63]
	s_wait_storecnt_dscnt 0x0
	s_barrier_signal -1
	s_barrier_wait -1
	global_inv scope:SCOPE_SE
	ds_load_b128 v[56:59], v252
	ds_load_b128 v[60:63], v252 offset:32
	s_wait_dscnt 0x1
	v_wmma_f32_16x16x16_f16 v[65:72], v[56:59], v[52:55], 0
	s_wait_dscnt 0x0
	s_delay_alu instid0(VALU_DEP_1)
	v_wmma_f32_16x16x16_f16 v[65:72], v[60:63], v[48:51], v[65:72]
	ds_load_b128 v[56:59], v252 offset:64
	ds_load_b128 v[60:63], v252 offset:96
	s_wait_dscnt 0x1
	v_wmma_f32_16x16x16_f16 v[65:72], v[56:59], v[44:47], v[65:72]
	s_wait_dscnt 0x0
	s_delay_alu instid0(VALU_DEP_1)
	v_wmma_f32_16x16x16_f16 v[65:72], v[60:63], v[40:43], v[65:72]
	ds_load_b128 v[56:59], v252 offset:128
	ds_load_b128 v[60:63], v252 offset:160
	s_wait_dscnt 0x1
	v_wmma_f32_16x16x16_f16 v[65:72], v[56:59], v[36:39], v[65:72]
	ds_load_b128 v[56:59], v252 offset:192
	ds_load_b128 v[79:82], v252 offset:3840
	s_wait_dscnt 0x2
	v_wmma_f32_16x16x16_f16 v[65:72], v[60:63], v[32:35], v[65:72]
	s_wait_dscnt 0x1
	s_delay_alu instid0(VALU_DEP_1)
	v_wmma_f32_16x16x16_f16 v[65:72], v[56:59], v[28:31], v[65:72]
	v_add_nc_u32_e32 v60, 0x3c00, v213
	v_add_nc_u32_e32 v62, 0x3c00, v249
	ds_load_b128 v[56:59], v252 offset:3872
	ds_load_b128 v[83:86], v252 offset:3904
	;; [unrolled: 1-line block ×20, first 2 shown]
	s_wait_loadcnt_dscnt 0x0
	s_barrier_signal -1
	s_barrier_wait -1
	global_inv scope:SCOPE_SE
	ds_load_2addr_b32 v[60:61], v60 offset1:1
	ds_load_2addr_b32 v[224:225], v62 offset1:1
	ds_load_b32 v62, v214 offset:15360
	ds_load_b32 v73, v213 offset:15368
	s_wait_dscnt 0x3
	v_cvt_f32_f16_e32 v63, v60
	v_lshrrev_b32_e32 v60, 16, v60
	v_cvt_f32_f16_e32 v64, v61
	v_lshrrev_b32_e32 v61, 16, v61
	s_wait_dscnt 0x0
	v_cvt_f32_f16_e32 v74, v73
	v_lshrrev_b32_e32 v73, 16, v73
	v_lshrrev_b32_e32 v75, 16, v62
	v_cvt_f32_f16_e32 v76, v62
	v_cvt_f32_f16_e32 v62, v60
	;; [unrolled: 1-line block ×5, first 2 shown]
	s_delay_alu instid0(VALU_DEP_4) | instskip(NEXT) | instid1(VALU_DEP_4)
	v_dual_add_f32 v60, v65, v63 :: v_dual_add_f32 v61, v66, v62
	v_dual_add_f32 v62, v67, v64 :: v_dual_add_f32 v63, v68, v77
	s_delay_alu instid0(VALU_DEP_4) | instskip(NEXT) | instid1(VALU_DEP_4)
	v_dual_add_f32 v69, v69, v74 :: v_dual_add_f32 v68, v70, v73
	v_dual_add_f32 v67, v71, v76 :: v_dual_add_f32 v64, v72, v75
	v_wmma_f32_16x16x16_f16 v[71:78], v[79:82], v[52:55], 0
	v_cvt_f32_f16_e64 v65, v224
	v_cvt_f32_f16_e64 v70, v225
	v_lshrrev_b32_e32 v79, 16, v225
	s_delay_alu instid0(VALU_DEP_4) | instskip(SKIP_2) | instid1(VALU_DEP_4)
	v_wmma_f32_16x16x16_f16 v[71:78], v[56:59], v[48:51], v[71:78]
	v_add_nc_u32_e32 v56, 0x3c00, v190
	v_lshrrev_b32_e32 v66, 16, v224
	v_cvt_f32_f16_e32 v79, v79
	s_delay_alu instid0(VALU_DEP_4) | instskip(NEXT) | instid1(VALU_DEP_3)
	v_wmma_f32_16x16x16_f16 v[71:78], v[83:86], v[44:47], v[71:78]
	v_cvt_f32_f16_e32 v66, v66
	s_delay_alu instid0(VALU_DEP_2) | instskip(NEXT) | instid1(VALU_DEP_1)
	v_wmma_f32_16x16x16_f16 v[71:78], v[87:90], v[40:43], v[71:78]
	v_wmma_f32_16x16x16_f16 v[71:78], v[91:94], v[36:39], v[71:78]
	s_delay_alu instid0(VALU_DEP_1) | instskip(SKIP_1) | instid1(VALU_DEP_2)
	v_wmma_f32_16x16x16_f16 v[71:78], v[95:98], v[32:35], v[71:78]
	v_wmma_f32_16x16x16_f16 v[91:98], v[129:132], v[52:55], 0
	;; [unrolled: 1-line block ×3, first 2 shown]
	v_add_nc_u32_e32 v58, 0x3c00, v237
	v_add_nc_u32_e32 v80, 0x3c00, v239
	;; [unrolled: 1-line block ×3, first 2 shown]
	v_wmma_f32_16x16x16_f16 v[91:98], v[133:136], v[48:51], v[91:98]
	v_add_f32_e32 v65, v71, v65
	v_add_f32_e32 v73, v73, v70
	ds_load_2addr_b32 v[56:57], v56 offset1:1
	ds_load_2addr_b32 v[58:59], v58 offset1:1
	;; [unrolled: 1-line block ×4, first 2 shown]
	v_add_f32_e32 v66, v72, v66
	v_wmma_f32_16x16x16_f16 v[91:98], v[137:140], v[44:47], v[91:98]
	s_delay_alu instid0(VALU_DEP_1) | instskip(NEXT) | instid1(VALU_DEP_1)
	v_wmma_f32_16x16x16_f16 v[91:98], v[141:144], v[40:43], v[91:98]
	v_wmma_f32_16x16x16_f16 v[91:98], v[145:148], v[36:39], v[91:98]
	s_wait_dscnt 0x3
	v_cvt_f32_f16_e32 v80, v56
	v_lshrrev_b32_e32 v56, 16, v56
	v_lshrrev_b32_e32 v81, 16, v57
	v_cvt_f32_f16_e32 v57, v57
	s_wait_dscnt 0x1
	v_cvt_f32_f16_e32 v70, v84
	v_add_f32_e32 v90, v75, v80
	v_cvt_f32_f16_e32 v56, v56
	v_cvt_f32_f16_e32 v81, v81
	v_add_f32_e32 v82, v74, v79
	v_add_f32_e32 v86, v77, v57
	v_lshrrev_b32_e32 v57, 16, v58
	v_add_f32_e32 v87, v76, v56
	v_cvt_f32_f16_e32 v56, v58
	v_cvt_f32_f16_e32 v58, v59
	v_add_f32_e32 v83, v78, v81
	v_wmma_f32_16x16x16_f16 v[74:81], v[103:106], v[52:55], 0
	v_lshrrev_b32_e32 v71, 16, v84
	v_cvt_f32_f16_e32 v84, v85
	v_cvt_f32_f16_e32 v57, v57
	s_delay_alu instid0(VALU_DEP_4)
	v_wmma_f32_16x16x16_f16 v[74:81], v[107:110], v[48:51], v[74:81]
	v_lshrrev_b32_e32 v59, 16, v59
	v_lshrrev_b32_e32 v72, 16, v85
	v_cvt_f32_f16_e32 v71, v71
	v_wmma_f32_16x16x16_f16 v[91:98], v[149:152], v[32:35], v[91:98]
	v_wmma_f32_16x16x16_f16 v[74:81], v[111:114], v[44:47], v[74:81]
	v_cvt_f32_f16_e32 v59, v59
	v_cvt_f32_f16_e32 v72, v72
	s_delay_alu instid0(VALU_DEP_4) | instskip(NEXT) | instid1(VALU_DEP_4)
	v_wmma_f32_16x16x16_f16 v[91:98], v[242:245], v[28:31], v[91:98]
	v_wmma_f32_16x16x16_f16 v[74:81], v[115:118], v[40:43], v[74:81]
	s_delay_alu instid0(VALU_DEP_1) | instskip(NEXT) | instid1(VALU_DEP_1)
	v_wmma_f32_16x16x16_f16 v[74:81], v[119:122], v[36:39], v[74:81]
	v_wmma_f32_16x16x16_f16 v[74:81], v[220:223], v[32:35], v[74:81]
	s_delay_alu instid0(VALU_DEP_1) | instskip(NEXT) | instid1(VALU_DEP_1)
	v_wmma_f32_16x16x16_f16 v[74:81], v[125:128], v[28:31], v[74:81]
	v_dual_add_f32 v74, v74, v56 :: v_dual_add_f32 v75, v75, v57
	s_delay_alu instid0(VALU_DEP_2) | instskip(NEXT) | instid1(VALU_DEP_3)
	v_dual_add_f32 v227, v80, v84 :: v_dual_add_nc_u32 v56, 0x3c00, v253
	v_dual_add_f32 v119, v77, v59 :: v_dual_add_f32 v228, v78, v70
	s_delay_alu instid0(VALU_DEP_4)
	v_dual_add_f32 v241, v79, v71 :: v_dual_add_f32 v236, v81, v72
	ds_load_2addr_b32 v[56:57], v56 offset1:1
	s_wait_dscnt 0x1
	v_lshrrev_b32_e32 v59, 16, v88
	v_add_f32_e32 v118, v76, v58
	v_cvt_f32_f16_e32 v58, v88
	v_cvt_f32_f16_e32 v70, v89
	v_lshrrev_b32_e32 v71, 16, v89
	v_cvt_f32_f16_e32 v59, v59
	s_delay_alu instid0(VALU_DEP_3) | instskip(NEXT) | instid1(VALU_DEP_3)
	v_add_f32_e32 v221, v93, v70
	v_cvt_f32_f16_e32 v71, v71
	s_delay_alu instid0(VALU_DEP_3)
	v_add_f32_e32 v218, v92, v59
	s_wait_dscnt 0x0
	v_cvt_f32_f16_e32 v72, v56
	v_lshrrev_b32_e32 v56, 16, v56
	v_lshrrev_b32_e32 v76, 16, v57
	v_cvt_f32_f16_e32 v57, v57
	v_add_f32_e32 v120, v91, v58
	v_dual_add_f32 v222, v94, v71 :: v_dual_add_f32 v225, v95, v72
	v_cvt_f32_f16_e32 v56, v56
	s_delay_alu instid0(VALU_DEP_4) | instskip(SKIP_1) | instid1(VALU_DEP_3)
	v_add_f32_e32 v247, v97, v57
	v_cvt_f32_f16_e32 v76, v76
	v_add_f32_e32 v224, v96, v56
	global_load_b128 v[56:59], v[160:161], off
	v_add_f32_e32 v223, v98, v76
	s_wait_loadcnt 0x0
	ds_store_b128 v204, v[56:59]
	v_add_co_u32 v56, vcc_lo, v156, v250
	s_wait_alu 0xfffd
	v_add_co_ci_u32_e64 v57, null, 0, v123, vcc_lo
	v_add_co_u32 v70, vcc_lo, v226, v250
	s_wait_alu 0xfffd
	v_add_co_ci_u32_e64 v71, null, 0, v182, vcc_lo
	global_load_b128 v[56:59], v[56:57], off
	global_load_b128 v[76:79], v[70:71], off
	s_wait_loadcnt 0x1
	ds_store_b128 v205, v[56:59]
	s_wait_loadcnt 0x0
	ds_store_b128 v206, v[76:79]
	v_add_co_u32 v56, vcc_lo, v158, v202
	s_wait_alu 0xfffd
	v_add_co_ci_u32_e64 v57, null, 0, v124, vcc_lo
	v_add_co_u32 v70, vcc_lo, v230, v202
	s_wait_alu 0xfffd
	v_add_co_ci_u32_e64 v71, null, 0, v184, vcc_lo
	global_load_b128 v[56:59], v[56:57], off
	global_load_b128 v[76:79], v[70:71], off
	s_wait_loadcnt 0x1
	ds_store_b128 v207, v[56:59]
	s_wait_loadcnt 0x0
	ds_store_b128 v208, v[76:79]
	v_add_co_u32 v56, vcc_lo, v185, v202
	s_wait_alu 0xfffd
	v_add_co_ci_u32_e64 v57, null, 0, v186, vcc_lo
	v_add_co_u32 v70, vcc_lo, v240, v202
	s_wait_alu 0xfffd
	v_add_co_ci_u32_e64 v71, null, 0, v187, vcc_lo
	global_load_b128 v[56:59], v[56:57], off
	global_load_b128 v[76:79], v[70:71], off
	v_mov_b32_e32 v70, v234
	s_wait_loadcnt 0x1
	ds_store_b128 v209, v[56:59]
	s_wait_loadcnt 0x0
	ds_store_b128 v211, v[76:79]
	v_dual_add_f32 v56, 0x40051340, v60 :: v_dual_add_f32 v57, 0x40051340, v61
	v_add_f32_e32 v58, 0x40051340, v63
	s_wait_dscnt 0x0
	s_barrier_signal -1
	s_barrier_wait -1
	v_max3_num_f32 v56, v70, v56, v57
	v_add_f32_e32 v57, 0x40051340, v62
	global_inv scope:SCOPE_SE
	v_max3_num_f32 v56, v56, v57, v58
	v_dual_add_f32 v57, 0x40051340, v69 :: v_dual_add_f32 v58, 0x40051340, v68
	s_delay_alu instid0(VALU_DEP_1) | instskip(SKIP_1) | instid1(VALU_DEP_1)
	v_max3_num_f32 v56, v56, v57, v58
	v_dual_add_f32 v57, 0x40051340, v67 :: v_dual_add_f32 v58, 0x40051340, v64
	v_max3_num_f32 v56, v56, v57, v58
	v_dual_add_f32 v57, 0x40051340, v65 :: v_dual_add_f32 v58, 0x40051340, v66
	s_delay_alu instid0(VALU_DEP_1) | instskip(SKIP_1) | instid1(VALU_DEP_1)
	v_max3_num_f32 v56, v56, v57, v58
	v_dual_add_f32 v57, 0x40051340, v73 :: v_dual_add_f32 v58, 0x40051340, v82
	;; [unrolled: 5-line block ×6, first 2 shown]
	v_max3_num_f32 v56, v56, v57, v58
	v_dual_add_f32 v57, 0x40051340, v225 :: v_dual_add_f32 v58, 0x40051340, v224
	s_delay_alu instid0(VALU_DEP_1) | instskip(SKIP_2) | instid1(VALU_DEP_1)
	v_max3_num_f32 v56, v56, v57, v58
	v_add_f32_e32 v57, 0x40051340, v247
	v_add_f32_e32 v58, 0x40051340, v223
	v_max3_num_f32 v56, v56, v57, v58
	ds_bpermute_b32 v57, v191, v56
	s_wait_dscnt 0x0
	v_max_num_f32_e32 v57, v57, v57
	s_delay_alu instid0(VALU_DEP_1) | instskip(NEXT) | instid1(VALU_DEP_1)
	v_max_num_f32_e32 v234, v56, v57
	v_sub_f32_e32 v56, v69, v234
	s_delay_alu instid0(VALU_DEP_1) | instskip(SKIP_3) | instid1(VALU_DEP_4)
	v_dual_mul_f32 v57, 0x3fb8aa3b, v56 :: v_dual_sub_f32 v64, v64, v234
	v_sub_f32_e32 v67, v67, v234
	v_sub_f32_e32 v62, v62, v234
	;; [unrolled: 1-line block ×3, first 2 shown]
	v_fma_f32 v58, 0x3fb8aa3b, v56, -v57
	v_rndne_f32_e32 v59, v57
	v_cmp_ngt_f32_e64 s4, 0xc2ce8ed0, v64
	s_delay_alu instid0(VALU_DEP_2) | instskip(SKIP_1) | instid1(VALU_DEP_2)
	v_dual_fmac_f32 v58, 0x32a5705f, v56 :: v_dual_sub_f32 v57, v57, v59
	v_cvt_i32_f32_e32 v59, v59
	v_add_f32_e32 v57, v57, v58
	v_sub_f32_e32 v58, v68, v234
	s_delay_alu instid0(VALU_DEP_1) | instskip(NEXT) | instid1(VALU_DEP_1)
	v_mul_f32_e32 v68, 0x3fb8aa3b, v58
	v_fma_f32 v69, 0x3fb8aa3b, v58, -v68
	v_rndne_f32_e32 v71, v68
	s_delay_alu instid0(VALU_DEP_1) | instskip(SKIP_1) | instid1(VALU_DEP_1)
	v_dual_fmac_f32 v69, 0x32a5705f, v58 :: v_dual_sub_f32 v68, v68, v71
	v_exp_f32_e32 v57, v57
	v_dual_add_f32 v68, v68, v69 :: v_dual_mul_f32 v69, 0x3fb8aa3b, v67
	v_cmp_ngt_f32_e64 s5, 0xc2ce8ed0, v56
	s_delay_alu instid0(VALU_DEP_2) | instskip(SKIP_1) | instid1(TRANS32_DEP_1)
	v_fma_f32 v72, 0x3fb8aa3b, v67, -v69
	v_rndne_f32_e32 v76, v69
	v_ldexp_f32 v57, v57, v59
	s_delay_alu instid0(VALU_DEP_2)
	v_dual_fmac_f32 v72, 0x32a5705f, v67 :: v_dual_sub_f32 v69, v69, v76
	v_cvt_i32_f32_e32 v59, v76
	v_cmp_ngt_f32_e32 vcc_lo, 0xc2ce8ed0, v58
	s_wait_alu 0xf1ff
	v_cndmask_b32_e64 v57, 0, v57, s5
	v_cmp_nlt_f32_e64 s5, 0x42b17218, v56
	v_add_f32_e32 v69, v69, v72
	v_mul_f32_e32 v72, 0x3fb8aa3b, v64
	v_cmp_ngt_f32_e64 s3, 0xc2ce8ed0, v67
	s_wait_alu 0xf1ff
	v_cndmask_b32_e64 v155, 0x7f800000, v57, s5
	v_exp_f32_e32 v69, v69
	v_fma_f32 v77, 0x3fb8aa3b, v64, -v72
	v_rndne_f32_e32 v78, v72
	s_delay_alu instid0(VALU_DEP_3) | instskip(NEXT) | instid1(VALU_DEP_2)
	v_cvt_f16_f32_e64 v56, v155
	v_dual_fmac_f32 v77, 0x32a5705f, v64 :: v_dual_sub_f32 v72, v72, v78
	v_exp_f32_e32 v68, v68
	s_delay_alu instid0(TRANS32_DEP_2) | instskip(SKIP_1) | instid1(VALU_DEP_3)
	v_ldexp_f32 v59, v69, v59
	v_cvt_i32_f32_e32 v69, v71
	v_add_f32_e32 v72, v72, v77
	s_delay_alu instid0(VALU_DEP_1)
	v_exp_f32_e32 v71, v72
	s_delay_alu instid0(TRANS32_DEP_2) | instid1(VALU_DEP_2)
	v_ldexp_f32 v68, v68, v69
	v_cvt_i32_f32_e32 v69, v78
	s_wait_alu 0xfffd
	s_delay_alu instid0(VALU_DEP_2) | instskip(SKIP_3) | instid1(TRANS32_DEP_1)
	v_cndmask_b32_e32 v68, 0, v68, vcc_lo
	v_cmp_nlt_f32_e32 vcc_lo, 0x42b17218, v58
	v_cndmask_b32_e64 v58, 0, v59, s3
	v_cmp_nlt_f32_e64 s3, 0x42b17218, v67
	v_ldexp_f32 v69, v71, v69
	s_wait_alu 0xfffd
	v_cndmask_b32_e32 v220, 0x7f800000, v68, vcc_lo
	s_wait_alu 0xf1ff
	v_cndmask_b32_e64 v229, 0x7f800000, v58, s3
	v_cndmask_b32_e64 v59, 0, v69, s4
	v_cmp_nlt_f32_e64 s4, 0x42b17218, v64
	v_cvt_f16_f32_e64 v64, v220
	s_delay_alu instid0(VALU_DEP_4) | instskip(SKIP_1) | instid1(VALU_DEP_3)
	v_cvt_f16_f32_e64 v57, v229
	s_wait_alu 0xf1ff
	v_cndmask_b32_e64 v192, 0x7f800000, v59, s4
	s_delay_alu instid0(VALU_DEP_1) | instskip(NEXT) | instid1(VALU_DEP_1)
	v_cvt_f16_f32_e64 v58, v192
	v_pack_b32_f16 v59, v57, v58
	v_pack_b32_f16 v58, v56, v64
	v_sub_f32_e32 v56, v63, v234
	s_delay_alu instid0(VALU_DEP_1) | instskip(SKIP_1) | instid1(VALU_DEP_2)
	v_mul_f32_e32 v57, 0x3fb8aa3b, v56
	v_cmp_ngt_f32_e32 vcc_lo, 0xc2ce8ed0, v56
	v_fma_f32 v63, 0x3fb8aa3b, v56, -v57
	v_rndne_f32_e32 v64, v57
	s_delay_alu instid0(VALU_DEP_2) | instskip(NEXT) | instid1(VALU_DEP_2)
	v_fmac_f32_e32 v63, 0x32a5705f, v56
	v_sub_f32_e32 v57, v57, v64
	v_cvt_i32_f32_e32 v64, v64
	s_delay_alu instid0(VALU_DEP_2) | instskip(SKIP_1) | instid1(VALU_DEP_2)
	v_add_f32_e32 v57, v57, v63
	v_mul_f32_e32 v63, 0x3fb8aa3b, v62
	v_exp_f32_e32 v57, v57
	s_delay_alu instid0(VALU_DEP_1) | instskip(SKIP_1) | instid1(VALU_DEP_1)
	v_fma_f32 v67, 0x3fb8aa3b, v62, -v63
	v_rndne_f32_e32 v68, v63
	v_sub_f32_e32 v63, v63, v68
	s_delay_alu instid0(VALU_DEP_3) | instskip(SKIP_1) | instid1(TRANS32_DEP_1)
	v_fmac_f32_e32 v67, 0x32a5705f, v62
	v_cmp_ngt_f32_e64 s3, 0xc2ce8ed0, v62
	v_ldexp_f32 v57, v57, v64
	v_cvt_i32_f32_e32 v64, v68
	s_delay_alu instid0(VALU_DEP_4) | instskip(SKIP_1) | instid1(VALU_DEP_3)
	v_add_f32_e32 v63, v63, v67
	s_wait_alu 0xfffd
	v_cndmask_b32_e32 v57, 0, v57, vcc_lo
	v_cmp_nlt_f32_e32 vcc_lo, 0x42b17218, v56
	s_delay_alu instid0(VALU_DEP_3) | instskip(SKIP_1) | instid1(VALU_DEP_2)
	v_exp_f32_e32 v63, v63
	s_wait_alu 0xfffd
	v_cndmask_b32_e32 v210, 0x7f800000, v57, vcc_lo
	s_delay_alu instid0(VALU_DEP_1) | instskip(NEXT) | instid1(TRANS32_DEP_1)
	v_cvt_f16_f32_e64 v57, v210
	v_ldexp_f32 v63, v63, v64
	s_wait_alu 0xf1ff
	s_delay_alu instid0(VALU_DEP_1) | instskip(SKIP_2) | instid1(VALU_DEP_1)
	v_cndmask_b32_e64 v56, 0, v63, s3
	v_cmp_nlt_f32_e64 s3, 0x42b17218, v62
	s_wait_alu 0xf1ff
	v_cndmask_b32_e64 v251, 0x7f800000, v56, s3
	s_delay_alu instid0(VALU_DEP_1) | instskip(NEXT) | instid1(VALU_DEP_1)
	v_cvt_f16_f32_e64 v56, v251
	v_pack_b32_f16 v57, v56, v57
	v_sub_f32_e32 v56, v61, v234
	s_delay_alu instid0(VALU_DEP_1) | instskip(SKIP_1) | instid1(VALU_DEP_2)
	v_mul_f32_e32 v61, 0x3fb8aa3b, v56
	v_cmp_ngt_f32_e32 vcc_lo, 0xc2ce8ed0, v56
	v_fma_f32 v62, 0x3fb8aa3b, v56, -v61
	v_rndne_f32_e32 v63, v61
	s_delay_alu instid0(VALU_DEP_1) | instskip(SKIP_1) | instid1(VALU_DEP_2)
	v_dual_fmac_f32 v62, 0x32a5705f, v56 :: v_dual_sub_f32 v61, v61, v63
	v_cvt_i32_f32_e32 v63, v63
	v_dual_add_f32 v61, v61, v62 :: v_dual_mul_f32 v62, 0x3fb8aa3b, v60
	s_delay_alu instid0(VALU_DEP_1) | instskip(SKIP_1) | instid1(VALU_DEP_2)
	v_fma_f32 v64, 0x3fb8aa3b, v60, -v62
	v_rndne_f32_e32 v67, v62
	v_fmac_f32_e32 v64, 0x32a5705f, v60
	s_delay_alu instid0(VALU_DEP_2) | instskip(SKIP_1) | instid1(VALU_DEP_1)
	v_sub_f32_e32 v62, v62, v67
	v_exp_f32_e32 v61, v61
	v_add_f32_e32 v62, v62, v64
	s_delay_alu instid0(VALU_DEP_1) | instskip(NEXT) | instid1(TRANS32_DEP_2)
	v_exp_f32_e32 v62, v62
	v_ldexp_f32 v61, v61, v63
	v_cvt_i32_f32_e32 v63, v67
	s_wait_alu 0xfffd
	s_delay_alu instid0(VALU_DEP_2)
	v_cndmask_b32_e32 v61, 0, v61, vcc_lo
	v_cmp_nlt_f32_e32 vcc_lo, 0x42b17218, v56
	s_delay_alu instid0(TRANS32_DEP_1) | instid1(VALU_DEP_3)
	v_ldexp_f32 v62, v62, v63
	s_wait_alu 0xfffd
	s_delay_alu instid0(VALU_DEP_3) | instskip(SKIP_2) | instid1(VALU_DEP_1)
	v_cndmask_b32_e32 v181, 0x7f800000, v61, vcc_lo
	v_cmp_ngt_f32_e64 s3, 0xc2ce8ed0, v60
	s_wait_alu 0xf1ff
	v_cndmask_b32_e64 v56, 0, v62, s3
	v_cmp_nlt_f32_e64 s3, 0x42b17218, v60
	v_cvt_f16_f32_e64 v60, v181
	s_wait_alu 0xf1ff
	s_delay_alu instid0(VALU_DEP_2) | instskip(NEXT) | instid1(VALU_DEP_1)
	v_cndmask_b32_e64 v126, 0x7f800000, v56, s3
	v_cvt_f16_f32_e32 v56, v126
	s_delay_alu instid0(VALU_DEP_1) | instskip(SKIP_1) | instid1(VALU_DEP_1)
	v_pack_b32_f16 v56, v56, v60
	v_sub_f32_e32 v60, v70, v234
	v_mul_f32_e32 v61, 0x3fb8aa3b, v60
	v_cmp_ngt_f32_e32 vcc_lo, 0xc2ce8ed0, v60
	s_delay_alu instid0(VALU_DEP_2) | instskip(SKIP_1) | instid1(VALU_DEP_1)
	v_fma_f32 v62, 0x3fb8aa3b, v60, -v61
	v_rndne_f32_e32 v63, v61
	v_dual_fmac_f32 v62, 0x32a5705f, v60 :: v_dual_sub_f32 v61, v61, v63
	s_delay_alu instid0(VALU_DEP_1) | instskip(SKIP_1) | instid1(VALU_DEP_2)
	v_add_f32_e32 v61, v61, v62
	v_cvt_i32_f32_e32 v62, v63
	v_exp_f32_e32 v61, v61
	s_delay_alu instid0(TRANS32_DEP_1) | instskip(SKIP_1) | instid1(VALU_DEP_1)
	v_ldexp_f32 v61, v61, v62
	s_wait_alu 0xfffd
	v_cndmask_b32_e32 v61, 0, v61, vcc_lo
	v_cmp_nlt_f32_e32 vcc_lo, 0x42b17218, v60
	s_wait_alu 0xfffd
	s_delay_alu instid0(VALU_DEP_2) | instskip(SKIP_2) | instid1(VALU_DEP_2)
	v_cndmask_b32_e32 v61, 0x7f800000, v61, vcc_lo
	v_cmp_le_f32_e32 vcc_lo, 0xc1a00000, v60
	s_wait_alu 0xfffd
	v_cndmask_b32_e32 v212, 0, v61, vcc_lo
	ds_load_u16 v77, v215 offset:128
	ds_load_u16 v80, v216 offset:128
	;; [unrolled: 1-line block ×18, first 2 shown]
	s_wait_dscnt 0x11
	ds_load_u16_d16_hi v77, v215 offset:368
	s_wait_dscnt 0xf
	ds_load_u16_d16_hi v97, v215 offset:400
	;; [unrolled: 2-line block ×3, first 2 shown]
	ds_load_u16 v105, v215 offset:64
	ds_load_u16 v110, v215 offset:512
	s_wait_dscnt 0x8
	ds_load_u16_d16_hi v68, v215 offset:336
	ds_load_u16_d16_hi v80, v217 offset:128
	;; [unrolled: 1-line block ×4, first 2 shown]
	s_wait_dscnt 0xb
	ds_load_u16_d16_hi v67, v217 offset:3840
	ds_load_u16_d16_hi v61, v215 offset:720
	ds_load_u16 v96, v216 offset:4032
	ds_load_u16 v88, v216 offset:3872
	;; [unrolled: 1-line block ×7, first 2 shown]
	s_wait_dscnt 0x5
	ds_load_u16_d16_hi v88, v217 offset:3872
	s_wait_dscnt 0x5
	ds_load_u16_d16_hi v84, v217 offset:3904
	;; [unrolled: 2-line block ×4, first 2 shown]
	ds_load_u16 v111, v215 offset:992
	ds_load_u16 v107, v215 offset:1024
	ds_load_u16_d16_hi v110, v215 offset:752
	ds_load_u16 v69, v215 offset:576
	ds_load_u16_d16_hi v78, v215 offset:848
	ds_load_u16_d16_hi v98, v215 offset:880
	;; [unrolled: 1-line block ×3, first 2 shown]
	ds_load_u16 v106, v215 offset:544
	ds_load_u16_d16_hi v62, v215 offset:1200
	v_cvt_f16_f32_e64 v60, v212
	s_wait_dscnt 0x8
	ds_load_u16_d16_hi v111, v215 offset:1232
	s_wait_dscnt 0x8
	ds_load_u16_d16_hi v107, v215 offset:1264
	ds_load_u16_d16_hi v70, v215 offset:1296
	ds_load_u16 v64, v215 offset:3840
	ds_load_u16_d16_hi v79, v215 offset:1328
	ds_load_u16_d16_hi v99, v215 offset:1360
	s_wait_dscnt 0xb
	ds_load_u16_d16_hi v69, v215 offset:816
	ds_load_u16_d16_hi v103, v215 offset:1392
	ds_load_u16 v85, v215 offset:3872
	ds_load_u16 v81, v215 offset:3904
	;; [unrolled: 1-line block ×4, first 2 shown]
	v_and_b32_e32 v60, 0xffff, v60
	s_delay_alu instid0(VALU_DEP_1)
	v_mul_u32_u24_e32 v91, 0x10001, v60
	ds_load_u16 v60, v215
	ds_load_u16 v109, v215 offset:32
	ds_load_u16 v112, v216 offset:32
	ds_load_u16 v108, v216 offset:64
	ds_load_u16 v63, v216
	v_pk_mul_f16 v8, v8, v91
	v_pk_mul_f16 v9, v9, v91
	;; [unrolled: 1-line block ×8, first 2 shown]
	s_wait_dscnt 0xc
	v_wmma_f16_16x16x16_f16 v[8:11], v[77:80], v[56:59], v[8:11]
	v_pk_mul_f16 v4, v4, v91
	v_pk_mul_f16 v5, v5, v91
	;; [unrolled: 1-line block ×3, first 2 shown]
	s_wait_dscnt 0x9
	v_wmma_f16_16x16x16_f16 v[0:3], v[101:104], v[56:59], v[0:3]
	s_wait_dscnt 0x4
	ds_load_u16_d16_hi v60, v215 offset:240
	s_wait_dscnt 0x4
	ds_load_u16_d16_hi v109, v215 offset:272
	ds_load_u16_d16_hi v105, v215 offset:304
	ds_load_u16 v77, v215 offset:12640
	ds_load_u16 v101, v215 offset:12608
	v_pk_mul_f16 v7, v7, v91
	v_pk_mul_f16 v24, v24, v91
	;; [unrolled: 1-line block ×5, first 2 shown]
	v_wmma_f16_16x16x16_f16 v[4:7], v[97:100], v[56:59], v[4:7]
	s_wait_dscnt 0x1
	ds_load_u16_d16_hi v77, v215 offset:12880
	ds_load_u16_d16_hi v63, v217
	ds_load_u16 v97, v215 offset:12544
	ds_load_u16 v117, v215 offset:12576
	s_wait_dscnt 0x1
	ds_load_u16_d16_hi v97, v215 offset:12784
	s_wait_dscnt 0x1
	ds_load_u16_d16_hi v117, v215 offset:12816
	ds_load_u16_d16_hi v101, v215 offset:12848
	ds_load_u16 v121, v215 offset:12480
	s_wait_dscnt 0x0
	ds_load_u16_d16_hi v121, v215 offset:12720
	ds_load_u16 v79, v215 offset:12672
	s_wait_dscnt 0x0
	ds_load_u16_d16_hi v79, v215 offset:12912
	ds_load_u16_d16_hi v112, v217 offset:32
	;; [unrolled: 1-line block ×4, first 2 shown]
	ds_load_u16 v80, v216 offset:11712
	ds_load_u16_d16_hi v106, v215 offset:784
	v_pk_mul_f16 v20, v20, v91
	v_pk_mul_f16 v21, v21, v91
	v_pk_mul_f16 v22, v22, v91
	v_pk_mul_f16 v23, v23, v91
	v_pk_mul_f16 v16, v16, v91
	v_pk_mul_f16 v17, v17, v91
	v_pk_mul_f16 v18, v18, v91
	v_pk_mul_f16 v19, v19, v91
	v_pk_mul_f16 v12, v12, v91
	v_pk_mul_f16 v13, v13, v91
	v_pk_mul_f16 v14, v14, v91
	v_pk_mul_f16 v15, v15, v91
	v_wmma_f16_16x16x16_f16 v[24:27], v[60:63], v[56:59], v[24:27]
	s_wait_dscnt 0x4
	v_wmma_f16_16x16x16_f16 v[20:23], v[109:112], v[56:59], v[20:23]
	s_wait_dscnt 0x2
	;; [unrolled: 2-line block ×3, first 2 shown]
	v_wmma_f16_16x16x16_f16 v[16:19], v[105:108], v[56:59], v[16:19]
	v_sub_f32_e32 v56, v90, v234
	s_delay_alu instid0(VALU_DEP_1) | instskip(SKIP_1) | instid1(VALU_DEP_2)
	v_mul_f32_e32 v57, 0x3fb8aa3b, v56
	v_cmp_ngt_f32_e64 s5, 0xc2ce8ed0, v56
	v_fma_f32 v58, 0x3fb8aa3b, v56, -v57
	v_rndne_f32_e32 v59, v57
	s_delay_alu instid0(VALU_DEP_1) | instskip(SKIP_1) | instid1(VALU_DEP_2)
	v_dual_fmac_f32 v58, 0x32a5705f, v56 :: v_dual_sub_f32 v57, v57, v59
	v_cvt_i32_f32_e32 v59, v59
	v_add_f32_e32 v57, v57, v58
	v_sub_f32_e32 v58, v87, v234
	s_delay_alu instid0(VALU_DEP_1) | instskip(SKIP_1) | instid1(VALU_DEP_2)
	v_mul_f32_e32 v60, 0x3fb8aa3b, v58
	v_cmp_ngt_f32_e32 vcc_lo, 0xc2ce8ed0, v58
	v_fma_f32 v61, 0x3fb8aa3b, v58, -v60
	v_rndne_f32_e32 v62, v60
	s_delay_alu instid0(VALU_DEP_2) | instskip(NEXT) | instid1(VALU_DEP_2)
	v_fmac_f32_e32 v61, 0x32a5705f, v58
	v_sub_f32_e32 v60, v60, v62
	v_cvt_i32_f32_e32 v62, v62
	s_delay_alu instid0(VALU_DEP_2) | instskip(SKIP_1) | instid1(VALU_DEP_1)
	v_dual_add_f32 v60, v60, v61 :: v_dual_sub_f32 v61, v86, v234
	v_exp_f32_e32 v57, v57
	v_exp_f32_e32 v60, v60
	s_delay_alu instid0(VALU_DEP_1) | instskip(SKIP_1) | instid1(VALU_DEP_2)
	v_mul_f32_e32 v63, 0x3fb8aa3b, v61
	v_cmp_ngt_f32_e64 s3, 0xc2ce8ed0, v61
	v_fma_f32 v68, 0x3fb8aa3b, v61, -v63
	v_rndne_f32_e32 v69, v63
	s_delay_alu instid0(TRANS32_DEP_2) | instskip(NEXT) | instid1(TRANS32_DEP_1)
	v_ldexp_f32 v57, v57, v59
	v_ldexp_f32 v60, v60, v62
	s_delay_alu instid0(VALU_DEP_4) | instskip(NEXT) | instid1(VALU_DEP_4)
	v_fmac_f32_e32 v68, 0x32a5705f, v61
	v_sub_f32_e32 v63, v63, v69
	v_cvt_i32_f32_e32 v59, v69
	s_wait_alu 0xf1ff
	v_cndmask_b32_e64 v57, 0, v57, s5
	s_wait_alu 0xfffd
	v_cndmask_b32_e32 v60, 0, v60, vcc_lo
	v_cmp_nlt_f32_e32 vcc_lo, 0x42b17218, v58
	v_add_f32_e32 v63, v63, v68
	v_sub_f32_e32 v68, v83, v234
	v_cmp_nlt_f32_e64 s5, 0x42b17218, v56
	s_wait_alu 0xfffd
	v_cndmask_b32_e32 v129, 0x7f800000, v60, vcc_lo
	s_delay_alu instid0(VALU_DEP_3)
	v_mul_f32_e32 v70, 0x3fb8aa3b, v68
	v_cmp_ngt_f32_e64 s4, 0xc2ce8ed0, v68
	s_wait_alu 0xf1ff
	v_cndmask_b32_e64 v125, 0x7f800000, v57, s5
	v_cvt_f16_f32_e64 v60, v129
	v_fma_f32 v71, 0x3fb8aa3b, v68, -v70
	v_rndne_f32_e32 v78, v70
	s_delay_alu instid0(VALU_DEP_4) | instskip(NEXT) | instid1(VALU_DEP_2)
	v_cvt_f16_f32_e32 v56, v125
	v_dual_fmac_f32 v71, 0x32a5705f, v68 :: v_dual_sub_f32 v70, v70, v78
	v_exp_f32_e32 v63, v63
	v_cvt_i32_f32_e32 v62, v78
	s_delay_alu instid0(VALU_DEP_2) | instskip(NEXT) | instid1(TRANS32_DEP_1)
	v_add_f32_e32 v70, v70, v71
	v_ldexp_f32 v59, v63, v59
	s_delay_alu instid0(VALU_DEP_2) | instskip(NEXT) | instid1(VALU_DEP_1)
	v_exp_f32_e32 v63, v70
	v_cndmask_b32_e64 v58, 0, v59, s3
	v_cmp_nlt_f32_e64 s3, 0x42b17218, v61
	s_delay_alu instid0(TRANS32_DEP_1) | instskip(SKIP_1) | instid1(VALU_DEP_2)
	v_ldexp_f32 v62, v63, v62
	s_wait_alu 0xf1ff
	v_cndmask_b32_e64 v127, 0x7f800000, v58, s3
	s_delay_alu instid0(VALU_DEP_2) | instskip(SKIP_1) | instid1(VALU_DEP_3)
	v_cndmask_b32_e64 v59, 0, v62, s4
	v_cmp_nlt_f32_e64 s4, 0x42b17218, v68
	v_cvt_f16_f32_e32 v57, v127
	s_wait_alu 0xf1ff
	s_delay_alu instid0(VALU_DEP_2) | instskip(NEXT) | instid1(VALU_DEP_1)
	v_cndmask_b32_e64 v128, 0x7f800000, v59, s4
	v_cvt_f16_f32_e64 v58, v128
	s_delay_alu instid0(VALU_DEP_1) | instskip(SKIP_2) | instid1(VALU_DEP_1)
	v_pack_b32_f16 v59, v57, v58
	v_pack_b32_f16 v58, v56, v60
	v_sub_f32_e32 v56, v82, v234
	v_mul_f32_e32 v57, 0x3fb8aa3b, v56
	v_cmp_ngt_f32_e32 vcc_lo, 0xc2ce8ed0, v56
	s_delay_alu instid0(VALU_DEP_2) | instskip(SKIP_1) | instid1(VALU_DEP_1)
	v_fma_f32 v60, 0x3fb8aa3b, v56, -v57
	v_rndne_f32_e32 v61, v57
	v_dual_fmac_f32 v60, 0x32a5705f, v56 :: v_dual_sub_f32 v57, v57, v61
	v_cvt_i32_f32_e32 v61, v61
	s_delay_alu instid0(VALU_DEP_2) | instskip(SKIP_1) | instid1(VALU_DEP_2)
	v_add_f32_e32 v57, v57, v60
	v_sub_f32_e32 v60, v73, v234
	v_exp_f32_e32 v57, v57
	s_delay_alu instid0(VALU_DEP_1) | instskip(SKIP_1) | instid1(VALU_DEP_2)
	v_mul_f32_e32 v62, 0x3fb8aa3b, v60
	v_cmp_ngt_f32_e64 s3, 0xc2ce8ed0, v60
	v_fma_f32 v63, 0x3fb8aa3b, v60, -v62
	v_rndne_f32_e32 v68, v62
	s_delay_alu instid0(TRANS32_DEP_1) | instskip(NEXT) | instid1(VALU_DEP_3)
	v_ldexp_f32 v57, v57, v61
	v_fmac_f32_e32 v63, 0x32a5705f, v60
	s_delay_alu instid0(VALU_DEP_3) | instskip(SKIP_1) | instid1(VALU_DEP_3)
	v_cvt_i32_f32_e32 v61, v68
	s_wait_alu 0xfffd
	v_cndmask_b32_e32 v57, 0, v57, vcc_lo
	v_cmp_nlt_f32_e32 vcc_lo, 0x42b17218, v56
	s_wait_alu 0xfffd
	s_delay_alu instid0(VALU_DEP_2) | instskip(NEXT) | instid1(VALU_DEP_1)
	v_dual_sub_f32 v62, v62, v68 :: v_dual_cndmask_b32 v131, 0x7f800000, v57
	v_add_f32_e32 v62, v62, v63
	s_delay_alu instid0(VALU_DEP_2) | instskip(NEXT) | instid1(VALU_DEP_2)
	v_cvt_f16_f32_e64 v57, v131
	v_exp_f32_e32 v62, v62
	s_delay_alu instid0(TRANS32_DEP_1) | instskip(SKIP_1) | instid1(VALU_DEP_1)
	v_ldexp_f32 v61, v62, v61
	s_wait_alu 0xf1ff
	v_cndmask_b32_e64 v56, 0, v61, s3
	v_cmp_nlt_f32_e64 s3, 0x42b17218, v60
	s_wait_alu 0xf1ff
	s_delay_alu instid0(VALU_DEP_1) | instskip(NEXT) | instid1(VALU_DEP_1)
	v_cndmask_b32_e64 v130, 0x7f800000, v56, s3
	v_cvt_f16_f32_e64 v56, v130
	s_delay_alu instid0(VALU_DEP_1) | instskip(SKIP_1) | instid1(VALU_DEP_1)
	v_pack_b32_f16 v57, v56, v57
	v_sub_f32_e32 v56, v66, v234
	v_mul_f32_e32 v60, 0x3fb8aa3b, v56
	v_cmp_ngt_f32_e32 vcc_lo, 0xc2ce8ed0, v56
	s_delay_alu instid0(VALU_DEP_2) | instskip(SKIP_1) | instid1(VALU_DEP_1)
	v_fma_f32 v61, 0x3fb8aa3b, v56, -v60
	v_rndne_f32_e32 v62, v60
	v_dual_fmac_f32 v61, 0x32a5705f, v56 :: v_dual_sub_f32 v60, v60, v62
	v_cvt_i32_f32_e32 v62, v62
	s_delay_alu instid0(VALU_DEP_2) | instskip(NEXT) | instid1(VALU_DEP_1)
	v_dual_add_f32 v60, v60, v61 :: v_dual_sub_f32 v61, v65, v234
	v_exp_f32_e32 v60, v60
	s_delay_alu instid0(VALU_DEP_1) | instskip(SKIP_1) | instid1(VALU_DEP_2)
	v_mul_f32_e32 v63, 0x3fb8aa3b, v61
	v_cmp_ngt_f32_e64 s3, 0xc2ce8ed0, v61
	v_fma_f32 v65, 0x3fb8aa3b, v61, -v63
	v_rndne_f32_e32 v66, v63
	s_delay_alu instid0(TRANS32_DEP_1) | instskip(NEXT) | instid1(VALU_DEP_3)
	v_ldexp_f32 v60, v60, v62
	v_fmac_f32_e32 v65, 0x32a5705f, v61
	s_delay_alu instid0(VALU_DEP_3)
	v_sub_f32_e32 v63, v63, v66
	v_cvt_i32_f32_e32 v62, v66
	s_wait_alu 0xfffd
	v_cndmask_b32_e32 v60, 0, v60, vcc_lo
	v_cmp_nlt_f32_e32 vcc_lo, 0x42b17218, v56
	v_add_f32_e32 v63, v63, v65
	s_wait_alu 0xfffd
	s_delay_alu instid0(VALU_DEP_3) | instskip(NEXT) | instid1(VALU_DEP_2)
	v_cndmask_b32_e32 v133, 0x7f800000, v60, vcc_lo
	v_exp_f32_e32 v63, v63
	s_delay_alu instid0(VALU_DEP_1) | instskip(NEXT) | instid1(TRANS32_DEP_1)
	v_cvt_f16_f32_e64 v60, v133
	v_ldexp_f32 v62, v63, v62
	s_wait_alu 0xf1ff
	s_delay_alu instid0(VALU_DEP_1) | instskip(SKIP_2) | instid1(VALU_DEP_1)
	v_cndmask_b32_e64 v56, 0, v62, s3
	v_cmp_nlt_f32_e64 s3, 0x42b17218, v61
	s_wait_alu 0xf1ff
	v_cndmask_b32_e64 v132, 0x7f800000, v56, s3
	s_delay_alu instid0(VALU_DEP_1) | instskip(NEXT) | instid1(VALU_DEP_1)
	v_cvt_f16_f32_e64 v56, v132
	v_pack_b32_f16 v56, v56, v60
	ds_load_u16 v114, v215 offset:4448
	ds_load_u16 v94, v215 offset:4512
	;; [unrolled: 1-line block ×10, first 2 shown]
	s_wait_dscnt 0x3
	ds_load_u16_d16_hi v60, v215 offset:4240
	ds_load_u16_d16_hi v65, v215 offset:4560
	ds_load_u16 v90, v215 offset:4416
	ds_load_u16_d16_hi v114, v215 offset:4688
	ds_load_u16_d16_hi v94, v215 offset:4752
	ds_load_u16_d16_hi v66, v215 offset:5040
	ds_load_u16_d16_hi v87, v215 offset:5072
	ds_load_u16 v73, v215 offset:7680
	ds_load_u16 v91, v215 offset:4896
	ds_load_u16_d16_hi v115, v215 offset:5168
	ds_load_u16_d16_hi v113, v215 offset:4208
	;; [unrolled: 1-line block ×3, first 2 shown]
	s_wait_dscnt 0xd
	ds_load_u16_d16_hi v62, v215 offset:5200
	s_wait_dscnt 0xd
	ds_load_u16_d16_hi v95, v215 offset:5232
	ds_load_u16 v69, v215 offset:7712
	ds_load_u16 v82, v215 offset:4384
	;; [unrolled: 1-line block ×3, first 2 shown]
	ds_load_u16_d16_hi v61, v215 offset:4720
	s_wait_dscnt 0xf
	ds_load_u16_d16_hi v90, v215 offset:4656
	ds_load_u16 v102, v215 offset:7744
	ds_load_u16 v106, v215 offset:7776
	s_wait_dscnt 0xc
	ds_load_u16_d16_hi v91, v215 offset:5136
	ds_load_u16 v63, v216 offset:4000
	ds_load_u16 v105, v216 offset:7744
	;; [unrolled: 1-line block ×5, first 2 shown]
	s_wait_dscnt 0x10
	v_wmma_f16_16x16x16_f16 v[8:11], v[113:116], v[56:59], v[8:11]
	s_wait_dscnt 0x4
	ds_load_u16_d16_hi v63, v217 offset:4000
	ds_load_u16_d16_hi v96, v217 offset:4032
	;; [unrolled: 1-line block ×4, first 2 shown]
	ds_load_u16 v68, v216 offset:7872
	ds_load_u16 v113, v216 offset:7808
	s_wait_dscnt 0x9
	ds_load_u16_d16_hi v105, v217 offset:7744
	s_wait_dscnt 0x7
	ds_load_u16_d16_hi v109, v217 offset:7776
	v_wmma_f16_16x16x16_f16 v[12:15], v[89:92], v[56:59], v[12:15]
	s_wait_dscnt 0x7
	v_wmma_f16_16x16x16_f16 v[4:7], v[60:63], v[56:59], v[4:7]
	s_wait_dscnt 0x2
	ds_load_u16_d16_hi v113, v217 offset:7808
	ds_load_u16 v93, v215 offset:4032
	ds_load_u16_d16_hi v64, v215 offset:4080
	ds_load_u16_d16_hi v85, v215 offset:4112
	;; [unrolled: 1-line block ×3, first 2 shown]
	s_wait_dscnt 0x3
	ds_load_u16_d16_hi v93, v215 offset:4272
	ds_load_u16 v86, v215 offset:4352
	s_wait_dscnt 0x0
	ds_load_u16_d16_hi v86, v215 offset:4592
	ds_load_u16_d16_hi v82, v215 offset:4624
	;; [unrolled: 1-line block ×3, first 2 shown]
	v_wmma_f16_16x16x16_f16 v[0:3], v[93:96], v[56:59], v[0:3]
	v_wmma_f16_16x16x16_f16 v[24:27], v[64:67], v[56:59], v[24:27]
	s_wait_dscnt 0x2
	v_wmma_f16_16x16x16_f16 v[20:23], v[85:88], v[56:59], v[20:23]
	s_wait_dscnt 0x0
	v_wmma_f16_16x16x16_f16 v[16:19], v[81:84], v[56:59], v[16:19]
	v_sub_f32_e32 v56, v228, v234
	s_delay_alu instid0(VALU_DEP_1) | instskip(SKIP_1) | instid1(VALU_DEP_2)
	v_mul_f32_e32 v57, 0x3fb8aa3b, v56
	v_cmp_ngt_f32_e64 s5, 0xc2ce8ed0, v56
	v_fma_f32 v58, 0x3fb8aa3b, v56, -v57
	v_rndne_f32_e32 v59, v57
	s_delay_alu instid0(VALU_DEP_1) | instskip(SKIP_1) | instid1(VALU_DEP_2)
	v_dual_fmac_f32 v58, 0x32a5705f, v56 :: v_dual_sub_f32 v57, v57, v59
	v_cvt_i32_f32_e32 v59, v59
	v_add_f32_e32 v57, v57, v58
	v_sub_f32_e32 v58, v241, v234
	s_delay_alu instid0(VALU_DEP_1) | instskip(NEXT) | instid1(VALU_DEP_1)
	v_mul_f32_e32 v60, 0x3fb8aa3b, v58
	v_fma_f32 v61, 0x3fb8aa3b, v58, -v60
	v_rndne_f32_e32 v62, v60
	s_delay_alu instid0(VALU_DEP_2) | instskip(NEXT) | instid1(VALU_DEP_2)
	v_fmac_f32_e32 v61, 0x32a5705f, v58
	v_sub_f32_e32 v60, v60, v62
	v_cvt_i32_f32_e32 v62, v62
	s_delay_alu instid0(VALU_DEP_2) | instskip(SKIP_1) | instid1(VALU_DEP_1)
	v_dual_add_f32 v60, v60, v61 :: v_dual_sub_f32 v61, v227, v234
	v_exp_f32_e32 v57, v57
	v_exp_f32_e32 v60, v60
	s_delay_alu instid0(VALU_DEP_1) | instskip(SKIP_1) | instid1(VALU_DEP_2)
	v_mul_f32_e32 v63, 0x3fb8aa3b, v61
	v_cmp_ngt_f32_e32 vcc_lo, 0xc2ce8ed0, v58
	v_fma_f32 v64, 0x3fb8aa3b, v61, -v63
	v_rndne_f32_e32 v65, v63
	s_delay_alu instid0(TRANS32_DEP_2) | instskip(NEXT) | instid1(TRANS32_DEP_1)
	v_ldexp_f32 v57, v57, v59
	v_ldexp_f32 v60, v60, v62
	s_delay_alu instid0(VALU_DEP_4) | instskip(NEXT) | instid1(VALU_DEP_4)
	v_fmac_f32_e32 v64, 0x32a5705f, v61
	v_sub_f32_e32 v63, v63, v65
	v_cvt_i32_f32_e32 v59, v65
	s_wait_alu 0xf1ff
	v_cndmask_b32_e64 v57, 0, v57, s5
	s_wait_alu 0xfffd
	v_cndmask_b32_e32 v60, 0, v60, vcc_lo
	v_cmp_nlt_f32_e32 vcc_lo, 0x42b17218, v58
	v_dual_add_f32 v63, v63, v64 :: v_dual_sub_f32 v64, v236, v234
	v_cmp_nlt_f32_e64 s5, 0x42b17218, v56
	s_wait_alu 0xfffd
	v_cndmask_b32_e32 v84, 0x7f800000, v60, vcc_lo
	s_delay_alu instid0(VALU_DEP_3)
	v_exp_f32_e32 v63, v63
	v_mul_f32_e32 v66, 0x3fb8aa3b, v64
	v_cmp_ngt_f32_e64 s3, 0xc2ce8ed0, v61
	v_cmp_ngt_f32_e64 s4, 0xc2ce8ed0, v64
	s_wait_alu 0xf1ff
	v_cndmask_b32_e64 v81, 0x7f800000, v57, s5
	v_cvt_f16_f32_e32 v60, v84
	v_fma_f32 v67, 0x3fb8aa3b, v64, -v66
	v_rndne_f32_e32 v70, v66
	s_delay_alu instid0(VALU_DEP_4) | instskip(SKIP_1) | instid1(VALU_DEP_3)
	v_cvt_f16_f32_e32 v56, v81
	v_ldexp_f32 v59, v63, v59
	v_dual_fmac_f32 v67, 0x32a5705f, v64 :: v_dual_sub_f32 v66, v66, v70
	v_cvt_i32_f32_e32 v62, v70
	s_delay_alu instid0(VALU_DEP_3) | instskip(SKIP_1) | instid1(VALU_DEP_4)
	v_cndmask_b32_e64 v58, 0, v59, s3
	v_cmp_nlt_f32_e64 s3, 0x42b17218, v61
	v_add_f32_e32 v66, v66, v67
	s_wait_alu 0xf1ff
	s_delay_alu instid0(VALU_DEP_2) | instskip(NEXT) | instid1(VALU_DEP_2)
	v_cndmask_b32_e64 v82, 0x7f800000, v58, s3
	v_exp_f32_e32 v63, v66
	s_delay_alu instid0(VALU_DEP_1) | instskip(NEXT) | instid1(TRANS32_DEP_1)
	v_cvt_f16_f32_e32 v57, v82
	v_ldexp_f32 v62, v63, v62
	s_delay_alu instid0(VALU_DEP_1) | instskip(SKIP_2) | instid1(VALU_DEP_1)
	v_cndmask_b32_e64 v59, 0, v62, s4
	v_cmp_nlt_f32_e64 s4, 0x42b17218, v64
	s_wait_alu 0xf1ff
	v_cndmask_b32_e64 v83, 0x7f800000, v59, s4
	s_delay_alu instid0(VALU_DEP_1) | instskip(NEXT) | instid1(VALU_DEP_1)
	v_cvt_f16_f32_e32 v58, v83
	v_pack_b32_f16 v59, v57, v58
	v_pack_b32_f16 v58, v56, v60
	v_sub_f32_e32 v56, v119, v234
	s_delay_alu instid0(VALU_DEP_1) | instskip(NEXT) | instid1(VALU_DEP_1)
	v_mul_f32_e32 v57, 0x3fb8aa3b, v56
	v_fma_f32 v60, 0x3fb8aa3b, v56, -v57
	v_rndne_f32_e32 v61, v57
	s_delay_alu instid0(VALU_DEP_1) | instskip(SKIP_1) | instid1(VALU_DEP_2)
	v_dual_fmac_f32 v60, 0x32a5705f, v56 :: v_dual_sub_f32 v57, v57, v61
	v_cvt_i32_f32_e32 v61, v61
	v_dual_add_f32 v57, v57, v60 :: v_dual_sub_f32 v60, v118, v234
	s_delay_alu instid0(VALU_DEP_1) | instskip(NEXT) | instid1(VALU_DEP_1)
	v_exp_f32_e32 v57, v57
	v_mul_f32_e32 v62, 0x3fb8aa3b, v60
	v_cmp_ngt_f32_e64 s3, 0xc2ce8ed0, v60
	s_delay_alu instid0(VALU_DEP_2) | instskip(SKIP_1) | instid1(TRANS32_DEP_1)
	v_fma_f32 v63, 0x3fb8aa3b, v60, -v62
	v_rndne_f32_e32 v64, v62
	v_ldexp_f32 v57, v57, v61
	s_delay_alu instid0(VALU_DEP_3) | instskip(NEXT) | instid1(VALU_DEP_3)
	v_fmac_f32_e32 v63, 0x32a5705f, v60
	v_sub_f32_e32 v62, v62, v64
	v_cvt_i32_f32_e32 v61, v64
	v_cmp_ngt_f32_e32 vcc_lo, 0xc2ce8ed0, v56
	s_wait_alu 0xfffd
	s_delay_alu instid0(VALU_DEP_3) | instskip(SKIP_1) | instid1(VALU_DEP_2)
	v_dual_add_f32 v62, v62, v63 :: v_dual_cndmask_b32 v57, 0, v57
	v_cmp_nlt_f32_e32 vcc_lo, 0x42b17218, v56
	v_exp_f32_e32 v62, v62
	s_wait_alu 0xfffd
	s_delay_alu instid0(VALU_DEP_2) | instskip(NEXT) | instid1(VALU_DEP_1)
	v_cndmask_b32_e32 v86, 0x7f800000, v57, vcc_lo
	v_cvt_f16_f32_e32 v57, v86
	s_delay_alu instid0(TRANS32_DEP_1) | instskip(SKIP_1) | instid1(VALU_DEP_1)
	v_ldexp_f32 v61, v62, v61
	s_wait_alu 0xf1ff
	v_cndmask_b32_e64 v56, 0, v61, s3
	v_cmp_nlt_f32_e64 s3, 0x42b17218, v60
	s_wait_alu 0xf1ff
	s_delay_alu instid0(VALU_DEP_1) | instskip(NEXT) | instid1(VALU_DEP_1)
	v_cndmask_b32_e64 v85, 0x7f800000, v56, s3
	v_cvt_f16_f32_e32 v56, v85
	s_delay_alu instid0(VALU_DEP_1) | instskip(SKIP_1) | instid1(VALU_DEP_1)
	v_pack_b32_f16 v57, v56, v57
	v_sub_f32_e32 v56, v75, v234
	v_mul_f32_e32 v60, 0x3fb8aa3b, v56
	v_cmp_ngt_f32_e32 vcc_lo, 0xc2ce8ed0, v56
	s_delay_alu instid0(VALU_DEP_2) | instskip(SKIP_1) | instid1(VALU_DEP_1)
	v_fma_f32 v61, 0x3fb8aa3b, v56, -v60
	v_rndne_f32_e32 v62, v60
	v_dual_fmac_f32 v61, 0x32a5705f, v56 :: v_dual_sub_f32 v60, v60, v62
	v_cvt_i32_f32_e32 v62, v62
	s_delay_alu instid0(VALU_DEP_2) | instskip(NEXT) | instid1(VALU_DEP_1)
	v_dual_add_f32 v60, v60, v61 :: v_dual_sub_f32 v61, v74, v234
	v_exp_f32_e32 v60, v60
	s_delay_alu instid0(VALU_DEP_1) | instskip(SKIP_1) | instid1(VALU_DEP_2)
	v_mul_f32_e32 v63, 0x3fb8aa3b, v61
	v_cmp_ngt_f32_e64 s3, 0xc2ce8ed0, v61
	v_fma_f32 v64, 0x3fb8aa3b, v61, -v63
	v_rndne_f32_e32 v65, v63
	s_delay_alu instid0(TRANS32_DEP_1) | instskip(NEXT) | instid1(VALU_DEP_3)
	v_ldexp_f32 v60, v60, v62
	v_fmac_f32_e32 v64, 0x32a5705f, v61
	s_delay_alu instid0(VALU_DEP_3)
	v_sub_f32_e32 v63, v63, v65
	v_cvt_i32_f32_e32 v62, v65
	s_wait_alu 0xfffd
	v_cndmask_b32_e32 v60, 0, v60, vcc_lo
	v_cmp_nlt_f32_e32 vcc_lo, 0x42b17218, v56
	v_add_f32_e32 v63, v63, v64
	s_wait_alu 0xfffd
	s_delay_alu instid0(VALU_DEP_3) | instskip(NEXT) | instid1(VALU_DEP_2)
	v_cndmask_b32_e32 v88, 0x7f800000, v60, vcc_lo
	v_exp_f32_e32 v63, v63
	s_delay_alu instid0(VALU_DEP_1) | instskip(NEXT) | instid1(TRANS32_DEP_1)
	v_cvt_f16_f32_e32 v60, v88
	v_ldexp_f32 v62, v63, v62
	s_wait_alu 0xf1ff
	s_delay_alu instid0(VALU_DEP_1) | instskip(SKIP_2) | instid1(VALU_DEP_1)
	v_cndmask_b32_e64 v56, 0, v62, s3
	v_cmp_nlt_f32_e64 s3, 0x42b17218, v61
	s_wait_alu 0xf1ff
	v_cndmask_b32_e64 v87, 0x7f800000, v56, s3
	s_delay_alu instid0(VALU_DEP_1) | instskip(NEXT) | instid1(VALU_DEP_1)
	v_cvt_f16_f32_e32 v56, v87
	v_pack_b32_f16 v56, v56, v60
	ds_load_u16 v63, v216 offset:7840
	ds_load_u16 v62, v215 offset:8800
	;; [unrolled: 1-line block ×9, first 2 shown]
	s_wait_dscnt 0x8
	ds_load_u16_d16_hi v63, v217 offset:7840
	s_wait_dscnt 0x4
	ds_load_u16_d16_hi v61, v215 offset:8560
	;; [unrolled: 2-line block ×3, first 2 shown]
	ds_load_u16 v112, v215 offset:8768
	ds_load_u16 v108, v215 offset:8736
	ds_load_u16_d16_hi v62, v215 offset:9040
	ds_load_u16_d16_hi v67, v215 offset:9072
	ds_load_u16 v119, v215 offset:11520
	s_wait_dscnt 0x4
	ds_load_u16_d16_hi v112, v215 offset:9008
	ds_load_u16_d16_hi v102, v215 offset:7984
	;; [unrolled: 1-line block ×3, first 2 shown]
	ds_load_u16 v74, v215 offset:8160
	ds_load_u16_d16_hi v73, v215 offset:7920
	ds_load_u16 v110, v215 offset:7808
	ds_load_u16_d16_hi v60, v215 offset:8080
	ds_load_u16_d16_hi v65, v215 offset:8112
	ds_load_u16 v70, v215 offset:8192
	ds_load_u16_d16_hi v111, v215 offset:8528
	s_wait_dscnt 0x4
	ds_load_u16_d16_hi v110, v215 offset:8048
	ds_load_u16 v103, v215 offset:8224
	ds_load_u16_d16_hi v74, v215 offset:8400
	s_wait_dscnt 0x4
	ds_load_u16_d16_hi v70, v215 offset:8432
	s_wait_dscnt 0x2
	ds_load_u16_d16_hi v103, v215 offset:8464
	ds_load_u16_d16_hi v107, v215 offset:8496
	ds_load_u16 v66, v215 offset:8352
	ds_load_u16 v104, v215 offset:8704
	ds_load_u16_d16_hi v108, v215 offset:8976
	v_wmma_f16_16x16x16_f16 v[4:7], v[60:63], v[56:59], v[4:7]
	s_wait_dscnt 0x6
	v_wmma_f16_16x16x16_f16 v[24:27], v[73:76], v[56:59], v[24:27]
	v_wmma_f16_16x16x16_f16 v[8:11], v[110:113], v[56:59], v[8:11]
	s_wait_dscnt 0x1
	ds_load_u16_d16_hi v104, v215 offset:8944
	ds_load_u16 v71, v215 offset:8672
	ds_load_u16_d16_hi v69, v215 offset:7952
	ds_load_u16_d16_hi v66, v215 offset:8592
	s_wait_dscnt 0x4
	v_wmma_f16_16x16x16_f16 v[12:15], v[106:109], v[56:59], v[12:15]
	s_wait_dscnt 0x2
	ds_load_u16_d16_hi v71, v215 offset:8912
	ds_load_u16 v118, v216 offset:11616
	ds_load_u16_d16_hi v68, v217 offset:7872
	ds_load_u16_d16_hi v122, v217 offset:11520
	ds_load_u16 v60, v216 offset:11552
	v_wmma_f16_16x16x16_f16 v[16:19], v[102:105], v[56:59], v[16:19]
	s_wait_dscnt 0x0
	ds_load_u16_d16_hi v60, v217 offset:11552
	ds_load_u16_d16_hi v98, v217 offset:11584
	ds_load_u16 v102, v216 offset:11648
	ds_load_u16 v78, v216 offset:11680
	ds_load_u16_d16_hi v118, v217 offset:11616
	ds_load_u16_d16_hi v80, v217 offset:11712
	v_wmma_f16_16x16x16_f16 v[20:23], v[69:72], v[56:59], v[20:23]
	v_wmma_f16_16x16x16_f16 v[0:3], v[65:68], v[56:59], v[0:3]
	v_sub_f32_e32 v56, v225, v234
	s_delay_alu instid0(VALU_DEP_1) | instskip(NEXT) | instid1(VALU_DEP_1)
	v_mul_f32_e32 v57, 0x3fb8aa3b, v56
	v_fma_f32 v58, 0x3fb8aa3b, v56, -v57
	v_rndne_f32_e32 v59, v57
	s_wait_dscnt 0x3
	ds_load_u16_d16_hi v102, v217 offset:11648
	v_dual_fmac_f32 v58, 0x32a5705f, v56 :: v_dual_sub_f32 v57, v57, v59
	v_cvt_i32_f32_e32 v59, v59
	s_delay_alu instid0(VALU_DEP_2) | instskip(SKIP_1) | instid1(VALU_DEP_2)
	v_add_f32_e32 v57, v57, v58
	v_sub_f32_e32 v58, v224, v234
	v_exp_f32_e32 v57, v57
	s_delay_alu instid0(VALU_DEP_1) | instskip(NEXT) | instid1(VALU_DEP_1)
	v_mul_f32_e32 v61, 0x3fb8aa3b, v58
	v_fma_f32 v62, 0x3fb8aa3b, v58, -v61
	v_rndne_f32_e32 v63, v61
	s_delay_alu instid0(TRANS32_DEP_1) | instskip(NEXT) | instid1(VALU_DEP_2)
	v_ldexp_f32 v57, v57, v59
	v_dual_fmac_f32 v62, 0x32a5705f, v58 :: v_dual_sub_f32 v61, v61, v63
	v_cvt_i32_f32_e32 v63, v63
	s_delay_alu instid0(VALU_DEP_2) | instskip(SKIP_1) | instid1(VALU_DEP_2)
	v_add_f32_e32 v61, v61, v62
	v_sub_f32_e32 v62, v247, v234
	v_exp_f32_e32 v61, v61
	s_delay_alu instid0(VALU_DEP_1) | instskip(NEXT) | instid1(VALU_DEP_1)
	v_mul_f32_e32 v64, 0x3fb8aa3b, v62
	v_fma_f32 v65, 0x3fb8aa3b, v62, -v64
	v_rndne_f32_e32 v66, v64
	s_delay_alu instid0(TRANS32_DEP_1) | instskip(NEXT) | instid1(VALU_DEP_3)
	v_ldexp_f32 v61, v61, v63
	v_fmac_f32_e32 v65, 0x32a5705f, v62
	s_delay_alu instid0(VALU_DEP_3) | instskip(SKIP_1) | instid1(VALU_DEP_2)
	v_sub_f32_e32 v64, v64, v66
	v_cvt_i32_f32_e32 v59, v66
	v_dual_add_f32 v64, v64, v65 :: v_dual_sub_f32 v65, v223, v234
	s_delay_alu instid0(VALU_DEP_1) | instskip(NEXT) | instid1(VALU_DEP_1)
	v_exp_f32_e32 v64, v64
	v_mul_f32_e32 v67, 0x3fb8aa3b, v65
	v_cmp_ngt_f32_e64 s5, 0xc2ce8ed0, v56
	v_cmp_ngt_f32_e64 s4, 0xc2ce8ed0, v65
	s_delay_alu instid0(VALU_DEP_3) | instskip(SKIP_4) | instid1(TRANS32_DEP_1)
	v_fma_f32 v68, 0x3fb8aa3b, v65, -v67
	v_rndne_f32_e32 v69, v67
	s_wait_alu 0xf1ff
	v_cndmask_b32_e64 v57, 0, v57, s5
	v_cmp_nlt_f32_e64 s5, 0x42b17218, v56
	v_ldexp_f32 v59, v64, v59
	v_fmac_f32_e32 v68, 0x32a5705f, v65
	v_sub_f32_e32 v67, v67, v69
	v_cvt_i32_f32_e32 v63, v69
	s_wait_alu 0xf1ff
	v_cndmask_b32_e64 v56, 0x7f800000, v57, s5
	s_delay_alu instid0(VALU_DEP_3) | instskip(SKIP_1) | instid1(VALU_DEP_3)
	v_add_f32_e32 v67, v67, v68
	v_cmp_ngt_f32_e32 vcc_lo, 0xc2ce8ed0, v58
	v_cvt_f16_f32_e32 v57, v56
	s_delay_alu instid0(VALU_DEP_3) | instskip(SKIP_4) | instid1(VALU_DEP_2)
	v_exp_f32_e32 v64, v67
	s_wait_alu 0xfffd
	v_cndmask_b32_e32 v61, 0, v61, vcc_lo
	v_cmp_nlt_f32_e32 vcc_lo, 0x42b17218, v58
	s_wait_alu 0xfffd
	v_cndmask_b32_e32 v67, 0x7f800000, v61, vcc_lo
	v_cmp_ngt_f32_e64 s3, 0xc2ce8ed0, v62
	s_delay_alu instid0(TRANS32_DEP_1) | instskip(NEXT) | instid1(VALU_DEP_3)
	v_ldexp_f32 v63, v64, v63
	v_cvt_f16_f32_e32 v61, v67
	s_wait_alu 0xf1ff
	s_delay_alu instid0(VALU_DEP_3)
	v_cndmask_b32_e64 v58, 0, v59, s3
	v_cmp_nlt_f32_e64 s3, 0x42b17218, v62
	v_cndmask_b32_e64 v59, 0, v63, s4
	v_cmp_nlt_f32_e64 s4, 0x42b17218, v65
	v_pack_b32_f16 v63, v57, v61
	v_sub_f32_e32 v57, v222, v234
	s_wait_alu 0xf1ff
	v_cndmask_b32_e64 v65, 0x7f800000, v58, s3
	v_cndmask_b32_e64 v66, 0x7f800000, v59, s4
	s_delay_alu instid0(VALU_DEP_3) | instskip(NEXT) | instid1(VALU_DEP_3)
	v_cmp_ngt_f32_e32 vcc_lo, 0xc2ce8ed0, v57
	v_cvt_f16_f32_e32 v58, v65
	s_delay_alu instid0(VALU_DEP_3) | instskip(NEXT) | instid1(VALU_DEP_1)
	v_cvt_f16_f32_e32 v59, v66
	v_pack_b32_f16 v64, v58, v59
	v_mul_f32_e32 v58, 0x3fb8aa3b, v57
	s_delay_alu instid0(VALU_DEP_1) | instskip(SKIP_1) | instid1(VALU_DEP_2)
	v_fma_f32 v59, 0x3fb8aa3b, v57, -v58
	v_rndne_f32_e32 v61, v58
	v_fmac_f32_e32 v59, 0x32a5705f, v57
	s_delay_alu instid0(VALU_DEP_2) | instskip(SKIP_1) | instid1(VALU_DEP_2)
	v_sub_f32_e32 v58, v58, v61
	v_cvt_i32_f32_e32 v61, v61
	v_dual_add_f32 v58, v58, v59 :: v_dual_sub_f32 v59, v221, v234
	s_delay_alu instid0(VALU_DEP_1) | instskip(NEXT) | instid1(VALU_DEP_1)
	v_exp_f32_e32 v58, v58
	v_mul_f32_e32 v62, 0x3fb8aa3b, v59
	v_cmp_ngt_f32_e64 s3, 0xc2ce8ed0, v59
	s_delay_alu instid0(VALU_DEP_2) | instskip(SKIP_1) | instid1(TRANS32_DEP_1)
	v_fma_f32 v68, 0x3fb8aa3b, v59, -v62
	v_rndne_f32_e32 v69, v62
	v_ldexp_f32 v58, v58, v61
	s_delay_alu instid0(VALU_DEP_3) | instskip(NEXT) | instid1(VALU_DEP_3)
	v_fmac_f32_e32 v68, 0x32a5705f, v59
	v_cvt_i32_f32_e32 v61, v69
	s_wait_alu 0xfffd
	s_delay_alu instid0(VALU_DEP_3) | instskip(SKIP_2) | instid1(VALU_DEP_2)
	v_cndmask_b32_e32 v58, 0, v58, vcc_lo
	v_cmp_nlt_f32_e32 vcc_lo, 0x42b17218, v57
	s_wait_alu 0xfffd
	v_dual_sub_f32 v62, v62, v69 :: v_dual_cndmask_b32 v69, 0x7f800000, v58
	s_delay_alu instid0(VALU_DEP_1) | instskip(NEXT) | instid1(VALU_DEP_2)
	v_add_f32_e32 v62, v62, v68
	v_cvt_f16_f32_e32 v58, v69
	s_delay_alu instid0(VALU_DEP_2) | instskip(NEXT) | instid1(TRANS32_DEP_1)
	v_exp_f32_e32 v62, v62
	v_ldexp_f32 v61, v62, v61
	s_wait_alu 0xf1ff
	s_delay_alu instid0(VALU_DEP_1) | instskip(SKIP_2) | instid1(VALU_DEP_1)
	v_cndmask_b32_e64 v57, 0, v61, s3
	v_cmp_nlt_f32_e64 s3, 0x42b17218, v59
	s_wait_alu 0xf1ff
	v_cndmask_b32_e64 v68, 0x7f800000, v57, s3
	s_delay_alu instid0(VALU_DEP_1) | instskip(NEXT) | instid1(VALU_DEP_1)
	v_cvt_f16_f32_e32 v57, v68
	v_pack_b32_f16 v62, v57, v58
	v_sub_f32_e32 v57, v218, v234
	s_delay_alu instid0(VALU_DEP_1) | instskip(SKIP_1) | instid1(VALU_DEP_2)
	v_mul_f32_e32 v58, 0x3fb8aa3b, v57
	v_cmp_ngt_f32_e32 vcc_lo, 0xc2ce8ed0, v57
	v_fma_f32 v59, 0x3fb8aa3b, v57, -v58
	v_rndne_f32_e32 v61, v58
	s_delay_alu instid0(VALU_DEP_2) | instskip(NEXT) | instid1(VALU_DEP_2)
	v_fmac_f32_e32 v59, 0x32a5705f, v57
	v_sub_f32_e32 v58, v58, v61
	v_cvt_i32_f32_e32 v61, v61
	s_delay_alu instid0(VALU_DEP_2)
	v_dual_add_f32 v58, v58, v59 :: v_dual_sub_f32 v59, v120, v234
	ds_load_u16 v96, v215 offset:12064
	ds_load_u16 v116, v215 offset:12096
	ds_load_u16 v120, v215 offset:12000
	ds_load_u16_d16_hi v119, v215 offset:11760
	ds_load_u16 v75, v215 offset:11680
	ds_load_u16 v99, v215 offset:11648
	s_wait_dscnt 0x5
	ds_load_u16_d16_hi v96, v215 offset:12304
	s_wait_dscnt 0x5
	ds_load_u16_d16_hi v116, v215 offset:12336
	;; [unrolled: 2-line block ×3, first 2 shown]
	ds_load_u16 v76, v215 offset:12160
	ds_load_u16 v100, v215 offset:12128
	ds_load_u16 v115, v215 offset:11616
	s_wait_dscnt 0x7
	ds_load_u16_d16_hi v75, v215 offset:11920
	s_wait_dscnt 0x7
	ds_load_u16_d16_hi v99, v215 offset:11888
	v_exp_f32_e32 v58, v58
	v_mul_f32_e32 v70, 0x3fb8aa3b, v59
	v_cmp_ngt_f32_e64 s3, 0xc2ce8ed0, v59
	s_wait_dscnt 0x4
	ds_load_u16_d16_hi v76, v215 offset:12400
	s_wait_dscnt 0x4
	ds_load_u16_d16_hi v100, v215 offset:12368
	ds_load_u16_d16_hi v78, v217 offset:11680
	v_fma_f32 v71, 0x3fb8aa3b, v59, -v70
	v_rndne_f32_e32 v72, v70
	v_ldexp_f32 v58, v58, v61
	ds_load_u16 v95, v215 offset:11584
	s_wait_dscnt 0x6
	ds_load_u16_d16_hi v115, v215 offset:11856
	v_fmac_f32_e32 v71, 0x32a5705f, v59
	v_cvt_i32_f32_e32 v61, v72
	s_wait_alu 0xfffd
	v_cndmask_b32_e32 v58, 0, v58, vcc_lo
	v_cmp_nlt_f32_e32 vcc_lo, 0x42b17218, v57
	v_sub_f32_e32 v70, v70, v72
	s_wait_alu 0xfffd
	s_delay_alu instid0(VALU_DEP_1) | instskip(SKIP_3) | instid1(VALU_DEP_3)
	v_dual_add_f32 v70, v70, v71 :: v_dual_cndmask_b32 v71, 0x7f800000, v58
	v_add_co_u32 v164, vcc_lo, 0x80, v164
	s_wait_alu 0xfffd
	v_add_co_ci_u32_e64 v165, null, 0, v165, vcc_lo
	v_exp_f32_e32 v70, v70
	v_cvt_f16_f32_e32 v58, v71
	s_wait_dscnt 0x1
	ds_load_u16_d16_hi v95, v215 offset:11824
	v_add_co_u32 v166, vcc_lo, 0x80, v166
	s_wait_alu 0xfffd
	v_add_co_ci_u32_e64 v167, null, 0, v167, vcc_lo
	v_add_co_u32 v168, vcc_lo, 0x80, v168
	s_wait_alu 0xfffd
	v_add_co_ci_u32_e64 v169, null, 0, v169, vcc_lo
	v_ldexp_f32 v61, v70, v61
	v_add_co_u32 v170, vcc_lo, 0x80, v170
	s_wait_alu 0xfffd
	v_add_co_ci_u32_e64 v171, null, 0, v171, vcc_lo
	s_wait_alu 0xf1ff
	v_cndmask_b32_e64 v57, 0, v61, s3
	v_cmp_nlt_f32_e64 s3, 0x42b17218, v59
	v_add_co_u32 v172, vcc_lo, 0x80, v172
	s_wait_alu 0xfffd
	v_add_co_ci_u32_e64 v173, null, 0, v173, vcc_lo
	s_wait_alu 0xf1ff
	v_cndmask_b32_e64 v70, 0x7f800000, v57, s3
	v_add_co_u32 v174, vcc_lo, 0x80, v174
	s_wait_alu 0xfffd
	v_add_co_ci_u32_e64 v175, null, 0, v175, vcc_lo
	s_delay_alu instid0(VALU_DEP_3) | instskip(SKIP_3) | instid1(VALU_DEP_3)
	v_cvt_f16_f32_e32 v57, v70
	v_add_co_u32 v176, vcc_lo, 0x80, v176
	s_wait_alu 0xfffd
	v_add_co_ci_u32_e64 v177, null, 0, v177, vcc_lo
	v_pack_b32_f16 v61, v57, v58
	v_add_co_u32 v178, vcc_lo, 0x80, v178
	s_wait_alu 0xfffd
	v_add_co_ci_u32_e64 v179, null, 0, v179, vcc_lo
	s_delay_alu instid0(VALU_DEP_3)
	v_wmma_f16_16x16x16_f16 v[4:7], v[75:78], v[61:64], v[4:7]
	ds_load_u16 v57, v215 offset:11552
	ds_load_u16 v77, v215 offset:11712
	;; [unrolled: 1-line block ×5, first 2 shown]
	s_wait_dscnt 0x4
	ds_load_u16_d16_hi v57, v215 offset:11792
	s_wait_dscnt 0x4
	ds_load_u16_d16_hi v77, v215 offset:11952
	;; [unrolled: 2-line block ×5, first 2 shown]
	v_add_co_u32 v156, vcc_lo, v156, s68
	s_wait_alu 0xfffd
	v_add_co_ci_u32_e64 v123, null, s69, v123, vcc_lo
	v_add_co_u32 v226, vcc_lo, v226, s68
	s_wait_alu 0xfffd
	v_add_co_ci_u32_e64 v182, null, s69, v182, vcc_lo
	;; [unrolled: 3-line block ×5, first 2 shown]
	s_wait_dscnt 0x0
	v_wmma_f16_16x16x16_f16 v[20:23], v[57:60], v[61:64], v[20:23]
	v_add_f32_e32 v57, v126, v181
	v_add_co_u32 v240, vcc_lo, v240, s68
	s_wait_alu 0xfffd
	v_add_co_ci_u32_e64 v187, null, s69, v187, vcc_lo
	s_delay_alu instid0(VALU_DEP_3) | instskip(SKIP_3) | instid1(VALU_DEP_3)
	v_add_f32_e32 v57, v251, v57
	v_add_co_u32 v162, vcc_lo, v162, s70
	s_wait_alu 0xfffd
	v_add_co_ci_u32_e64 v163, null, s71, v163, vcc_lo
	v_add_f32_e32 v57, v210, v57
	v_add_co_u32 v231, vcc_lo, v231, s70
	s_wait_alu 0xfffd
	v_add_co_ci_u32_e64 v238, null, s71, v238, vcc_lo
	s_delay_alu instid0(VALU_DEP_3) | instskip(SKIP_3) | instid1(VALU_DEP_3)
	v_add_f32_e32 v57, v155, v57
	v_add_co_u32 v188, vcc_lo, v188, s70
	s_wait_alu 0xfffd
	v_add_co_ci_u32_e64 v246, null, s71, v246, vcc_lo
	;; [unrolled: 9-line block ×4, first 2 shown]
	v_add_f32_e32 v57, v133, v57
	v_add_co_u32 v160, vcc_lo, v160, s68
	v_wmma_f16_16x16x16_f16 v[24:27], v[119:122], v[61:64], v[24:27]
	v_wmma_f16_16x16x16_f16 v[8:11], v[99:102], v[61:64], v[8:11]
	s_delay_alu instid0(VALU_DEP_4)
	v_add_f32_e32 v57, v130, v57
	v_wmma_f16_16x16x16_f16 v[12:15], v[115:118], v[61:64], v[12:15]
	v_wmma_f16_16x16x16_f16 v[16:19], v[95:98], v[61:64], v[16:19]
	;; [unrolled: 1-line block ×3, first 2 shown]
	v_add_nc_u32_e32 v251, 0x60, v213
	v_add_f32_e32 v57, v131, v57
	s_wait_alu 0xfffd
	v_add_co_ci_u32_e64 v161, null, s69, v161, vcc_lo
	s_wait_loadcnt 0x0
	s_barrier_signal -1
	v_add_f32_e32 v57, v125, v57
	s_barrier_wait -1
	global_inv scope:SCOPE_SE
	v_add_f32_e32 v57, v129, v57
	s_delay_alu instid0(VALU_DEP_1) | instskip(NEXT) | instid1(VALU_DEP_1)
	v_add_f32_e32 v57, v127, v57
	v_add_f32_e32 v57, v128, v57
	s_delay_alu instid0(VALU_DEP_1) | instskip(NEXT) | instid1(VALU_DEP_1)
	v_add_f32_e32 v57, v87, v57
	;; [unrolled: 3-line block ×7, first 2 shown]
	v_add_f32_e32 v57, v69, v57
	s_delay_alu instid0(VALU_DEP_1) | instskip(NEXT) | instid1(VALU_DEP_1)
	v_dual_add_f32 v56, v56, v57 :: v_dual_mov_b32 v57, v233
	v_add_f32_e32 v56, v67, v56
	s_delay_alu instid0(VALU_DEP_1) | instskip(NEXT) | instid1(VALU_DEP_1)
	v_add_f32_e32 v56, v65, v56
	v_add_f32_e32 v233, v66, v56
	s_delay_alu instid0(VALU_DEP_1)
	v_fmac_f32_e32 v233, v57, v212
	s_cbranch_scc1 .LBB19_387
; %bb.388:                              ;   in Loop: Header=BB19_9 Depth=1
	s_clause 0x4
	scratch_load_b32 v58, off, off offset:280 th:TH_LOAD_LU
	scratch_load_b32 v62, off, off offset:504 th:TH_LOAD_LU
	;; [unrolled: 1-line block ×4, first 2 shown]
	scratch_load_b32 v140, off, off offset:264
	v_mad_co_i64_i32 v[60:61], null, v180, s38, 0
	s_lshl_b32 s56, s49, 6
	scratch_load_b32 v66, off, off offset:520 th:TH_LOAD_LU ; 4-byte Folded Reload
	v_mov_b32_e32 v179, 0
	s_mov_b64 s[4:5], s[56:57]
	s_wait_loadcnt 0x5
	v_mad_co_i64_i32 v[58:59], null, v58, s38, 0
	s_wait_loadcnt 0x4
	v_mad_co_i64_i32 v[70:71], null, v62, s38, 0
	scratch_load_b32 v62, off, off offset:508 th:TH_LOAD_LU ; 4-byte Folded Reload
	s_wait_loadcnt 0x3
	v_mad_co_i64_i32 v[56:57], null, v56, s38, 0
	v_mad_co_i64_i32 v[64:65], null, v64, s38, 0
	s_wait_loadcnt 0x2
	v_add_nc_u32_e32 v138, 48, v140
	v_add_nc_u32_e32 v139, 32, v140
	s_wait_loadcnt 0x1
	v_mad_co_i64_i32 v[66:67], null, v66, s38, 0
	s_wait_loadcnt 0x0
	v_mad_co_i64_i32 v[68:69], null, v62, s38, 0
	s_clause 0xa
	scratch_load_b32 v62, off, off offset:512 th:TH_LOAD_LU
	scratch_load_b64 v[141:142], off, off offset:268
	scratch_load_b32 v181, off, off offset:276
	scratch_load_b32 v187, off, off offset:284
	;; [unrolled: 1-line block ×8, first 2 shown]
	scratch_load_b64 v[132:133], off, off offset:312
	s_wait_loadcnt 0x0
	s_clause 0x1f
	scratch_load_b32 v133, off, off offset:320
	scratch_load_b32 v134, off, off offset:324
	scratch_load_b32 v135, off, off offset:328
	scratch_load_b32 v136, off, off offset:332
	scratch_load_b32 v137, off, off offset:336
	scratch_load_b32 v142, off, off offset:340
	scratch_load_b32 v143, off, off offset:344
	scratch_load_b32 v144, off, off offset:348
	scratch_load_b32 v145, off, off offset:352
	scratch_load_b32 v146, off, off offset:356
	scratch_load_b32 v147, off, off offset:360
	scratch_load_b32 v148, off, off offset:364
	scratch_load_b32 v149, off, off offset:368
	scratch_load_b32 v150, off, off offset:372
	scratch_load_b32 v155, off, off offset:376
	scratch_load_b32 v156, off, off offset:380
	scratch_load_b32 v158, off, off offset:384
	scratch_load_b32 v183, off, off offset:388
	scratch_load_b32 v185, off, off offset:392
	scratch_load_b32 v186, off, off offset:396
	scratch_load_b32 v210, off, off offset:400
	scratch_load_b32 v212, off, off offset:404
	scratch_load_b32 v218, off, off offset:408
	scratch_load_b32 v220, off, off offset:412
	scratch_load_b32 v222, off, off offset:416
	scratch_load_b32 v223, off, off offset:428
	scratch_load_b32 v224, off, off offset:432
	scratch_load_b32 v225, off, off offset:436
	scratch_load_b32 v226, off, off offset:444
	scratch_load_b32 v227, off, off offset:448
	scratch_load_b32 v228, off, off offset:452
	scratch_load_b64 v[242:243], off, off
	s_clause 0x1f
	scratch_load_b64 v[244:245], off, off offset:8
	scratch_load_b64 v[229:230], off, off offset:548
	;; [unrolled: 1-line block ×11, first 2 shown]
	scratch_load_b32 v184, off, off offset:456
	scratch_load_b32 v203, off, off offset:460
	;; [unrolled: 1-line block ×21, first 2 shown]
	s_clause 0x1
	scratch_load_b32 v175, off, off offset:132
	scratch_load_b32 v176, off, off offset:240
	v_mad_co_i64_i32 v[62:63], null, v62, s38, 0
	s_branch .LBB19_390
.LBB19_389:                             ;   in Loop: Header=BB19_9 Depth=1
	v_dual_mov_b32 v3, 0 :: v_dual_mov_b32 v234, 0xfeffffff
	v_mov_b32_e32 v233, 0
	s_mov_b64 s[4:5], 0
	s_delay_alu instid0(VALU_DEP_2)
	v_dual_mov_b32 v2, v3 :: v_dual_mov_b32 v1, v3
	v_dual_mov_b32 v0, v3 :: v_dual_mov_b32 v27, v3
	;; [unrolled: 1-line block ×13, first 2 shown]
	v_mov_b32_e32 v4, v3
.LBB19_390:                             ;   in Loop: Header=BB19_9 Depth=1
	scratch_load_b32 v72, off, off offset:28 ; 4-byte Folded Reload
	s_wait_alu 0xfffe
	s_lshl_b64 s[82:83], s[4:5], 1
	v_lshlrev_b64_e32 v[60:61], 1, v[60:61]
	s_wait_alu 0xfffe
	s_add_nc_u64 s[80:81], s[80:81], s[82:83]
	v_lshlrev_b64_e32 v[56:57], 1, v[56:57]
	v_lshlrev_b64_e32 v[62:63], 1, v[62:63]
	;; [unrolled: 1-line block ×4, first 2 shown]
	s_wait_loadcnt 0x37
	v_add_nc_u32_e32 v118, v148, v147
	v_add_nc_u32_e32 v117, v148, v146
	s_wait_loadcnt 0x0
	v_lshlrev_b32_e32 v72, 1, v72
	s_wait_alu 0xfffe
	s_delay_alu instid0(VALU_DEP_1)
	v_add_co_u32 v76, s3, s80, v72
	s_wait_alu 0xf1ff
	v_add_co_ci_u32_e64 v77, null, s81, 0, s3
	s_mul_u64 s[80:81], s[4:5], s[26:27]
	v_add_co_u32 v72, vcc_lo, v76, v60
	s_wait_alu 0xfffd
	v_add_co_ci_u32_e64 v73, null, v77, v61, vcc_lo
	v_add_co_u32 v74, vcc_lo, v76, v56
	s_wait_alu 0xfffd
	v_add_co_ci_u32_e64 v75, null, v77, v57, vcc_lo
	v_lshlrev_b64_e32 v[56:57], 1, v[58:59]
	v_lshlrev_b64_e32 v[58:59], 1, v[70:71]
	;; [unrolled: 1-line block ×3, first 2 shown]
	s_wait_alu 0xfffe
	s_lshl_b64 s[80:81], s[80:81], 2
	s_mul_u64 s[4:5], s[4:5], s[34:35]
	s_wait_alu 0xfffe
	s_add_nc_u64 s[78:79], s[78:79], s[80:81]
	v_add_co_u32 v56, vcc_lo, v76, v56
	s_wait_alu 0xfffd
	v_add_co_ci_u32_e64 v57, null, v77, v57, vcc_lo
	v_add_co_u32 v58, vcc_lo, v76, v58
	s_wait_alu 0xfffd
	v_add_co_ci_u32_e64 v59, null, v77, v59, vcc_lo
	;; [unrolled: 3-line block ×6, first 2 shown]
	s_clause 0x7
	global_load_b32 v68, v[72:73], off
	global_load_b32 v69, v[74:75], off
	;; [unrolled: 1-line block ×8, first 2 shown]
	scratch_load_b32 v62, off, off offset:24 ; 4-byte Folded Reload
	s_lshl_b64 s[4:5], s[4:5], 2
	s_cmp_eq_u64 s[74:75], 0
	s_wait_alu 0xfffe
	s_add_nc_u64 s[4:5], s[76:77], s[4:5]
	s_wait_loadcnt 0x0
	v_add_nc_u32_e32 v62, v219, v62
	s_delay_alu instid0(VALU_DEP_1)
	v_add_nc_u32_e32 v63, 0x3c00, v62
	ds_store_2addr_b32 v63, v68, v69 offset1:144
	v_add_nc_u32_e32 v63, 0x4000, v62
	ds_store_2addr_b32 v63, v56, v57 offset0:32 offset1:176
	v_add_nc_u32_e32 v56, 0x4400, v62
	ds_store_2addr_b32 v56, v58, v59 offset0:64 offset1:208
	;; [unrolled: 2-line block ×3, first 2 shown]
	v_add_co_u32 v56, vcc_lo, s78, v231
	s_wait_alu 0xfffd
	v_add_co_ci_u32_e64 v57, null, s79, v232, vcc_lo
	s_delay_alu instid0(VALU_DEP_2) | instskip(SKIP_1) | instid1(VALU_DEP_2)
	v_add_co_u32 v56, vcc_lo, v56, v159
	s_wait_alu 0xfffd
	v_add_co_ci_u32_e64 v57, null, 0, v57, vcc_lo
	v_add_co_u32 v58, vcc_lo, s78, v200
	s_wait_alu 0xfffd
	v_add_co_ci_u32_e64 v59, null, s79, v201, vcc_lo
	s_delay_alu instid0(VALU_DEP_2) | instskip(SKIP_1) | instid1(VALU_DEP_2)
	v_add_co_u32 v60, vcc_lo, v58, v195
	s_wait_alu 0xfffd
	v_add_co_ci_u32_e64 v61, null, 0, v59, vcc_lo
	s_clause 0x1
	global_load_b128 v[56:59], v[56:57], off offset:192
	global_load_b128 v[60:63], v[60:61], off offset:128
	s_wait_loadcnt 0x1
	ds_store_b128 v204, v[56:59]
	v_add_co_u32 v56, vcc_lo, s78, v189
	s_wait_alu 0xfffd
	v_add_co_ci_u32_e64 v57, null, s79, v190, vcc_lo
	s_delay_alu instid0(VALU_DEP_2) | instskip(SKIP_1) | instid1(VALU_DEP_2)
	v_add_co_u32 v56, vcc_lo, v56, v195
	s_wait_alu 0xfffd
	v_add_co_ci_u32_e64 v57, null, 0, v57, vcc_lo
	v_add_co_u32 v58, vcc_lo, s78, v238
	s_wait_alu 0xfffd
	v_add_co_ci_u32_e64 v59, null, s79, v239, vcc_lo
	s_delay_alu instid0(VALU_DEP_2) | instskip(SKIP_1) | instid1(VALU_DEP_2)
	v_add_co_u32 v64, vcc_lo, v58, v196
	s_wait_alu 0xfffd
	v_add_co_ci_u32_e64 v65, null, 0, v59, vcc_lo
	s_clause 0x1
	global_load_b128 v[56:59], v[56:57], off offset:128
	global_load_b128 v[64:67], v[64:65], off
	s_wait_loadcnt 0x2
	ds_store_b128 v205, v[60:63]
	s_wait_loadcnt 0x1
	ds_store_b128 v206, v[56:59]
	v_add_co_u32 v56, vcc_lo, s78, v248
	s_wait_alu 0xfffd
	v_add_co_ci_u32_e64 v57, null, s79, v249, vcc_lo
	s_delay_alu instid0(VALU_DEP_2) | instskip(SKIP_1) | instid1(VALU_DEP_2)
	v_add_co_u32 v56, vcc_lo, v56, v196
	s_wait_alu 0xfffd
	v_add_co_ci_u32_e64 v57, null, 0, v57, vcc_lo
	v_add_co_u32 v58, vcc_lo, s78, v193
	s_wait_alu 0xfffd
	v_add_co_ci_u32_e64 v59, null, s79, v194, vcc_lo
	s_delay_alu instid0(VALU_DEP_2) | instskip(SKIP_1) | instid1(VALU_DEP_2)
	v_add_co_u32 v60, vcc_lo, v58, v196
	s_wait_alu 0xfffd
	v_add_co_ci_u32_e64 v61, null, 0, v59, vcc_lo
	s_clause 0x1
	global_load_b128 v[56:59], v[56:57], off
	global_load_b128 v[60:63], v[60:61], off
	s_wait_loadcnt 0x2
	ds_store_b128 v207, v[64:67]
	s_wait_loadcnt 0x1
	ds_store_b128 v208, v[56:59]
	v_add_co_u32 v56, vcc_lo, s78, v153
	s_wait_alu 0xfffd
	v_add_co_ci_u32_e64 v57, null, s79, v154, vcc_lo
	s_delay_alu instid0(VALU_DEP_2) | instskip(SKIP_1) | instid1(VALU_DEP_2)
	v_add_co_u32 v56, vcc_lo, v56, v196
	s_wait_alu 0xfffd
	v_add_co_ci_u32_e64 v57, null, 0, v57, vcc_lo
	v_cmp_lt_i32_e32 vcc_lo, v235, v199
	global_load_b128 v[56:59], v[56:57], off
	s_wait_loadcnt 0x1
	ds_store_b128 v209, v[60:63]
	s_wait_loadcnt 0x0
	ds_store_b128 v211, v[56:59]
	s_wait_storecnt_dscnt 0x0
	s_barrier_signal -1
	s_barrier_wait -1
	global_inv scope:SCOPE_SE
	ds_load_b128 v[64:67], v252
	ds_load_b128 v[68:71], v252 offset:32
	ds_load_b128 v[72:75], v252 offset:3840
	;; [unrolled: 1-line block ×9, first 2 shown]
	s_wait_dscnt 0x9
	v_wmma_f32_16x16x16_f16 v[56:63], v[64:67], v[52:55], 0
	s_wait_dscnt 0x8
	s_delay_alu instid0(VALU_DEP_1) | instskip(SKIP_3) | instid1(VALU_DEP_1)
	v_wmma_f32_16x16x16_f16 v[56:63], v[68:71], v[48:51], v[56:63]
	s_wait_dscnt 0x7
	v_wmma_f32_16x16x16_f16 v[64:71], v[72:75], v[52:55], 0
	s_wait_dscnt 0x6
	;; [unrolled: 2-line block ×3, first 2 shown]
	v_wmma_f32_16x16x16_f16 v[72:79], v[80:83], v[52:55], 0
	s_delay_alu instid0(VALU_DEP_2) | instskip(SKIP_1) | instid1(VALU_DEP_2)
	v_wmma_f32_16x16x16_f16 v[64:71], v[92:95], v[44:47], v[64:71]
	s_wait_dscnt 0x2
	v_wmma_f32_16x16x16_f16 v[72:79], v[84:87], v[48:51], v[72:79]
	s_wait_dscnt 0x1
	v_wmma_f32_16x16x16_f16 v[80:87], v[96:99], v[52:55], 0
	ds_load_b128 v[52:55], v252 offset:11552
	ds_load_b128 v[96:99], v252 offset:11584
	s_wait_dscnt 0x1
	v_wmma_f32_16x16x16_f16 v[80:87], v[52:55], v[48:51], v[80:87]
	ds_load_b128 v[48:51], v252 offset:64
	ds_load_b128 v[52:55], v252 offset:96
	s_wait_dscnt 0x2
	v_wmma_f32_16x16x16_f16 v[80:87], v[96:99], v[44:47], v[80:87]
	s_wait_dscnt 0x1
	v_wmma_f32_16x16x16_f16 v[56:63], v[48:51], v[44:47], v[56:63]
	ds_load_b128 v[48:51], v252 offset:7744
	ds_load_b128 v[92:95], v252 offset:7776
	s_wait_dscnt 0x2
	v_wmma_f32_16x16x16_f16 v[56:63], v[52:55], v[40:43], v[56:63]
	s_wait_dscnt 0x1
	v_wmma_f32_16x16x16_f16 v[72:79], v[48:51], v[44:47], v[72:79]
	ds_load_b128 v[44:47], v252 offset:3936
	ds_load_b128 v[48:51], v252 offset:3968
	s_wait_dscnt 0x2
	v_wmma_f32_16x16x16_f16 v[72:79], v[92:95], v[40:43], v[72:79]
	s_wait_dscnt 0x1
	v_wmma_f32_16x16x16_f16 v[64:71], v[44:47], v[40:43], v[64:71]
	ds_load_b128 v[44:47], v252 offset:11616
	ds_load_b128 v[52:55], v252 offset:11648
	s_wait_dscnt 0x2
	v_wmma_f32_16x16x16_f16 v[64:71], v[48:51], v[36:39], v[64:71]
	s_wait_dscnt 0x1
	v_wmma_f32_16x16x16_f16 v[80:87], v[44:47], v[40:43], v[80:87]
	ds_load_b128 v[40:43], v252 offset:128
	ds_load_b128 v[44:47], v252 offset:160
	s_wait_dscnt 0x2
	v_wmma_f32_16x16x16_f16 v[80:87], v[52:55], v[36:39], v[80:87]
	s_wait_dscnt 0x1
	v_wmma_f32_16x16x16_f16 v[56:63], v[40:43], v[36:39], v[56:63]
	ds_load_b128 v[40:43], v252 offset:7808
	ds_load_b128 v[48:51], v252 offset:7840
	s_wait_dscnt 0x2
	v_wmma_f32_16x16x16_f16 v[56:63], v[44:47], v[32:35], v[56:63]
	s_delay_alu instid0(VALU_DEP_1)
	v_wmma_f32_16x16x16_f16 v[56:63], v[88:91], v[28:31], v[56:63]
	s_wait_dscnt 0x1
	v_wmma_f32_16x16x16_f16 v[72:79], v[40:43], v[36:39], v[72:79]
	ds_load_b128 v[36:39], v252 offset:4000
	ds_load_b128 v[40:43], v252 offset:4032
	s_wait_dscnt 0x2
	v_wmma_f32_16x16x16_f16 v[72:79], v[48:51], v[32:35], v[72:79]
	s_delay_alu instid0(VALU_DEP_1)
	v_wmma_f32_16x16x16_f16 v[72:79], v[100:103], v[28:31], v[72:79]
	s_wait_dscnt 0x1
	v_wmma_f32_16x16x16_f16 v[64:71], v[36:39], v[32:35], v[64:71]
	ds_load_b128 v[36:39], v252 offset:11680
	ds_load_b128 v[44:47], v252 offset:11712
	s_wait_loadcnt_dscnt 0x0
	s_barrier_signal -1
	s_barrier_wait -1
	v_wmma_f32_16x16x16_f16 v[64:71], v[40:43], v[28:31], v[64:71]
	global_inv scope:SCOPE_SE
	v_wmma_f32_16x16x16_f16 v[80:87], v[36:39], v[32:35], v[80:87]
	s_delay_alu instid0(VALU_DEP_1) | instskip(SKIP_3) | instid1(VALU_DEP_3)
	v_wmma_f32_16x16x16_f16 v[80:87], v[44:47], v[28:31], v[80:87]
	v_add_nc_u32_e32 v30, 32, v213
	v_add_nc_u32_e32 v28, 0x3c00, v213
	;; [unrolled: 1-line block ×4, first 2 shown]
	ds_load_2addr_b32 v[28:29], v28 offset1:1
	ds_load_2addr_b32 v[36:37], v30 offset1:1
	ds_load_b32 v30, v214 offset:15360
	ds_load_b32 v32, v213 offset:15368
	s_wait_dscnt 0x3
	v_cvt_f32_f16_e32 v31, v28
	v_lshrrev_b32_e32 v28, 16, v28
	v_cvt_f32_f16_e32 v33, v29
	s_wait_dscnt 0x2
	v_cvt_f32_f16_e32 v44, v36
	v_lshrrev_b32_e32 v45, 16, v36
	v_add_nc_u32_e32 v36, 40, v213
	v_lshrrev_b32_e32 v29, 16, v29
	v_cvt_f32_f16_e32 v38, v28
	v_cvt_f32_f16_e32 v46, v37
	v_lshrrev_b32_e32 v47, 16, v37
	v_add_nc_u32_e32 v36, 0x3c00, v36
	v_cvt_f32_f16_e32 v39, v29
	s_wait_dscnt 0x1
	v_lshrrev_b32_e32 v35, 16, v30
	v_add_f32_e32 v29, v58, v33
	v_cvt_f32_f16_e32 v30, v30
	ds_load_2addr_b32 v[36:37], v36 offset1:1
	s_wait_dscnt 0x1
	v_cvt_f32_f16_e32 v34, v32
	v_lshrrev_b32_e32 v32, 16, v32
	v_add_f32_e32 v33, v59, v39
	v_add_nc_u32_e32 v39, 0x48, v213
	v_cvt_f32_f16_e32 v41, v35
	v_add_f32_e32 v35, v60, v34
	v_cvt_f32_f16_e32 v40, v32
	v_add_f32_e32 v32, v57, v38
	v_add_nc_u32_e32 v38, 64, v213
	v_dual_add_f32 v28, v56, v31 :: v_dual_add_f32 v31, v62, v30
	v_add_f32_e32 v30, v63, v41
	v_add_f32_e32 v34, v61, v40
	s_delay_alu instid0(VALU_DEP_4)
	v_add_nc_u32_e32 v38, 0x3c00, v38
	v_add_nc_u32_e32 v40, 0x3c00, v39
	ds_load_2addr_b32 v[38:39], v38 offset1:1
	ds_load_2addr_b32 v[40:41], v40 offset1:1
	;; [unrolled: 1-line block ×3, first 2 shown]
	s_wait_dscnt 0x3
	v_cvt_f32_f16_e32 v48, v36
	v_lshrrev_b32_e32 v36, 16, v36
	v_lshrrev_b32_e32 v49, 16, v37
	v_cvt_f32_f16_e32 v37, v37
	v_add_f32_e32 v50, v64, v44
	v_cvt_f32_f16_e32 v45, v45
	v_cvt_f32_f16_e32 v36, v36
	;; [unrolled: 1-line block ×3, first 2 shown]
	v_add_f32_e32 v63, v70, v37
	v_cvt_f32_f16_e32 v49, v49
	v_add_f32_e32 v55, v65, v45
	s_delay_alu instid0(VALU_DEP_4) | instskip(NEXT) | instid1(VALU_DEP_3)
	v_dual_add_f32 v64, v69, v36 :: v_dual_add_f32 v59, v67, v47
	v_dual_add_f32 v67, v68, v48 :: v_dual_add_f32 v60, v71, v49
	s_wait_dscnt 0x2
	v_cvt_f32_f16_e32 v36, v38
	v_lshrrev_b32_e32 v37, 16, v38
	v_cvt_f32_f16_e32 v38, v39
	v_lshrrev_b32_e32 v39, 16, v39
	s_wait_dscnt 0x1
	v_cvt_f32_f16_e32 v44, v40
	v_lshrrev_b32_e32 v40, 16, v40
	v_lshrrev_b32_e32 v45, 16, v41
	v_add_f32_e32 v51, v74, v38
	v_cvt_f32_f16_e32 v39, v39
	v_add_nc_u32_e32 v38, 0x3c00, v253
	v_cvt_f32_f16_e32 v40, v40
	v_add_f32_e32 v107, v76, v44
	v_cvt_f32_f16_e32 v45, v45
	v_add_f32_e32 v52, v75, v39
	ds_load_2addr_b32 v[38:39], v38 offset1:1
	v_add_f32_e32 v106, v77, v40
	s_wait_dscnt 0x1
	v_lshrrev_b32_e32 v40, 16, v42
	v_add_f32_e32 v96, v79, v45
	s_wait_dscnt 0x0
	v_cvt_f32_f16_e32 v44, v38
	v_lshrrev_b32_e32 v38, 16, v38
	v_lshrrev_b32_e32 v45, 16, v39
	s_delay_alu instid0(VALU_DEP_3) | instskip(NEXT) | instid1(VALU_DEP_3)
	v_add_f32_e32 v104, v84, v44
	v_cvt_f32_f16_e32 v47, v38
	v_add_f32_e32 v56, v66, v46
	v_cvt_f32_f16_e32 v46, v41
	v_cvt_f32_f16_e32 v41, v37
	v_add_f32_e32 v37, v72, v36
	v_cvt_f32_f16_e32 v36, v42
	v_cvt_f32_f16_e32 v42, v43
	v_lshrrev_b32_e32 v43, 16, v43
	v_add_f32_e32 v105, v78, v46
	v_cvt_f32_f16_e32 v46, v39
	v_cvt_f32_f16_e32 v39, v40
	v_add_f32_e32 v38, v80, v36
	v_cvt_f32_f16_e32 v40, v43
	v_add_f32_e32 v36, 0x40051340, v28
	s_delay_alu instid0(VALU_DEP_4) | instskip(SKIP_1) | instid1(VALU_DEP_4)
	v_dual_add_f32 v44, 0x40051340, v33 :: v_dual_add_f32 v39, v81, v39
	v_cvt_f32_f16_e32 v45, v45
	v_add_f32_e32 v43, v83, v40
	v_dual_add_f32 v40, 0x40051340, v32 :: v_dual_add_f32 v103, v85, v47
	v_add_f32_e32 v41, v73, v41
	s_delay_alu instid0(VALU_DEP_4) | instskip(NEXT) | instid1(VALU_DEP_3)
	v_dual_add_f32 v97, v87, v45 :: v_dual_add_f32 v42, v82, v42
	v_max3_num_f32 v36, v234, v36, v40
	v_add_f32_e32 v40, 0x40051340, v29
	v_add_f32_e32 v102, v86, v46
	s_delay_alu instid0(VALU_DEP_2) | instskip(SKIP_2) | instid1(VALU_DEP_1)
	v_max3_num_f32 v36, v36, v40, v44
	v_add_f32_e32 v40, 0x40051340, v35
	v_add_f32_e32 v44, 0x40051340, v34
	v_max3_num_f32 v36, v36, v40, v44
	v_add_f32_e32 v40, 0x40051340, v31
	v_add_f32_e32 v44, 0x40051340, v30
	s_delay_alu instid0(VALU_DEP_1) | instskip(SKIP_2) | instid1(VALU_DEP_1)
	v_max3_num_f32 v36, v36, v40, v44
	v_add_f32_e32 v40, 0x40051340, v50
	v_add_f32_e32 v44, 0x40051340, v55
	v_max3_num_f32 v36, v36, v40, v44
	v_add_f32_e32 v40, 0x40051340, v56
	v_add_f32_e32 v44, 0x40051340, v59
	s_delay_alu instid0(VALU_DEP_1) | instskip(SKIP_2) | instid1(VALU_DEP_1)
	;; [unrolled: 7-line block ×6, first 2 shown]
	v_max3_num_f32 v36, v36, v40, v44
	v_add_f32_e32 v40, 0x40051340, v104
	v_add_f32_e32 v44, 0x40051340, v103
	v_max3_num_f32 v36, v36, v40, v44
	v_add_f32_e32 v40, 0x40051340, v102
	v_add_f32_e32 v44, 0x40051340, v97
	s_delay_alu instid0(VALU_DEP_1) | instskip(SKIP_4) | instid1(VALU_DEP_1)
	v_max3_num_f32 v36, v36, v40, v44
	scratch_load_b32 v40, off, off offset:16 ; 4-byte Folded Reload
	s_wait_loadcnt 0x0
	s_wait_alu 0xfffd
	v_cndmask_b32_e32 v40, v40, v235, vcc_lo
	v_lshlrev_b32_e32 v101, 2, v40
	ds_bpermute_b32 v40, v101, v36
	s_wait_dscnt 0x0
	v_max_num_f32_e32 v40, v40, v40
	s_delay_alu instid0(VALU_DEP_1) | instskip(NEXT) | instid1(VALU_DEP_1)
	v_max_num_f32_e32 v100, v36, v40
	v_sub_f32_e32 v36, v234, v100
	v_sub_f32_e32 v35, v35, v100
	;; [unrolled: 1-line block ×5, first 2 shown]
	v_mul_f32_e32 v40, 0x3fb8aa3b, v36
	v_cmp_ngt_f32_e32 vcc_lo, 0xc2ce8ed0, v36
	v_sub_f32_e32 v33, v33, v100
	v_cmp_ngt_f32_e64 s3, 0xc2ce8ed0, v31
	v_sub_f32_e32 v29, v29, v100
	v_fma_f32 v44, 0x3fb8aa3b, v36, -v40
	v_rndne_f32_e32 v45, v40
	s_delay_alu instid0(VALU_DEP_2) | instskip(NEXT) | instid1(VALU_DEP_2)
	v_fmac_f32_e32 v44, 0x32a5705f, v36
	v_sub_f32_e32 v40, v40, v45
	s_delay_alu instid0(VALU_DEP_1) | instskip(SKIP_1) | instid1(VALU_DEP_2)
	v_add_f32_e32 v40, v40, v44
	v_cvt_i32_f32_e32 v44, v45
	v_exp_f32_e32 v40, v40
	s_delay_alu instid0(TRANS32_DEP_1) | instskip(SKIP_1) | instid1(VALU_DEP_1)
	v_ldexp_f32 v40, v40, v44
	s_wait_alu 0xfffd
	v_cndmask_b32_e32 v40, 0, v40, vcc_lo
	v_cmp_nlt_f32_e32 vcc_lo, 0x42b17218, v36
	s_wait_alu 0xfffd
	s_delay_alu instid0(VALU_DEP_2) | instskip(SKIP_2) | instid1(VALU_DEP_2)
	v_cndmask_b32_e32 v40, 0x7f800000, v40, vcc_lo
	v_cmp_le_f32_e32 vcc_lo, 0xc1a00000, v36
	s_wait_alu 0xfffd
	v_cndmask_b32_e32 v108, 0, v40, vcc_lo
	s_delay_alu instid0(VALU_DEP_1) | instskip(NEXT) | instid1(VALU_DEP_1)
	v_cvt_f16_f32_e32 v36, v108
	v_and_b32_e32 v36, 0xffff, v36
	s_delay_alu instid0(VALU_DEP_1) | instskip(NEXT) | instid1(VALU_DEP_1)
	v_mul_u32_u24_e32 v36, 0x10001, v36
	v_pk_mul_f16 v24, v24, v36
	v_pk_mul_f16 v25, v25, v36
	;; [unrolled: 1-line block ×28, first 2 shown]
	s_wait_alu 0xfffe
	v_add_co_u32 v36, vcc_lo, s4, v242
	s_wait_alu 0xfffd
	v_add_co_ci_u32_e64 v40, null, s5, v243, vcc_lo
	s_delay_alu instid0(VALU_DEP_2) | instskip(SKIP_1) | instid1(VALU_DEP_2)
	v_add_co_u32 v44, vcc_lo, v36, v159
	s_wait_alu 0xfffd
	v_add_co_ci_u32_e64 v45, null, 0, v40, vcc_lo
	v_add_co_u32 v36, vcc_lo, s4, v244
	s_wait_alu 0xfffd
	v_add_co_ci_u32_e64 v40, null, s5, v245, vcc_lo
	s_delay_alu instid0(VALU_DEP_2) | instskip(SKIP_1) | instid1(VALU_DEP_2)
	v_add_co_u32 v48, vcc_lo, v36, v195
	s_wait_alu 0xfffd
	v_add_co_ci_u32_e64 v49, null, 0, v40, vcc_lo
	s_clause 0x1
	global_load_b128 v[44:47], v[44:45], off offset:192
	global_load_b128 v[68:71], v[48:49], off offset:128
	v_add_co_u32 v36, vcc_lo, s4, v229
	s_wait_alu 0xfffd
	v_add_co_ci_u32_e64 v40, null, s5, v230, vcc_lo
	s_wait_loadcnt 0x1
	ds_store_b128 v204, v[44:47]
	v_add_co_u32 v44, vcc_lo, v36, v195
	s_wait_alu 0xfffd
	v_add_co_ci_u32_e64 v45, null, 0, v40, vcc_lo
	v_add_co_u32 v36, vcc_lo, s4, v151
	s_wait_alu 0xfffd
	v_add_co_ci_u32_e64 v40, null, s5, v152, vcc_lo
	s_delay_alu instid0(VALU_DEP_2) | instskip(SKIP_1) | instid1(VALU_DEP_2)
	v_add_co_u32 v48, vcc_lo, v36, v196
	s_wait_alu 0xfffd
	v_add_co_ci_u32_e64 v49, null, 0, v40, vcc_lo
	s_clause 0x1
	global_load_b128 v[44:47], v[44:45], off offset:128
	global_load_b128 v[72:75], v[48:49], off
	v_add_co_u32 v36, vcc_lo, s4, v177
	s_wait_alu 0xfffd
	v_add_co_ci_u32_e64 v40, null, s5, v178, vcc_lo
	s_wait_loadcnt 0x2
	ds_store_b128 v205, v[68:71]
	s_wait_loadcnt 0x1
	ds_store_b128 v206, v[44:47]
	v_add_co_u32 v44, vcc_lo, v36, v196
	s_wait_alu 0xfffd
	v_add_co_ci_u32_e64 v45, null, 0, v40, vcc_lo
	v_add_co_u32 v36, vcc_lo, s4, v246
	s_wait_alu 0xfffd
	v_add_co_ci_u32_e64 v40, null, s5, v247, vcc_lo
	s_delay_alu instid0(VALU_DEP_2) | instskip(SKIP_1) | instid1(VALU_DEP_2)
	v_add_co_u32 v48, vcc_lo, v36, v196
	s_wait_alu 0xfffd
	v_add_co_ci_u32_e64 v49, null, 0, v40, vcc_lo
	s_clause 0x1
	global_load_b128 v[44:47], v[44:45], off
	global_load_b128 v[68:71], v[48:49], off
	v_add_co_u32 v36, vcc_lo, s4, v236
	s_wait_alu 0xfffd
	v_add_co_ci_u32_e64 v40, null, s5, v237, vcc_lo
	v_cmp_ngt_f32_e64 s4, 0xc2ce8ed0, v30
	v_cmp_ngt_f32_e64 s5, 0xc2ce8ed0, v35
	s_wait_loadcnt 0x2
	ds_store_b128 v207, v[72:75]
	s_wait_loadcnt 0x1
	ds_store_b128 v208, v[44:47]
	v_add_co_u32 v44, vcc_lo, v36, v196
	s_wait_alu 0xfffd
	v_add_co_ci_u32_e64 v45, null, 0, v40, vcc_lo
	v_mul_f32_e32 v36, 0x3fb8aa3b, v35
	v_cmp_ngt_f32_e32 vcc_lo, 0xc2ce8ed0, v34
	global_load_b128 v[44:47], v[44:45], off
	s_wait_loadcnt 0x1
	ds_store_b128 v209, v[68:71]
	s_wait_loadcnt 0x0
	ds_store_b128 v211, v[44:47]
	v_fma_f32 v40, 0x3fb8aa3b, v35, -v36
	v_rndne_f32_e32 v44, v36
	s_wait_dscnt 0x0
	s_barrier_signal -1
	s_barrier_wait -1
	v_fmac_f32_e32 v40, 0x32a5705f, v35
	v_sub_f32_e32 v36, v36, v44
	v_cvt_i32_f32_e32 v44, v44
	global_inv scope:SCOPE_SE
	v_add_f32_e32 v36, v36, v40
	v_mul_f32_e32 v40, 0x3fb8aa3b, v34
	s_delay_alu instid0(VALU_DEP_2) | instskip(NEXT) | instid1(VALU_DEP_1)
	v_exp_f32_e32 v36, v36
	v_fma_f32 v45, 0x3fb8aa3b, v34, -v40
	v_rndne_f32_e32 v46, v40
	s_delay_alu instid0(VALU_DEP_2) | instskip(NEXT) | instid1(VALU_DEP_2)
	v_fmac_f32_e32 v45, 0x32a5705f, v34
	v_sub_f32_e32 v40, v40, v46
	s_delay_alu instid0(TRANS32_DEP_1) | instskip(SKIP_1) | instid1(VALU_DEP_3)
	v_ldexp_f32 v36, v36, v44
	v_cvt_i32_f32_e32 v44, v46
	v_dual_add_f32 v40, v40, v45 :: v_dual_mul_f32 v45, 0x3fb8aa3b, v31
	s_delay_alu instid0(VALU_DEP_1) | instskip(NEXT) | instid1(VALU_DEP_1)
	v_exp_f32_e32 v40, v40
	v_fma_f32 v47, 0x3fb8aa3b, v31, -v45
	v_rndne_f32_e32 v48, v45
	s_delay_alu instid0(VALU_DEP_2) | instskip(NEXT) | instid1(VALU_DEP_2)
	v_fmac_f32_e32 v47, 0x32a5705f, v31
	v_sub_f32_e32 v45, v45, v48
	s_delay_alu instid0(TRANS32_DEP_1) | instskip(NEXT) | instid1(VALU_DEP_2)
	v_ldexp_f32 v40, v40, v44
	v_add_f32_e32 v45, v45, v47
	s_wait_alu 0xfffd
	s_delay_alu instid0(VALU_DEP_2) | instskip(SKIP_1) | instid1(VALU_DEP_3)
	v_dual_mul_f32 v47, 0x3fb8aa3b, v30 :: v_dual_cndmask_b32 v40, 0, v40
	v_cmp_nlt_f32_e32 vcc_lo, 0x42b17218, v34
	v_exp_f32_e32 v44, v45
	s_delay_alu instid0(VALU_DEP_2)
	v_fma_f32 v49, 0x3fb8aa3b, v30, -v47
	v_rndne_f32_e32 v53, v47
	v_cvt_i32_f32_e32 v45, v48
	s_wait_alu 0xfffd
	v_cndmask_b32_e32 v112, 0x7f800000, v40, vcc_lo
	v_cmp_ngt_f32_e32 vcc_lo, 0xc2ce8ed0, v33
	v_fmac_f32_e32 v49, 0x32a5705f, v30
	v_sub_f32_e32 v47, v47, v53
	v_cvt_i32_f32_e32 v46, v53
	v_ldexp_f32 v44, v44, v45
	s_delay_alu instid0(VALU_DEP_3) | instskip(SKIP_1) | instid1(VALU_DEP_2)
	v_add_f32_e32 v47, v47, v49
	s_wait_alu 0xf1ff
	v_cndmask_b32_e64 v34, 0, v44, s3
	v_cmp_nlt_f32_e64 s3, 0x42b17218, v31
	s_delay_alu instid0(VALU_DEP_3) | instskip(SKIP_1) | instid1(VALU_DEP_1)
	v_exp_f32_e32 v45, v47
	s_wait_alu 0xf1ff
	v_cndmask_b32_e64 v109, 0x7f800000, v34, s3
	v_cmp_ngt_f32_e64 s3, 0xc2ce8ed0, v29
	s_delay_alu instid0(TRANS32_DEP_1) | instskip(NEXT) | instid1(VALU_DEP_1)
	v_ldexp_f32 v45, v45, v46
	v_cndmask_b32_e64 v31, 0, v45, s4
	v_cmp_nlt_f32_e64 s4, 0x42b17218, v30
	v_cndmask_b32_e64 v30, 0, v36, s5
	v_cmp_nlt_f32_e64 s5, 0x42b17218, v35
	v_cvt_f16_f32_e32 v35, v112
	s_wait_alu 0xf1ff
	v_cndmask_b32_e64 v110, 0x7f800000, v31, s4
	v_cvt_f16_f32_e32 v31, v109
	v_cndmask_b32_e64 v111, 0x7f800000, v30, s5
	s_delay_alu instid0(VALU_DEP_3) | instskip(NEXT) | instid1(VALU_DEP_2)
	v_cvt_f16_f32_e32 v34, v110
	v_cvt_f16_f32_e32 v30, v111
	s_delay_alu instid0(VALU_DEP_2) | instskip(SKIP_1) | instid1(VALU_DEP_3)
	v_pack_b32_f16 v31, v31, v34
	v_mul_f32_e32 v34, 0x3fb8aa3b, v33
	v_pack_b32_f16 v30, v30, v35
	s_delay_alu instid0(VALU_DEP_2) | instskip(SKIP_1) | instid1(VALU_DEP_1)
	v_fma_f32 v35, 0x3fb8aa3b, v33, -v34
	v_rndne_f32_e32 v36, v34
	v_dual_fmac_f32 v35, 0x32a5705f, v33 :: v_dual_sub_f32 v34, v34, v36
	v_cvt_i32_f32_e32 v36, v36
	s_delay_alu instid0(VALU_DEP_2) | instskip(SKIP_2) | instid1(VALU_DEP_3)
	v_dual_add_f32 v34, v34, v35 :: v_dual_mul_f32 v35, 0x3fb8aa3b, v29
	v_sub_f32_e32 v32, v32, v100
	v_sub_f32_e32 v28, v28, v100
	v_exp_f32_e32 v34, v34
	s_delay_alu instid0(VALU_DEP_3) | instskip(SKIP_1) | instid1(VALU_DEP_1)
	v_fma_f32 v40, 0x3fb8aa3b, v29, -v35
	v_rndne_f32_e32 v44, v35
	v_dual_fmac_f32 v40, 0x32a5705f, v29 :: v_dual_sub_f32 v35, v35, v44
	s_delay_alu instid0(TRANS32_DEP_1) | instskip(SKIP_2) | instid1(VALU_DEP_2)
	v_ldexp_f32 v34, v34, v36
	v_cvt_i32_f32_e32 v36, v44
	s_wait_alu 0xfffd
	v_dual_add_f32 v35, v35, v40 :: v_dual_cndmask_b32 v34, 0, v34
	v_cmp_nlt_f32_e32 vcc_lo, 0x42b17218, v33
	s_delay_alu instid0(VALU_DEP_2) | instskip(SKIP_1) | instid1(VALU_DEP_2)
	v_exp_f32_e32 v35, v35
	s_wait_alu 0xfffd
	v_cndmask_b32_e32 v114, 0x7f800000, v34, vcc_lo
	v_cmp_ngt_f32_e32 vcc_lo, 0xc2ce8ed0, v32
	s_delay_alu instid0(TRANS32_DEP_1) | instskip(NEXT) | instid1(VALU_DEP_1)
	v_ldexp_f32 v35, v35, v36
	v_cndmask_b32_e64 v33, 0, v35, s3
	v_cmp_nlt_f32_e64 s3, 0x42b17218, v29
	s_wait_alu 0xf1ff
	s_delay_alu instid0(VALU_DEP_1) | instskip(SKIP_2) | instid1(VALU_DEP_3)
	v_cndmask_b32_e64 v113, 0x7f800000, v33, s3
	v_cvt_f16_f32_e32 v33, v114
	v_cmp_ngt_f32_e64 s3, 0xc2ce8ed0, v28
	v_cvt_f16_f32_e32 v29, v113
	s_delay_alu instid0(VALU_DEP_1) | instskip(SKIP_1) | instid1(VALU_DEP_1)
	v_pack_b32_f16 v29, v29, v33
	v_mul_f32_e32 v33, 0x3fb8aa3b, v32
	v_fma_f32 v34, 0x3fb8aa3b, v32, -v33
	v_rndne_f32_e32 v35, v33
	s_delay_alu instid0(VALU_DEP_1) | instskip(SKIP_1) | instid1(VALU_DEP_2)
	v_dual_fmac_f32 v34, 0x32a5705f, v32 :: v_dual_sub_f32 v33, v33, v35
	v_cvt_i32_f32_e32 v35, v35
	v_dual_add_f32 v33, v33, v34 :: v_dual_mul_f32 v34, 0x3fb8aa3b, v28
	s_delay_alu instid0(VALU_DEP_1) | instskip(NEXT) | instid1(VALU_DEP_1)
	v_exp_f32_e32 v33, v33
	v_fma_f32 v36, 0x3fb8aa3b, v28, -v34
	v_rndne_f32_e32 v40, v34
	s_delay_alu instid0(VALU_DEP_2) | instskip(NEXT) | instid1(VALU_DEP_2)
	v_fmac_f32_e32 v36, 0x32a5705f, v28
	v_sub_f32_e32 v34, v34, v40
	s_delay_alu instid0(TRANS32_DEP_1) | instskip(SKIP_2) | instid1(VALU_DEP_2)
	v_ldexp_f32 v33, v33, v35
	v_cvt_i32_f32_e32 v35, v40
	s_wait_alu 0xfffd
	v_dual_add_f32 v34, v34, v36 :: v_dual_cndmask_b32 v33, 0, v33
	v_cmp_nlt_f32_e32 vcc_lo, 0x42b17218, v32
	s_delay_alu instid0(VALU_DEP_2) | instskip(SKIP_1) | instid1(VALU_DEP_2)
	v_exp_f32_e32 v34, v34
	s_wait_alu 0xfffd
	v_cndmask_b32_e32 v116, 0x7f800000, v33, vcc_lo
	s_delay_alu instid0(TRANS32_DEP_1) | instskip(SKIP_1) | instid1(VALU_DEP_1)
	v_ldexp_f32 v34, v34, v35
	s_wait_alu 0xf1ff
	v_cndmask_b32_e64 v32, 0, v34, s3
	v_cmp_nlt_f32_e64 s3, 0x42b17218, v28
	s_wait_alu 0xf1ff
	s_delay_alu instid0(VALU_DEP_1) | instskip(SKIP_1) | instid1(VALU_DEP_2)
	v_cndmask_b32_e64 v115, 0x7f800000, v32, s3
	v_cvt_f16_f32_e32 v32, v116
	v_cvt_f16_f32_e32 v28, v115
	s_delay_alu instid0(VALU_DEP_1)
	v_pack_b32_f16 v28, v28, v32
	ds_load_u16 v35, v117 offset:128
	ds_load_u16 v32, v215 offset:128
	;; [unrolled: 1-line block ×7, first 2 shown]
	s_wait_dscnt 0x4
	ds_load_u16_d16_hi v46, v215 offset:720
	ds_load_u16 v89, v215 offset:640
	ds_load_u16 v34, v215 offset:1088
	;; [unrolled: 1-line block ×8, first 2 shown]
	ds_load_u16_d16_hi v32, v215 offset:368
	ds_load_u16 v87, v215 offset:512
	s_wait_dscnt 0xe
	ds_load_u16_d16_hi v88, v215 offset:400
	ds_load_u16_d16_hi v35, v118 offset:128
	s_wait_dscnt 0xf
	ds_load_u16_d16_hi v91, v118 offset:160
	s_wait_dscnt 0x8
	;; [unrolled: 2-line block ×3, first 2 shown]
	ds_load_u16_d16_hi v57, v118 offset:3840
	ds_load_u16 v83, v215 offset:576
	ds_load_u16 v84, v215 offset:1056
	ds_load_u16_d16_hi v33, v215 offset:848
	ds_load_u16_d16_hi v89, v215 offset:880
	ds_load_u16 v92, v215 offset:1024
	s_wait_dscnt 0x0
	ds_load_u16_d16_hi v92, v215 offset:1264
	ds_load_u16_d16_hi v84, v215 offset:1296
	ds_load_u16 v54, v215 offset:3840
	ds_load_u16_d16_hi v47, v215 offset:1200
	ds_load_u16_d16_hi v34, v215 offset:1328
	;; [unrolled: 1-line block ×3, first 2 shown]
	ds_load_u16 v69, v117 offset:3872
	ds_load_u16 v65, v117 offset:3904
	;; [unrolled: 1-line block ×8, first 2 shown]
	s_wait_dscnt 0x7
	ds_load_u16_d16_hi v69, v118 offset:3872
	s_wait_dscnt 0x7
	ds_load_u16_d16_hi v65, v118 offset:3904
	;; [unrolled: 2-line block ×4, first 2 shown]
	ds_load_u16_d16_hi v82, v215 offset:336
	ds_load_u16_d16_hi v121, v215 offset:1392
	ds_load_u16 v66, v215 offset:3872
	ds_load_u16 v62, v215 offset:3904
	;; [unrolled: 1-line block ×5, first 2 shown]
	ds_load_u16_d16_hi v83, v215 offset:816
	ds_load_u16 v119, v215 offset:192
	ds_load_u16 v120, v215 offset:672
	v_wmma_f16_16x16x16_f16 v[4:7], v[88:91], v[28:31], v[4:7]
	s_wait_dscnt 0x1
	ds_load_u16_d16_hi v119, v215 offset:432
	s_wait_dscnt 0x1
	ds_load_u16_d16_hi v120, v215 offset:912
	ds_load_u16 v45, v215
	ds_load_u16 v86, v215 offset:32
	ds_load_u16 v90, v215 offset:64
	;; [unrolled: 1-line block ×4, first 2 shown]
	v_wmma_f16_16x16x16_f16 v[8:11], v[32:35], v[28:31], v[8:11]
	s_wait_dscnt 0x4
	ds_load_u16_d16_hi v45, v215 offset:240
	s_wait_dscnt 0x4
	ds_load_u16_d16_hi v86, v215 offset:272
	;; [unrolled: 2-line block ×3, first 2 shown]
	ds_load_u16 v48, v117
	ds_load_u16 v44, v215 offset:12544
	ds_load_u16 v40, v215 offset:12576
	ds_load_u16 v36, v215 offset:12608
	ds_load_u16 v32, v215 offset:12640
	s_wait_dscnt 0x3
	ds_load_u16_d16_hi v44, v215 offset:12784
	s_wait_dscnt 0x3
	ds_load_u16_d16_hi v40, v215 offset:12816
	;; [unrolled: 2-line block ×4, first 2 shown]
	ds_load_u16_d16_hi v48, v118
	ds_load_u16 v98, v215 offset:12480
	s_wait_dscnt 0x0
	ds_load_u16_d16_hi v98, v215 offset:12720
	ds_load_u16 v94, v215 offset:12672
	s_wait_dscnt 0x0
	ds_load_u16_d16_hi v94, v215 offset:12912
	ds_load_u16_d16_hi v89, v118 offset:32
	;; [unrolled: 1-line block ×4, first 2 shown]
	ds_load_u16 v95, v117 offset:11712
	ds_load_u16 v88, v215 offset:992
	ds_load_u16_d16_hi v87, v215 offset:752
	ds_load_u16 v91, v215 offset:544
	v_wmma_f16_16x16x16_f16 v[0:3], v[119:122], v[28:31], v[0:3]
	v_wmma_f16_16x16x16_f16 v[24:27], v[45:48], v[28:31], v[24:27]
	s_wait_dscnt 0x4
	v_wmma_f16_16x16x16_f16 v[12:15], v[82:85], v[28:31], v[12:15]
	s_wait_dscnt 0x2
	ds_load_u16_d16_hi v88, v215 offset:1232
	s_wait_dscnt 0x1
	ds_load_u16_d16_hi v91, v215 offset:784
	s_wait_dscnt 0x1
	v_wmma_f16_16x16x16_f16 v[20:23], v[86:89], v[28:31], v[20:23]
	s_wait_dscnt 0x0
	v_wmma_f16_16x16x16_f16 v[16:19], v[90:93], v[28:31], v[16:19]
	v_sub_f32_e32 v28, v67, v100
	s_delay_alu instid0(VALU_DEP_1) | instskip(SKIP_1) | instid1(VALU_DEP_2)
	v_mul_f32_e32 v29, 0x3fb8aa3b, v28
	v_cmp_ngt_f32_e64 s5, 0xc2ce8ed0, v28
	v_fma_f32 v30, 0x3fb8aa3b, v28, -v29
	v_rndne_f32_e32 v31, v29
	s_delay_alu instid0(VALU_DEP_1) | instskip(SKIP_1) | instid1(VALU_DEP_2)
	v_dual_fmac_f32 v30, 0x32a5705f, v28 :: v_dual_sub_f32 v29, v29, v31
	v_cvt_i32_f32_e32 v31, v31
	v_dual_add_f32 v29, v29, v30 :: v_dual_sub_f32 v30, v64, v100
	s_delay_alu instid0(VALU_DEP_1) | instskip(NEXT) | instid1(VALU_DEP_1)
	v_exp_f32_e32 v29, v29
	v_mul_f32_e32 v33, 0x3fb8aa3b, v30
	v_cmp_ngt_f32_e32 vcc_lo, 0xc2ce8ed0, v30
	s_delay_alu instid0(VALU_DEP_2) | instskip(SKIP_1) | instid1(TRANS32_DEP_1)
	v_fma_f32 v34, 0x3fb8aa3b, v30, -v33
	v_rndne_f32_e32 v35, v33
	v_ldexp_f32 v29, v29, v31
	s_delay_alu instid0(VALU_DEP_2) | instskip(SKIP_1) | instid1(VALU_DEP_2)
	v_dual_fmac_f32 v34, 0x32a5705f, v30 :: v_dual_sub_f32 v33, v33, v35
	s_wait_alu 0xf1ff
	v_cndmask_b32_e64 v29, 0, v29, s5
	v_cmp_nlt_f32_e64 s5, 0x42b17218, v28
	s_delay_alu instid0(VALU_DEP_3) | instskip(SKIP_1) | instid1(VALU_DEP_2)
	v_dual_add_f32 v33, v33, v34 :: v_dual_sub_f32 v34, v63, v100
	s_wait_alu 0xf1ff
	v_cndmask_b32_e64 v123, 0x7f800000, v29, s5
	s_delay_alu instid0(VALU_DEP_2) | instskip(NEXT) | instid1(VALU_DEP_2)
	v_exp_f32_e32 v31, v33
	v_mul_f32_e32 v45, 0x3fb8aa3b, v34
	v_cvt_i32_f32_e32 v33, v35
	v_cmp_ngt_f32_e64 s3, 0xc2ce8ed0, v34
	v_cvt_f16_f32_e32 v28, v123
	s_delay_alu instid0(VALU_DEP_4) | instskip(SKIP_1) | instid1(TRANS32_DEP_1)
	v_fma_f32 v46, 0x3fb8aa3b, v34, -v45
	v_rndne_f32_e32 v47, v45
	v_ldexp_f32 v31, v31, v33
	s_delay_alu instid0(VALU_DEP_2) | instskip(SKIP_2) | instid1(VALU_DEP_3)
	v_dual_fmac_f32 v46, 0x32a5705f, v34 :: v_dual_sub_f32 v45, v45, v47
	v_cvt_i32_f32_e32 v35, v47
	s_wait_alu 0xfffd
	v_cndmask_b32_e32 v31, 0, v31, vcc_lo
	v_cmp_nlt_f32_e32 vcc_lo, 0x42b17218, v30
	v_dual_add_f32 v45, v45, v46 :: v_dual_sub_f32 v46, v60, v100
	s_wait_alu 0xfffd
	s_delay_alu instid0(VALU_DEP_3) | instskip(NEXT) | instid1(VALU_DEP_2)
	v_cndmask_b32_e32 v126, 0x7f800000, v31, vcc_lo
	v_exp_f32_e32 v33, v45
	s_delay_alu instid0(VALU_DEP_2) | instskip(SKIP_1) | instid1(VALU_DEP_2)
	v_mul_f32_e32 v48, 0x3fb8aa3b, v46
	v_cmp_ngt_f32_e64 s4, 0xc2ce8ed0, v46
	v_fma_f32 v60, 0x3fb8aa3b, v46, -v48
	v_rndne_f32_e32 v63, v48
	s_delay_alu instid0(TRANS32_DEP_1) | instskip(NEXT) | instid1(VALU_DEP_3)
	v_ldexp_f32 v33, v33, v35
	v_fmac_f32_e32 v60, 0x32a5705f, v46
	s_delay_alu instid0(VALU_DEP_3)
	v_sub_f32_e32 v48, v48, v63
	v_cvt_i32_f32_e32 v45, v63
	s_wait_alu 0xf1ff
	v_cndmask_b32_e64 v30, 0, v33, s3
	v_cmp_nlt_f32_e64 s3, 0x42b17218, v34
	v_add_f32_e32 v48, v48, v60
	s_wait_alu 0xf1ff
	s_delay_alu instid0(VALU_DEP_2) | instskip(NEXT) | instid1(VALU_DEP_2)
	v_cndmask_b32_e64 v124, 0x7f800000, v30, s3
	v_exp_f32_e32 v35, v48
	s_delay_alu instid0(VALU_DEP_1) | instskip(NEXT) | instid1(TRANS32_DEP_1)
	v_cvt_f16_f32_e32 v29, v124
	v_ldexp_f32 v35, v35, v45
	s_delay_alu instid0(VALU_DEP_1) | instskip(SKIP_2) | instid1(VALU_DEP_1)
	v_cndmask_b32_e64 v33, 0, v35, s4
	v_cmp_nlt_f32_e64 s4, 0x42b17218, v46
	s_wait_alu 0xf1ff
	v_cndmask_b32_e64 v125, 0x7f800000, v33, s4
	v_cvt_f16_f32_e32 v33, v126
	s_delay_alu instid0(VALU_DEP_2) | instskip(NEXT) | instid1(VALU_DEP_1)
	v_cvt_f16_f32_e32 v30, v125
	v_pack_b32_f16 v31, v29, v30
	s_delay_alu instid0(VALU_DEP_3) | instskip(SKIP_1) | instid1(VALU_DEP_1)
	v_pack_b32_f16 v30, v28, v33
	v_sub_f32_e32 v28, v59, v100
	v_mul_f32_e32 v29, 0x3fb8aa3b, v28
	v_cmp_ngt_f32_e32 vcc_lo, 0xc2ce8ed0, v28
	s_delay_alu instid0(VALU_DEP_2) | instskip(SKIP_1) | instid1(VALU_DEP_2)
	v_fma_f32 v33, 0x3fb8aa3b, v28, -v29
	v_rndne_f32_e32 v34, v29
	v_fmac_f32_e32 v33, 0x32a5705f, v28
	s_delay_alu instid0(VALU_DEP_2) | instskip(SKIP_1) | instid1(VALU_DEP_2)
	v_sub_f32_e32 v29, v29, v34
	v_cvt_i32_f32_e32 v34, v34
	v_add_f32_e32 v29, v29, v33
	v_sub_f32_e32 v33, v56, v100
	s_delay_alu instid0(VALU_DEP_2) | instskip(NEXT) | instid1(VALU_DEP_1)
	v_exp_f32_e32 v29, v29
	v_mul_f32_e32 v35, 0x3fb8aa3b, v33
	v_cmp_ngt_f32_e64 s3, 0xc2ce8ed0, v33
	s_delay_alu instid0(VALU_DEP_2) | instskip(SKIP_1) | instid1(TRANS32_DEP_1)
	v_fma_f32 v45, 0x3fb8aa3b, v33, -v35
	v_rndne_f32_e32 v46, v35
	v_ldexp_f32 v29, v29, v34
	s_delay_alu instid0(VALU_DEP_3) | instskip(NEXT) | instid1(VALU_DEP_3)
	v_fmac_f32_e32 v45, 0x32a5705f, v33
	v_sub_f32_e32 v35, v35, v46
	s_wait_alu 0xfffd
	s_delay_alu instid0(VALU_DEP_3) | instskip(SKIP_1) | instid1(VALU_DEP_3)
	v_cndmask_b32_e32 v29, 0, v29, vcc_lo
	v_cmp_nlt_f32_e32 vcc_lo, 0x42b17218, v28
	v_add_f32_e32 v35, v35, v45
	s_wait_alu 0xfffd
	s_delay_alu instid0(VALU_DEP_3) | instskip(NEXT) | instid1(VALU_DEP_2)
	v_cndmask_b32_e32 v128, 0x7f800000, v29, vcc_lo
	v_exp_f32_e32 v34, v35
	v_cvt_i32_f32_e32 v35, v46
	s_delay_alu instid0(VALU_DEP_2)
	v_cvt_f16_f32_e64 v29, v128
	s_delay_alu instid0(TRANS32_DEP_1) | instid1(VALU_DEP_2)
	v_ldexp_f32 v34, v34, v35
	s_wait_alu 0xf1ff
	s_delay_alu instid0(VALU_DEP_1) | instskip(SKIP_2) | instid1(VALU_DEP_1)
	v_cndmask_b32_e64 v28, 0, v34, s3
	v_cmp_nlt_f32_e64 s3, 0x42b17218, v33
	s_wait_alu 0xf1ff
	v_cndmask_b32_e64 v127, 0x7f800000, v28, s3
	s_delay_alu instid0(VALU_DEP_1) | instskip(NEXT) | instid1(VALU_DEP_1)
	v_cvt_f16_f32_e32 v28, v127
	v_pack_b32_f16 v29, v28, v29
	v_sub_f32_e32 v28, v55, v100
	ds_load_u16 v55, v215 offset:4320
	ds_load_u16 v79, v215 offset:4448
	;; [unrolled: 1-line block ×6, first 2 shown]
	v_mul_f32_e32 v33, 0x3fb8aa3b, v28
	v_cmp_ngt_f32_e32 vcc_lo, 0xc2ce8ed0, v28
	s_delay_alu instid0(VALU_DEP_2) | instskip(SKIP_1) | instid1(VALU_DEP_1)
	v_fma_f32 v34, 0x3fb8aa3b, v28, -v33
	v_rndne_f32_e32 v35, v33
	v_dual_fmac_f32 v34, 0x32a5705f, v28 :: v_dual_sub_f32 v33, v33, v35
	v_cvt_i32_f32_e32 v35, v35
	s_delay_alu instid0(VALU_DEP_2)
	v_dual_add_f32 v33, v33, v34 :: v_dual_sub_f32 v34, v50, v100
	s_wait_dscnt 0x5
	ds_load_u16_d16_hi v55, v215 offset:4560
	ds_load_u16 v59, v215 offset:4416
	s_wait_dscnt 0x6
	ds_load_u16_d16_hi v79, v215 offset:4688
	ds_load_u16 v76, v215 offset:4960
	ds_load_u16 v72, v215 offset:4992
	;; [unrolled: 1-line block ×3, first 2 shown]
	s_wait_dscnt 0x9
	ds_load_u16_d16_hi v56, v215 offset:5040
	ds_load_u16 v60, v215 offset:4896
	s_wait_dscnt 0xa
	ds_load_u16_d16_hi v80, v215 offset:5168
	ds_load_u16_d16_hi v78, v215 offset:4208
	;; [unrolled: 1-line block ×4, first 2 shown]
	s_wait_dscnt 0xd
	ds_load_u16_d16_hi v75, v215 offset:4720
	s_wait_dscnt 0xd
	ds_load_u16_d16_hi v71, v215 offset:4752
	v_exp_f32_e32 v33, v33
	v_mul_f32_e32 v45, 0x3fb8aa3b, v34
	v_cmp_ngt_f32_e64 s3, 0xc2ce8ed0, v34
	s_delay_alu instid0(VALU_DEP_2) | instskip(SKIP_1) | instid1(TRANS32_DEP_1)
	v_fma_f32 v46, 0x3fb8aa3b, v34, -v45
	v_rndne_f32_e32 v47, v45
	v_ldexp_f32 v33, v33, v35
	s_delay_alu instid0(VALU_DEP_2) | instskip(SKIP_1) | instid1(VALU_DEP_2)
	v_dual_fmac_f32 v46, 0x32a5705f, v34 :: v_dual_sub_f32 v45, v45, v47
	s_wait_alu 0xfffd
	v_cndmask_b32_e32 v33, 0, v33, vcc_lo
	v_cmp_nlt_f32_e32 vcc_lo, 0x42b17218, v28
	s_delay_alu instid0(VALU_DEP_3)
	v_add_f32_e32 v45, v45, v46
	s_wait_dscnt 0xc
	ds_load_u16_d16_hi v59, v215 offset:4656
	s_wait_dscnt 0xb
	ds_load_u16_d16_hi v76, v215 offset:5200
	;; [unrolled: 2-line block ×3, first 2 shown]
	ds_load_u16 v46, v215 offset:7712
	ds_load_u16 v82, v215 offset:7744
	;; [unrolled: 1-line block ×3, first 2 shown]
	s_wait_dscnt 0xc
	ds_load_u16_d16_hi v60, v215 offset:5136
	s_wait_alu 0xfffd
	v_cndmask_b32_e32 v130, 0x7f800000, v33, vcc_lo
	v_exp_f32_e32 v35, v45
	v_cvt_i32_f32_e32 v45, v47
	s_delay_alu instid0(VALU_DEP_2)
	v_cvt_f16_f32_e64 v33, v130
	s_delay_alu instid0(TRANS32_DEP_1) | instid1(VALU_DEP_2)
	v_ldexp_f32 v35, v35, v45
	s_wait_alu 0xf1ff
	s_delay_alu instid0(VALU_DEP_1) | instskip(SKIP_2) | instid1(VALU_DEP_1)
	v_cndmask_b32_e64 v28, 0, v35, s3
	v_cmp_nlt_f32_e64 s3, 0x42b17218, v34
	s_wait_alu 0xf1ff
	v_cndmask_b32_e64 v129, 0x7f800000, v28, s3
	s_delay_alu instid0(VALU_DEP_1) | instskip(NEXT) | instid1(VALU_DEP_1)
	v_cvt_f16_f32_e64 v28, v129
	v_pack_b32_f16 v28, v28, v33
	s_wait_dscnt 0xb
	s_delay_alu instid0(VALU_DEP_1)
	v_wmma_f16_16x16x16_f16 v[8:11], v[78:81], v[28:31], v[8:11]
	ds_load_u16_d16_hi v77, v118 offset:4000
	ds_load_u16_d16_hi v73, v118 offset:4032
	;; [unrolled: 1-line block ×4, first 2 shown]
	ds_load_u16 v85, v117 offset:7744
	ds_load_u16 v89, v117 offset:7776
	;; [unrolled: 1-line block ×7, first 2 shown]
	s_wait_dscnt 0x6
	ds_load_u16_d16_hi v85, v118 offset:7744
	s_wait_dscnt 0x6
	ds_load_u16_d16_hi v89, v118 offset:7776
	;; [unrolled: 2-line block ×4, first 2 shown]
	ds_load_u16 v70, v215 offset:4032
	ds_load_u16_d16_hi v62, v215 offset:4144
	ds_load_u16_d16_hi v54, v215 offset:4080
	s_wait_dscnt 0x2
	ds_load_u16_d16_hi v70, v215 offset:4272
	ds_load_u16 v67, v215 offset:4352
	ds_load_u16 v68, v215 offset:4832
	;; [unrolled: 1-line block ×3, first 2 shown]
	ds_load_u16_d16_hi v66, v215 offset:4112
	s_wait_dscnt 0x2
	ds_load_u16_d16_hi v68, v215 offset:5072
	ds_load_u16_d16_hi v67, v215 offset:4592
	s_wait_dscnt 0x3
	ds_load_u16_d16_hi v63, v215 offset:4624
	ds_load_u16 v64, v215 offset:4864
	v_wmma_f16_16x16x16_f16 v[4:7], v[74:77], v[28:31], v[4:7]
	v_wmma_f16_16x16x16_f16 v[0:3], v[70:73], v[28:31], v[0:3]
	;; [unrolled: 1-line block ×4, first 2 shown]
	s_wait_dscnt 0x2
	v_wmma_f16_16x16x16_f16 v[20:23], v[66:69], v[28:31], v[20:23]
	s_wait_dscnt 0x0
	ds_load_u16_d16_hi v64, v215 offset:5104
	s_wait_dscnt 0x0
	v_wmma_f16_16x16x16_f16 v[16:19], v[62:65], v[28:31], v[16:19]
	v_sub_f32_e32 v28, v107, v100
	s_delay_alu instid0(VALU_DEP_1) | instskip(SKIP_1) | instid1(VALU_DEP_2)
	v_mul_f32_e32 v29, 0x3fb8aa3b, v28
	v_cmp_ngt_f32_e64 s5, 0xc2ce8ed0, v28
	v_fma_f32 v30, 0x3fb8aa3b, v28, -v29
	v_rndne_f32_e32 v31, v29
	s_delay_alu instid0(VALU_DEP_1) | instskip(SKIP_1) | instid1(VALU_DEP_2)
	v_dual_fmac_f32 v30, 0x32a5705f, v28 :: v_dual_sub_f32 v29, v29, v31
	v_cvt_i32_f32_e32 v31, v31
	v_dual_add_f32 v29, v29, v30 :: v_dual_sub_f32 v30, v106, v100
	s_delay_alu instid0(VALU_DEP_1) | instskip(NEXT) | instid1(VALU_DEP_1)
	v_exp_f32_e32 v29, v29
	v_mul_f32_e32 v33, 0x3fb8aa3b, v30
	v_cmp_ngt_f32_e32 vcc_lo, 0xc2ce8ed0, v30
	s_delay_alu instid0(VALU_DEP_2) | instskip(SKIP_1) | instid1(TRANS32_DEP_1)
	v_fma_f32 v34, 0x3fb8aa3b, v30, -v33
	v_rndne_f32_e32 v35, v33
	v_ldexp_f32 v29, v29, v31
	s_delay_alu instid0(VALU_DEP_2) | instskip(SKIP_1) | instid1(VALU_DEP_2)
	v_dual_fmac_f32 v34, 0x32a5705f, v30 :: v_dual_sub_f32 v33, v33, v35
	s_wait_alu 0xf1ff
	v_cndmask_b32_e64 v29, 0, v29, s5
	v_cmp_nlt_f32_e64 s5, 0x42b17218, v28
	s_delay_alu instid0(VALU_DEP_3) | instskip(SKIP_1) | instid1(VALU_DEP_2)
	v_add_f32_e32 v33, v33, v34
	v_sub_f32_e32 v34, v105, v100
	v_exp_f32_e32 v31, v33
	s_delay_alu instid0(VALU_DEP_1) | instskip(SKIP_2) | instid1(VALU_DEP_3)
	v_mul_f32_e32 v47, 0x3fb8aa3b, v34
	v_cvt_i32_f32_e32 v33, v35
	v_cmp_ngt_f32_e64 s3, 0xc2ce8ed0, v34
	v_fma_f32 v48, 0x3fb8aa3b, v34, -v47
	v_rndne_f32_e32 v54, v47
	s_delay_alu instid0(TRANS32_DEP_1) | instid1(VALU_DEP_4)
	v_ldexp_f32 v31, v31, v33
	s_delay_alu instid0(VALU_DEP_3) | instskip(NEXT) | instid1(VALU_DEP_3)
	v_fmac_f32_e32 v48, 0x32a5705f, v34
	v_sub_f32_e32 v47, v47, v54
	v_cvt_i32_f32_e32 v35, v54
	s_wait_alu 0xf1ff
	v_cndmask_b32_e64 v54, 0x7f800000, v29, s5
	s_wait_alu 0xfffd
	v_cndmask_b32_e32 v31, 0, v31, vcc_lo
	v_cmp_nlt_f32_e32 vcc_lo, 0x42b17218, v30
	v_add_f32_e32 v47, v47, v48
	v_sub_f32_e32 v48, v96, v100
	v_cvt_f16_f32_e32 v28, v54
	s_delay_alu instid0(VALU_DEP_3) | instskip(NEXT) | instid1(VALU_DEP_2)
	v_exp_f32_e32 v33, v47
	v_mul_f32_e32 v55, 0x3fb8aa3b, v48
	v_cmp_ngt_f32_e64 s4, 0xc2ce8ed0, v48
	s_delay_alu instid0(VALU_DEP_2) | instskip(SKIP_1) | instid1(TRANS32_DEP_1)
	v_fma_f32 v56, 0x3fb8aa3b, v48, -v55
	v_rndne_f32_e32 v57, v55
	v_ldexp_f32 v33, v33, v35
	s_delay_alu instid0(VALU_DEP_2)
	v_dual_fmac_f32 v56, 0x32a5705f, v48 :: v_dual_sub_f32 v55, v55, v57
	v_cvt_i32_f32_e32 v35, v57
	s_wait_alu 0xfffd
	v_cndmask_b32_e32 v57, 0x7f800000, v31, vcc_lo
	v_cndmask_b32_e64 v33, 0, v33, s3
	v_cmp_nlt_f32_e64 s3, 0x42b17218, v34
	v_add_f32_e32 v55, v55, v56
	s_delay_alu instid0(VALU_DEP_1) | instskip(SKIP_1) | instid1(VALU_DEP_2)
	v_exp_f32_e32 v30, v55
	s_wait_alu 0xf1ff
	v_cndmask_b32_e64 v55, 0x7f800000, v33, s3
	v_cvt_f16_f32_e32 v33, v57
	s_delay_alu instid0(VALU_DEP_2) | instskip(NEXT) | instid1(TRANS32_DEP_1)
	v_cvt_f16_f32_e32 v29, v55
	v_ldexp_f32 v30, v30, v35
	s_delay_alu instid0(VALU_DEP_1) | instskip(SKIP_2) | instid1(VALU_DEP_1)
	v_cndmask_b32_e64 v30, 0, v30, s4
	v_cmp_nlt_f32_e64 s4, 0x42b17218, v48
	s_wait_alu 0xf1ff
	v_cndmask_b32_e64 v56, 0x7f800000, v30, s4
	s_delay_alu instid0(VALU_DEP_1) | instskip(NEXT) | instid1(VALU_DEP_1)
	v_cvt_f16_f32_e32 v30, v56
	v_pack_b32_f16 v31, v29, v30
	v_pack_b32_f16 v30, v28, v33
	v_sub_f32_e32 v28, v52, v100
	s_delay_alu instid0(VALU_DEP_1) | instskip(SKIP_1) | instid1(VALU_DEP_2)
	v_mul_f32_e32 v29, 0x3fb8aa3b, v28
	v_cmp_ngt_f32_e32 vcc_lo, 0xc2ce8ed0, v28
	v_fma_f32 v33, 0x3fb8aa3b, v28, -v29
	v_rndne_f32_e32 v34, v29
	s_delay_alu instid0(VALU_DEP_2) | instskip(NEXT) | instid1(VALU_DEP_2)
	v_fmac_f32_e32 v33, 0x32a5705f, v28
	v_sub_f32_e32 v29, v29, v34
	v_cvt_i32_f32_e32 v34, v34
	s_delay_alu instid0(VALU_DEP_2) | instskip(SKIP_1) | instid1(VALU_DEP_2)
	v_add_f32_e32 v29, v29, v33
	v_sub_f32_e32 v33, v51, v100
	v_exp_f32_e32 v29, v29
	s_delay_alu instid0(VALU_DEP_1) | instskip(SKIP_1) | instid1(VALU_DEP_2)
	v_mul_f32_e32 v35, 0x3fb8aa3b, v33
	v_cmp_ngt_f32_e64 s3, 0xc2ce8ed0, v33
	v_fma_f32 v47, 0x3fb8aa3b, v33, -v35
	v_rndne_f32_e32 v48, v35
	s_delay_alu instid0(TRANS32_DEP_1) | instskip(NEXT) | instid1(VALU_DEP_3)
	v_ldexp_f32 v29, v29, v34
	v_fmac_f32_e32 v47, 0x32a5705f, v33
	s_delay_alu instid0(VALU_DEP_3) | instskip(SKIP_1) | instid1(VALU_DEP_3)
	v_sub_f32_e32 v35, v35, v48
	s_wait_alu 0xfffd
	v_cndmask_b32_e32 v29, 0, v29, vcc_lo
	v_cmp_nlt_f32_e32 vcc_lo, 0x42b17218, v28
	s_delay_alu instid0(VALU_DEP_3) | instskip(SKIP_1) | instid1(VALU_DEP_3)
	v_add_f32_e32 v35, v35, v47
	s_wait_alu 0xfffd
	v_cndmask_b32_e32 v59, 0x7f800000, v29, vcc_lo
	s_delay_alu instid0(VALU_DEP_2) | instskip(SKIP_1) | instid1(VALU_DEP_2)
	v_exp_f32_e32 v34, v35
	v_cvt_i32_f32_e32 v35, v48
	v_cvt_f16_f32_e32 v29, v59
	s_delay_alu instid0(TRANS32_DEP_1) | instid1(VALU_DEP_2)
	v_ldexp_f32 v34, v34, v35
	s_wait_alu 0xf1ff
	s_delay_alu instid0(VALU_DEP_1) | instskip(SKIP_2) | instid1(VALU_DEP_1)
	v_cndmask_b32_e64 v28, 0, v34, s3
	v_cmp_nlt_f32_e64 s3, 0x42b17218, v33
	s_wait_alu 0xf1ff
	v_cndmask_b32_e64 v58, 0x7f800000, v28, s3
	s_delay_alu instid0(VALU_DEP_1) | instskip(NEXT) | instid1(VALU_DEP_1)
	v_cvt_f16_f32_e32 v28, v58
	v_pack_b32_f16 v29, v28, v29
	v_sub_f32_e32 v28, v41, v100
	s_delay_alu instid0(VALU_DEP_1) | instskip(SKIP_1) | instid1(VALU_DEP_2)
	v_mul_f32_e32 v33, 0x3fb8aa3b, v28
	v_cmp_ngt_f32_e32 vcc_lo, 0xc2ce8ed0, v28
	v_fma_f32 v34, 0x3fb8aa3b, v28, -v33
	v_rndne_f32_e32 v35, v33
	s_delay_alu instid0(VALU_DEP_1) | instskip(SKIP_1) | instid1(VALU_DEP_2)
	v_dual_fmac_f32 v34, 0x32a5705f, v28 :: v_dual_sub_f32 v33, v33, v35
	v_cvt_i32_f32_e32 v35, v35
	v_add_f32_e32 v33, v33, v34
	v_sub_f32_e32 v34, v37, v100
	s_delay_alu instid0(VALU_DEP_2) | instskip(NEXT) | instid1(VALU_DEP_1)
	v_exp_f32_e32 v33, v33
	v_mul_f32_e32 v37, 0x3fb8aa3b, v34
	v_cmp_ngt_f32_e64 s3, 0xc2ce8ed0, v34
	s_delay_alu instid0(VALU_DEP_2) | instskip(SKIP_1) | instid1(TRANS32_DEP_1)
	v_fma_f32 v41, 0x3fb8aa3b, v34, -v37
	v_rndne_f32_e32 v47, v37
	v_ldexp_f32 v33, v33, v35
	s_delay_alu instid0(VALU_DEP_3) | instskip(NEXT) | instid1(VALU_DEP_3)
	v_fmac_f32_e32 v41, 0x32a5705f, v34
	v_sub_f32_e32 v37, v37, v47
	s_wait_alu 0xfffd
	s_delay_alu instid0(VALU_DEP_3) | instskip(SKIP_1) | instid1(VALU_DEP_3)
	v_cndmask_b32_e32 v33, 0, v33, vcc_lo
	v_cmp_nlt_f32_e32 vcc_lo, 0x42b17218, v28
	v_add_f32_e32 v37, v37, v41
	s_wait_alu 0xfffd
	s_delay_alu instid0(VALU_DEP_3) | instskip(NEXT) | instid1(VALU_DEP_2)
	v_cndmask_b32_e32 v61, 0x7f800000, v33, vcc_lo
	v_exp_f32_e32 v35, v37
	v_cvt_i32_f32_e32 v37, v47
	ds_load_u16 v51, v215 offset:8160
	ds_load_u16 v91, v215 offset:8320
	ds_load_u16 v52, v215 offset:8640
	ds_load_u16_d16_hi v46, v215 offset:7952
	ds_load_u16_d16_hi v82, v215 offset:7984
	;; [unrolled: 1-line block ×3, first 2 shown]
	ds_load_u16 v119, v215 offset:7872
	ds_load_u16 v47, v215 offset:8192
	;; [unrolled: 1-line block ×5, first 2 shown]
	s_wait_dscnt 0xa
	ds_load_u16_d16_hi v51, v215 offset:8400
	s_wait_dscnt 0xa
	ds_load_u16_d16_hi v91, v215 offset:8560
	;; [unrolled: 2-line block ×3, first 2 shown]
	ds_load_u16_d16_hi v50, v215 offset:7920
	ds_load_u16 v90, v215 offset:7840
	s_wait_dscnt 0x9
	ds_load_u16_d16_hi v119, v215 offset:8112
	s_wait_dscnt 0x9
	ds_load_u16_d16_hi v47, v215 offset:8432
	;; [unrolled: 2-line block ×5, first 2 shown]
	ds_load_u16 v120, v215 offset:8352
	ds_load_u16 v121, v215 offset:8832
	;; [unrolled: 1-line block ×7, first 2 shown]
	s_wait_dscnt 0x6
	ds_load_u16_d16_hi v120, v215 offset:8592
	v_ldexp_f32 v35, v35, v37
	s_wait_dscnt 0x5
	ds_load_u16_d16_hi v48, v215 offset:8912
	s_wait_dscnt 0x5
	ds_load_u16_d16_hi v84, v215 offset:8944
	;; [unrolled: 2-line block ×5, first 2 shown]
	ds_load_u16_d16_hi v121, v215 offset:9072
	ds_load_u16 v96, v215 offset:11520
	ds_load_u16 v75, v215 offset:7808
	s_wait_alu 0xf1ff
	v_cndmask_b32_e64 v28, 0, v35, s3
	v_cmp_nlt_f32_e64 s3, 0x42b17218, v34
	v_cvt_f16_f32_e32 v33, v61
	s_wait_dscnt 0x0
	ds_load_u16_d16_hi v75, v215 offset:8048
	ds_load_u16_d16_hi v90, v215 offset:8080
	s_wait_alu 0xf1ff
	v_cndmask_b32_e64 v60, 0x7f800000, v28, s3
	s_delay_alu instid0(VALU_DEP_1) | instskip(NEXT) | instid1(VALU_DEP_1)
	v_cvt_f16_f32_e32 v28, v60
	v_pack_b32_f16 v28, v28, v33
	s_delay_alu instid0(VALU_DEP_1)
	v_wmma_f16_16x16x16_f16 v[20:23], v[46:49], v[28:31], v[20:23]
	ds_load_u16 v41, v117 offset:11616
	ds_load_u16 v37, v117 offset:11648
	;; [unrolled: 1-line block ×3, first 2 shown]
	ds_load_u16_d16_hi v122, v118 offset:7872
	ds_load_u16_d16_hi v99, v118 offset:11520
	ds_load_u16 v49, v117 offset:11552
	v_wmma_f16_16x16x16_f16 v[24:27], v[50:53], v[28:31], v[24:27]
	v_wmma_f16_16x16x16_f16 v[16:19], v[82:85], v[28:31], v[16:19]
	v_wmma_f16_16x16x16_f16 v[12:15], v[86:89], v[28:31], v[12:15]
	s_wait_dscnt 0x7
	v_wmma_f16_16x16x16_f16 v[8:11], v[75:78], v[28:31], v[8:11]
	s_wait_dscnt 0x6
	v_wmma_f16_16x16x16_f16 v[4:7], v[90:93], v[28:31], v[4:7]
	s_wait_dscnt 0x0
	ds_load_u16_d16_hi v49, v118 offset:11552
	ds_load_u16_d16_hi v45, v118 offset:11584
	;; [unrolled: 1-line block ×6, first 2 shown]
	v_wmma_f16_16x16x16_f16 v[0:3], v[119:122], v[28:31], v[0:3]
	v_sub_f32_e32 v28, v104, v100
	s_delay_alu instid0(VALU_DEP_1) | instskip(SKIP_1) | instid1(VALU_DEP_2)
	v_mul_f32_e32 v29, 0x3fb8aa3b, v28
	v_cmp_ngt_f32_e64 s5, 0xc2ce8ed0, v28
	v_fma_f32 v30, 0x3fb8aa3b, v28, -v29
	v_rndne_f32_e32 v31, v29
	s_delay_alu instid0(VALU_DEP_1) | instskip(SKIP_1) | instid1(VALU_DEP_2)
	v_dual_fmac_f32 v30, 0x32a5705f, v28 :: v_dual_sub_f32 v29, v29, v31
	v_cvt_i32_f32_e32 v31, v31
	v_dual_add_f32 v29, v29, v30 :: v_dual_sub_f32 v30, v103, v100
	s_delay_alu instid0(VALU_DEP_1) | instskip(NEXT) | instid1(VALU_DEP_1)
	v_exp_f32_e32 v29, v29
	v_mul_f32_e32 v34, 0x3fb8aa3b, v30
	v_cmp_ngt_f32_e32 vcc_lo, 0xc2ce8ed0, v30
	s_delay_alu instid0(VALU_DEP_2) | instskip(SKIP_1) | instid1(TRANS32_DEP_1)
	v_fma_f32 v35, 0x3fb8aa3b, v30, -v34
	v_rndne_f32_e32 v46, v34
	v_ldexp_f32 v29, v29, v31
	s_delay_alu instid0(VALU_DEP_3) | instskip(NEXT) | instid1(VALU_DEP_3)
	v_fmac_f32_e32 v35, 0x32a5705f, v30
	v_sub_f32_e32 v34, v34, v46
	s_wait_alu 0xf1ff
	s_delay_alu instid0(VALU_DEP_3) | instskip(SKIP_1) | instid1(VALU_DEP_3)
	v_cndmask_b32_e64 v29, 0, v29, s5
	v_cmp_nlt_f32_e64 s5, 0x42b17218, v28
	v_add_f32_e32 v34, v34, v35
	s_wait_alu 0xf1ff
	s_delay_alu instid0(VALU_DEP_2) | instskip(NEXT) | instid1(VALU_DEP_2)
	v_cndmask_b32_e64 v28, 0x7f800000, v29, s5
	v_exp_f32_e32 v31, v34
	v_cvt_i32_f32_e32 v34, v46
	s_delay_alu instid0(TRANS32_DEP_1) | instid1(VALU_DEP_1)
	v_ldexp_f32 v31, v31, v34
	s_wait_alu 0xfffd
	s_delay_alu instid0(VALU_DEP_1) | instskip(NEXT) | instid1(VALU_DEP_1)
	v_dual_sub_f32 v34, v102, v100 :: v_dual_cndmask_b32 v31, 0, v31
	v_mul_f32_e32 v35, 0x3fb8aa3b, v34
	v_cmp_nlt_f32_e32 vcc_lo, 0x42b17218, v30
	v_cmp_ngt_f32_e64 s3, 0xc2ce8ed0, v34
	s_delay_alu instid0(VALU_DEP_3) | instskip(SKIP_3) | instid1(VALU_DEP_2)
	v_fma_f32 v46, 0x3fb8aa3b, v34, -v35
	v_rndne_f32_e32 v47, v35
	s_wait_alu 0xfffd
	v_cndmask_b32_e32 v63, 0x7f800000, v31, vcc_lo
	v_dual_fmac_f32 v46, 0x32a5705f, v34 :: v_dual_sub_f32 v35, v35, v47
	s_delay_alu instid0(VALU_DEP_1) | instskip(NEXT) | instid1(VALU_DEP_1)
	v_dual_add_f32 v35, v35, v46 :: v_dual_sub_f32 v46, v97, v100
	v_exp_f32_e32 v30, v35
	s_delay_alu instid0(VALU_DEP_1) | instskip(SKIP_2) | instid1(VALU_DEP_3)
	v_mul_f32_e32 v48, 0x3fb8aa3b, v46
	v_cvt_i32_f32_e32 v35, v47
	v_cmp_ngt_f32_e64 s4, 0xc2ce8ed0, v46
	v_fma_f32 v50, 0x3fb8aa3b, v46, -v48
	v_rndne_f32_e32 v51, v48
	s_delay_alu instid0(TRANS32_DEP_1) | instid1(VALU_DEP_4)
	v_ldexp_f32 v30, v30, v35
	s_delay_alu instid0(VALU_DEP_3) | instskip(NEXT) | instid1(VALU_DEP_3)
	v_fmac_f32_e32 v50, 0x32a5705f, v46
	v_sub_f32_e32 v48, v48, v51
	v_cvt_i32_f32_e32 v47, v51
	s_wait_alu 0xf1ff
	v_cndmask_b32_e64 v30, 0, v30, s3
	v_cmp_nlt_f32_e64 s3, 0x42b17218, v34
	v_add_f32_e32 v48, v48, v50
	s_wait_alu 0xf1ff
	s_delay_alu instid0(VALU_DEP_2) | instskip(NEXT) | instid1(VALU_DEP_2)
	v_cndmask_b32_e64 v29, 0x7f800000, v30, s3
	v_exp_f32_e32 v35, v48
	v_cvt_f16_f32_e32 v30, v28
	s_delay_alu instid0(VALU_DEP_2) | instskip(NEXT) | instid1(TRANS32_DEP_1)
	v_cvt_f16_f32_e32 v31, v29
	v_ldexp_f32 v35, v35, v47
	s_delay_alu instid0(VALU_DEP_1) | instskip(SKIP_3) | instid1(VALU_DEP_2)
	v_cndmask_b32_e64 v34, 0, v35, s4
	v_cmp_nlt_f32_e64 s4, 0x42b17218, v46
	v_cvt_f16_f32_e32 v35, v63
	s_wait_alu 0xf1ff
	v_cndmask_b32_e64 v62, 0x7f800000, v34, s4
	s_delay_alu instid0(VALU_DEP_2) | instskip(SKIP_1) | instid1(VALU_DEP_3)
	v_pack_b32_f16 v52, v30, v35
	v_sub_f32_e32 v30, v43, v100
	v_cvt_f16_f32_e32 v34, v62
	s_delay_alu instid0(VALU_DEP_2) | instskip(NEXT) | instid1(VALU_DEP_2)
	v_cmp_ngt_f32_e32 vcc_lo, 0xc2ce8ed0, v30
	v_pack_b32_f16 v53, v31, v34
	v_mul_f32_e32 v31, 0x3fb8aa3b, v30
	s_delay_alu instid0(VALU_DEP_1) | instskip(SKIP_1) | instid1(VALU_DEP_1)
	v_fma_f32 v34, 0x3fb8aa3b, v30, -v31
	v_rndne_f32_e32 v35, v31
	v_dual_fmac_f32 v34, 0x32a5705f, v30 :: v_dual_sub_f32 v31, v31, v35
	v_cvt_i32_f32_e32 v35, v35
	s_delay_alu instid0(VALU_DEP_2) | instskip(NEXT) | instid1(VALU_DEP_1)
	v_dual_add_f32 v31, v31, v34 :: v_dual_sub_f32 v34, v42, v100
	v_exp_f32_e32 v31, v31
	s_delay_alu instid0(VALU_DEP_1) | instskip(SKIP_1) | instid1(VALU_DEP_2)
	v_mul_f32_e32 v42, 0x3fb8aa3b, v34
	v_cmp_ngt_f32_e64 s3, 0xc2ce8ed0, v34
	v_fma_f32 v43, 0x3fb8aa3b, v34, -v42
	v_rndne_f32_e32 v46, v42
	s_delay_alu instid0(TRANS32_DEP_1) | instskip(NEXT) | instid1(VALU_DEP_3)
	v_ldexp_f32 v31, v31, v35
	v_fmac_f32_e32 v43, 0x32a5705f, v34
	s_wait_alu 0xfffd
	s_delay_alu instid0(VALU_DEP_2) | instskip(SKIP_1) | instid1(VALU_DEP_2)
	v_dual_sub_f32 v42, v42, v46 :: v_dual_cndmask_b32 v31, 0, v31
	v_cmp_nlt_f32_e32 vcc_lo, 0x42b17218, v30
	v_add_f32_e32 v42, v42, v43
	s_wait_alu 0xfffd
	s_delay_alu instid0(VALU_DEP_3) | instskip(NEXT) | instid1(VALU_DEP_2)
	v_cndmask_b32_e32 v65, 0x7f800000, v31, vcc_lo
	v_exp_f32_e32 v35, v42
	v_cvt_i32_f32_e32 v42, v46
	s_delay_alu instid0(VALU_DEP_2)
	v_cvt_f16_f32_e32 v31, v65
	s_delay_alu instid0(TRANS32_DEP_1) | instid1(VALU_DEP_2)
	v_ldexp_f32 v35, v35, v42
	s_wait_alu 0xf1ff
	s_delay_alu instid0(VALU_DEP_1) | instskip(SKIP_2) | instid1(VALU_DEP_1)
	v_cndmask_b32_e64 v30, 0, v35, s3
	v_cmp_nlt_f32_e64 s3, 0x42b17218, v34
	s_wait_alu 0xf1ff
	v_cndmask_b32_e64 v64, 0x7f800000, v30, s3
	s_delay_alu instid0(VALU_DEP_1) | instskip(NEXT) | instid1(VALU_DEP_1)
	v_cvt_f16_f32_e32 v30, v64
	v_pack_b32_f16 v51, v30, v31
	v_sub_f32_e32 v30, v39, v100
	s_delay_alu instid0(VALU_DEP_1) | instskip(SKIP_1) | instid1(VALU_DEP_2)
	v_mul_f32_e32 v31, 0x3fb8aa3b, v30
	v_cmp_ngt_f32_e32 vcc_lo, 0xc2ce8ed0, v30
	v_fma_f32 v34, 0x3fb8aa3b, v30, -v31
	v_rndne_f32_e32 v35, v31
	s_delay_alu instid0(VALU_DEP_1) | instskip(SKIP_1) | instid1(VALU_DEP_2)
	v_dual_fmac_f32 v34, 0x32a5705f, v30 :: v_dual_sub_f32 v31, v31, v35
	v_cvt_i32_f32_e32 v35, v35
	v_dual_add_f32 v31, v31, v34 :: v_dual_sub_f32 v34, v38, v100
	s_delay_alu instid0(VALU_DEP_1) | instskip(NEXT) | instid1(VALU_DEP_1)
	v_exp_f32_e32 v31, v31
	v_mul_f32_e32 v38, 0x3fb8aa3b, v34
	v_cmp_ngt_f32_e64 s3, 0xc2ce8ed0, v34
	s_delay_alu instid0(VALU_DEP_2) | instskip(SKIP_1) | instid1(TRANS32_DEP_1)
	v_fma_f32 v39, 0x3fb8aa3b, v34, -v38
	v_rndne_f32_e32 v42, v38
	v_ldexp_f32 v31, v31, v35
	s_delay_alu instid0(VALU_DEP_3) | instskip(SKIP_1) | instid1(VALU_DEP_2)
	v_fmac_f32_e32 v39, 0x32a5705f, v34
	s_wait_alu 0xfffd
	v_dual_sub_f32 v38, v38, v42 :: v_dual_cndmask_b32 v31, 0, v31
	v_cmp_nlt_f32_e32 vcc_lo, 0x42b17218, v30
	s_delay_alu instid0(VALU_DEP_2)
	v_add_f32_e32 v38, v38, v39
	ds_load_u16 v43, v215 offset:12064
	ds_load_u16 v39, v215 offset:12096
	;; [unrolled: 1-line block ×3, first 2 shown]
	ds_load_u16_d16_hi v96, v215 offset:11760
	s_wait_dscnt 0x3
	ds_load_u16_d16_hi v43, v215 offset:12304
	s_wait_dscnt 0x3
	;; [unrolled: 2-line block ×3, first 2 shown]
	ds_load_u16_d16_hi v97, v215 offset:12240
	v_exp_f32_e32 v35, v38
	v_cvt_i32_f32_e32 v38, v42
	ds_load_u16 v46, v215 offset:11552
	ds_load_u16 v92, v215 offset:11712
	;; [unrolled: 1-line block ×5, first 2 shown]
	s_wait_alu 0xfffd
	v_cndmask_b32_e32 v67, 0x7f800000, v31, vcc_lo
	s_delay_alu instid0(VALU_DEP_1) | instskip(SKIP_2) | instid1(VALU_DEP_1)
	v_cvt_f16_f32_e32 v31, v67
	v_ldexp_f32 v35, v35, v38
	s_wait_alu 0xf1ff
	v_cndmask_b32_e64 v30, 0, v35, s3
	v_cmp_nlt_f32_e64 s3, 0x42b17218, v34
	s_wait_alu 0xf1ff
	s_delay_alu instid0(VALU_DEP_1) | instskip(NEXT) | instid1(VALU_DEP_1)
	v_cndmask_b32_e64 v66, 0x7f800000, v30, s3
	v_cvt_f16_f32_e32 v30, v66
	s_delay_alu instid0(VALU_DEP_1)
	v_pack_b32_f16 v50, v30, v31
	s_wait_dscnt 0x4
	ds_load_u16_d16_hi v46, v215 offset:11792
	ds_load_u16 v30, v215 offset:11680
	s_wait_dscnt 0x5
	ds_load_u16_d16_hi v92, v215 offset:11952
	s_wait_dscnt 0x5
	ds_load_u16_d16_hi v47, v215 offset:12272
	ds_load_u16 v31, v215 offset:12160
	s_wait_dscnt 0x6
	ds_load_u16_d16_hi v93, v215 offset:12432
	s_wait_dscnt 0x6
	ds_load_u16_d16_hi v48, v215 offset:12752
	ds_load_u16 v42, v215 offset:11584
	ds_load_u16 v38, v215 offset:11616
	;; [unrolled: 1-line block ×3, first 2 shown]
	s_wait_dscnt 0x2
	ds_load_u16_d16_hi v42, v215 offset:11824
	s_wait_dscnt 0x2
	ds_load_u16_d16_hi v38, v215 offset:11856
	;; [unrolled: 2-line block ×3, first 2 shown]
	ds_load_u16_d16_hi v30, v215 offset:11920
	ds_load_u16 v35, v215 offset:12128
	s_wait_dscnt 0x0
	ds_load_u16_d16_hi v35, v215 offset:12368
	ds_load_u16_d16_hi v31, v215 offset:12400
	v_wmma_f16_16x16x16_f16 v[24:27], v[96:99], v[50:53], v[24:27]
	v_wmma_f16_16x16x16_f16 v[20:23], v[46:49], v[50:53], v[20:23]
	;; [unrolled: 1-line block ×5, first 2 shown]
	s_wait_loadcnt_dscnt 0x0
	s_barrier_signal -1
	s_barrier_wait -1
	global_inv scope:SCOPE_SE
	v_wmma_f16_16x16x16_f16 v[8:11], v[34:37], v[50:53], v[8:11]
	v_wmma_f16_16x16x16_f16 v[4:7], v[30:33], v[50:53], v[4:7]
	v_add_f32_e32 v30, v115, v116
	s_delay_alu instid0(VALU_DEP_1) | instskip(NEXT) | instid1(VALU_DEP_1)
	v_add_f32_e32 v30, v113, v30
	v_add_f32_e32 v30, v114, v30
	s_delay_alu instid0(VALU_DEP_1) | instskip(NEXT) | instid1(VALU_DEP_1)
	v_add_f32_e32 v30, v111, v30
	;; [unrolled: 3-line block ×15, first 2 shown]
	v_add_f32_e32 v28, v62, v28
	s_delay_alu instid0(VALU_DEP_1)
	v_fmac_f32_e32 v28, v233, v108
	ds_bpermute_b32 v29, v101, v28
	s_wait_dscnt 0x0
	v_add_f32_e32 v28, v28, v29
	s_cbranch_scc1 .LBB19_392
; %bb.391:                              ;   in Loop: Header=BB19_9 Depth=1
	scratch_load_b32 v29, off, off offset:256 ; 4-byte Folded Reload
	s_wait_loadcnt 0x0
	v_dual_max_num_f32 v30, v100, v100 :: v_dual_lshlrev_b32 v29, 2, v29
	global_load_b32 v29, v29, s[74:75]
	s_wait_loadcnt 0x0
	v_max_num_f32_e32 v31, v29, v29
	s_delay_alu instid0(VALU_DEP_1) | instskip(NEXT) | instid1(VALU_DEP_1)
	v_max_num_f32_e32 v30, v30, v31
	v_sub_f32_e32 v31, v100, v30
	s_delay_alu instid0(VALU_DEP_1) | instskip(SKIP_1) | instid1(VALU_DEP_2)
	v_dual_sub_f32 v29, v29, v30 :: v_dual_mul_f32 v32, 0x3fb8aa3b, v31
	v_cmp_ngt_f32_e32 vcc_lo, 0xc2ce8ed0, v31
	v_fma_f32 v33, 0x3fb8aa3b, v31, -v32
	v_rndne_f32_e32 v34, v32
	s_delay_alu instid0(VALU_DEP_1) | instskip(SKIP_1) | instid1(VALU_DEP_2)
	v_dual_fmac_f32 v33, 0x32a5705f, v31 :: v_dual_sub_f32 v32, v32, v34
	v_cvt_i32_f32_e32 v34, v34
	v_add_f32_e32 v32, v32, v33
	v_dual_mul_f32 v33, 0x3fb8aa3b, v29 :: v_dual_mov_b32 v100, v30
	s_delay_alu instid0(VALU_DEP_1) | instskip(SKIP_1) | instid1(VALU_DEP_2)
	v_rndne_f32_e32 v36, v33
	v_fma_f32 v35, 0x3fb8aa3b, v29, -v33
	v_sub_f32_e32 v33, v33, v36
	v_exp_f32_e32 v32, v32
	s_delay_alu instid0(VALU_DEP_2) | instskip(NEXT) | instid1(TRANS32_DEP_1)
	v_fmac_f32_e32 v35, 0x32a5705f, v29
	v_ldexp_f32 v32, v32, v34
	v_cvt_i32_f32_e32 v34, v36
	s_wait_alu 0xfffd
	s_delay_alu instid0(VALU_DEP_2) | instskip(SKIP_2) | instid1(VALU_DEP_2)
	v_cndmask_b32_e32 v32, 0, v32, vcc_lo
	v_cmp_nlt_f32_e32 vcc_lo, 0x42b17218, v31
	s_wait_alu 0xfffd
	v_dual_add_f32 v33, v33, v35 :: v_dual_cndmask_b32 v32, 0x7f800000, v32
	s_delay_alu instid0(VALU_DEP_1) | instskip(SKIP_2) | instid1(VALU_DEP_2)
	v_exp_f32_e32 v33, v33
	v_cmp_le_f32_e32 vcc_lo, 0xc1a00000, v31
	s_wait_alu 0xfffd
	v_cndmask_b32_e32 v31, 0, v32, vcc_lo
	v_cmp_ngt_f32_e32 vcc_lo, 0xc2ce8ed0, v29
	s_delay_alu instid0(TRANS32_DEP_1) | instskip(SKIP_1) | instid1(VALU_DEP_1)
	v_ldexp_f32 v32, v33, v34
	s_wait_alu 0xfffd
	v_cndmask_b32_e32 v32, 0, v32, vcc_lo
	v_cmp_nlt_f32_e32 vcc_lo, 0x42b17218, v29
	s_wait_alu 0xfffd
	s_delay_alu instid0(VALU_DEP_2) | instskip(NEXT) | instid1(VALU_DEP_1)
	v_cndmask_b32_e32 v29, 0x7f800000, v32, vcc_lo
	v_fmac_f32_e32 v29, v28, v31
	s_delay_alu instid0(VALU_DEP_1) | instskip(SKIP_1) | instid1(VALU_DEP_1)
	v_mov_b32_e32 v28, v29
	v_cvt_f16_f32_e32 v33, v31
	v_and_b32_e32 v33, 0xffff, v33
	s_delay_alu instid0(VALU_DEP_1) | instskip(NEXT) | instid1(VALU_DEP_1)
	v_mul_u32_u24_e32 v32, 0x10001, v33
	v_pk_mul_f16 v24, v24, v32
	v_pk_mul_f16 v25, v25, v32
	v_pk_mul_f16 v26, v26, v32
	v_pk_mul_f16 v27, v27, v32
	v_pk_mul_f16 v20, v20, v32
	v_pk_mul_f16 v21, v21, v32
	v_pk_mul_f16 v22, v22, v32
	v_pk_mul_f16 v23, v23, v32
	v_pk_mul_f16 v16, v16, v32
	v_pk_mul_f16 v17, v17, v32
	v_pk_mul_f16 v18, v18, v32
	v_pk_mul_f16 v19, v19, v32
	v_pk_mul_f16 v12, v12, v32
	v_pk_mul_f16 v13, v13, v32
	v_pk_mul_f16 v14, v14, v32
	v_pk_mul_f16 v15, v15, v32
	v_pk_mul_f16 v8, v8, v32
	v_pk_mul_f16 v9, v9, v32
	v_pk_mul_f16 v10, v10, v32
	v_pk_mul_f16 v11, v11, v32
	v_pk_mul_f16 v4, v4, v32
	v_pk_mul_f16 v5, v5, v32
	v_pk_mul_f16 v6, v6, v32
	v_pk_mul_f16 v7, v7, v32
	v_pk_mul_f16 v0, v0, v32
	v_pk_mul_f16 v1, v1, v32
	v_pk_mul_f16 v2, v2, v32
	v_pk_mul_f16 v3, v3, v32
.LBB19_392:                             ;   in Loop: Header=BB19_9 Depth=1
	s_clause 0x1
	scratch_load_b64 v[30:31], off, off offset:160
	scratch_load_b64 v[35:36], off, off offset:232
	s_mov_b32 s3, exec_lo
	s_wait_loadcnt 0x1
	scratch_load_b64 v[31:32], off, off offset:204 ; 8-byte Folded Reload
	s_wait_loadcnt 0x0
	scratch_load_b64 v[32:33], off, off offset:216 ; 8-byte Folded Reload
	s_wait_loadcnt 0x0
	s_clause 0x1
	scratch_load_b64 v[33:34], off, off offset:224
	scratch_load_b32 v180, off, off offset:20
	v_readlane_b32 s4, v255, 19
	s_wait_alu 0xfffe
	s_and_b32 s4, s3, s4
	s_wait_alu 0xfffe
	s_mov_b32 exec_lo, s4
	s_cbranch_execz .LBB19_394
; %bb.393:                              ;   in Loop: Header=BB19_9 Depth=1
	scratch_load_b32 v29, off, off offset:668 ; 4-byte Folded Reload
	s_wait_loadcnt 0x0
	ds_store_2addr_b32 v29, v100, v28 offset0:56 offset1:57
.LBB19_394:                             ;   in Loop: Header=BB19_9 Depth=1
	s_or_b32 exec_lo, exec_lo, s3
	v_add_nc_u32_e32 v28, v149, v226
	s_wait_loadcnt_dscnt 0x0
	s_barrier_signal -1
	s_barrier_wait -1
	global_inv scope:SCOPE_SE
	ds_store_2addr_b32 v28, v24, v25 offset1:1
	ds_store_2addr_b32 v28, v26, v27 offset0:2 offset1:3
	ds_store_2addr_b32 v28, v20, v21 offset0:8 offset1:9
	;; [unrolled: 1-line block ×13, first 2 shown]
	v_mov_b32_e32 v0, 50
	s_wait_loadcnt_dscnt 0x0
	s_barrier_signal -1
	s_barrier_wait -1
	global_inv scope:SCOPE_SE
	s_and_saveexec_b32 s4, s95
	s_cbranch_execz .LBB19_396
; %bb.395:                              ;   in Loop: Header=BB19_9 Depth=1
	scratch_load_b32 v1, off, off offset:672 ; 4-byte Folded Reload
	s_wait_loadcnt 0x0
	v_add_nc_u32_e32 v0, v1, v198
	ds_load_b32 v0, v0
	ds_load_b32 v3, v1 offset:228
	s_wait_dscnt 0x1
	v_lshrrev_b32_e32 v1, 16, v0
	v_cvt_f32_f16_e32 v0, v0
	s_delay_alu instid0(VALU_DEP_2) | instskip(NEXT) | instid1(VALU_DEP_2)
	v_cvt_f32_f16_e32 v1, v1
	v_add_f32_e32 v2, 0, v0
	s_wait_dscnt 0x0
	s_delay_alu instid0(VALU_DEP_1) | instskip(NEXT) | instid1(VALU_DEP_1)
	v_div_scale_f32 v5, null, v3, v3, v2
	v_rcp_f32_e32 v7, v5
	s_delay_alu instid0(TRANS32_DEP_1) | instskip(NEXT) | instid1(VALU_DEP_1)
	v_fma_f32 v0, -v5, v7, 1.0
	v_fmac_f32_e32 v7, v0, v7
	scratch_load_b32 v0, off, off offset:32 th:TH_LOAD_LU ; 4-byte Folded Reload
	v_div_scale_f32 v9, vcc_lo, v2, v3, v2
	s_delay_alu instid0(VALU_DEP_1) | instskip(NEXT) | instid1(VALU_DEP_1)
	v_dual_add_f32 v4, 0, v1 :: v_dual_mul_f32 v11, v9, v7
	v_div_scale_f32 v6, null, v3, v3, v4
	v_div_scale_f32 v10, s3, v4, v3, v4
	s_delay_alu instid0(VALU_DEP_3) | instskip(NEXT) | instid1(VALU_DEP_3)
	v_fma_f32 v13, -v5, v11, v9
	v_rcp_f32_e32 v8, v6
	s_delay_alu instid0(VALU_DEP_1) | instskip(NEXT) | instid1(VALU_DEP_1)
	v_fmac_f32_e32 v11, v13, v7
	v_fma_f32 v5, -v5, v11, v9
	s_delay_alu instid0(TRANS32_DEP_1) | instskip(SKIP_1) | instid1(VALU_DEP_2)
	v_fma_f32 v1, -v6, v8, 1.0
	s_wait_alu 0xfffd
	v_div_fmas_f32 v5, v5, v7, v11
	s_delay_alu instid0(VALU_DEP_2) | instskip(SKIP_1) | instid1(VALU_DEP_2)
	v_fmac_f32_e32 v8, v1, v8
	s_mov_b32 vcc_lo, s3
	v_div_fixup_f32 v2, v5, v3, v2
	s_delay_alu instid0(VALU_DEP_2) | instskip(NEXT) | instid1(VALU_DEP_1)
	v_mul_f32_e32 v12, v10, v8
	v_fma_f32 v14, -v6, v12, v10
	s_delay_alu instid0(VALU_DEP_1) | instskip(NEXT) | instid1(VALU_DEP_1)
	v_fmac_f32_e32 v12, v14, v8
	v_fma_f32 v6, -v6, v12, v10
	s_wait_alu 0xfffe
	s_delay_alu instid0(VALU_DEP_1) | instskip(NEXT) | instid1(VALU_DEP_1)
	v_div_fmas_f32 v6, v6, v8, v12
	v_div_fixup_f32 v3, v6, v3, v4
	s_wait_loadcnt 0x0
	v_mad_co_u64_u32 v[0:1], null, v0, s25, v[132:133]
	s_delay_alu instid0(VALU_DEP_1) | instskip(NEXT) | instid1(VALU_DEP_1)
	v_mad_co_u64_u32 v[0:1], null, v0, 56, v[141:142]
	v_ashrrev_i32_e32 v1, 31, v0
	s_delay_alu instid0(VALU_DEP_1) | instskip(NEXT) | instid1(VALU_DEP_1)
	v_lshlrev_b64_e32 v[0:1], 3, v[0:1]
	v_add_co_u32 v4, vcc_lo, s72, v0
	s_wait_alu 0xfffd
	s_delay_alu instid0(VALU_DEP_2)
	v_add_co_ci_u32_e64 v5, null, s73, v1, vcc_lo
	v_mov_b32_e32 v0, 0
	global_store_b64 v[4:5], v[2:3], off
.LBB19_396:                             ;   in Loop: Header=BB19_9 Depth=1
	s_wait_alu 0xfffe
	s_or_b32 exec_lo, exec_lo, s4
	s_mov_b32 s3, -1
	s_mov_b32 s4, exec_lo
	v_cmpx_gt_i32_e32 50, v0
; %bb.397:                              ;   in Loop: Header=BB19_9 Depth=1
	v_cmp_eq_u32_e32 vcc_lo, 0, v0
	s_or_not1_b32 s3, vcc_lo, exec_lo
; %bb.398:                              ;   in Loop: Header=BB19_9 Depth=1
	s_wait_alu 0xfffe
	s_or_b32 exec_lo, exec_lo, s4
	s_and_saveexec_b32 s4, s3
	s_cbranch_execz .LBB19_471
; %bb.399:                              ;   in Loop: Header=BB19_9 Depth=1
	v_mov_b32_e32 v0, 50
	s_and_saveexec_b32 s5, s2
	s_cbranch_execz .LBB19_401
; %bb.400:                              ;   in Loop: Header=BB19_9 Depth=1
	scratch_load_b32 v1, off, off offset:756 ; 4-byte Folded Reload
	s_wait_loadcnt 0x0
	v_add_nc_u32_e32 v0, v1, v198
	ds_load_b32 v0, v0
	ds_load_b32 v3, v1 offset:228
	s_wait_dscnt 0x1
	v_lshrrev_b32_e32 v1, 16, v0
	v_cvt_f32_f16_e32 v0, v0
	s_delay_alu instid0(VALU_DEP_2) | instskip(NEXT) | instid1(VALU_DEP_2)
	v_cvt_f32_f16_e32 v1, v1
	v_add_f32_e32 v2, 0, v0
	s_wait_dscnt 0x0
	s_delay_alu instid0(VALU_DEP_1) | instskip(NEXT) | instid1(VALU_DEP_1)
	v_div_scale_f32 v5, null, v3, v3, v2
	v_rcp_f32_e32 v7, v5
	s_delay_alu instid0(TRANS32_DEP_1) | instskip(NEXT) | instid1(VALU_DEP_1)
	v_fma_f32 v0, -v5, v7, 1.0
	v_fmac_f32_e32 v7, v0, v7
	scratch_load_b32 v0, off, off offset:36 th:TH_LOAD_LU ; 4-byte Folded Reload
	v_div_scale_f32 v9, vcc_lo, v2, v3, v2
	s_delay_alu instid0(VALU_DEP_1) | instskip(NEXT) | instid1(VALU_DEP_1)
	v_dual_add_f32 v4, 0, v1 :: v_dual_mul_f32 v11, v9, v7
	v_div_scale_f32 v6, null, v3, v3, v4
	v_div_scale_f32 v10, s3, v4, v3, v4
	s_delay_alu instid0(VALU_DEP_3) | instskip(NEXT) | instid1(VALU_DEP_3)
	v_fma_f32 v13, -v5, v11, v9
	v_rcp_f32_e32 v8, v6
	s_delay_alu instid0(VALU_DEP_1) | instskip(NEXT) | instid1(VALU_DEP_1)
	v_fmac_f32_e32 v11, v13, v7
	v_fma_f32 v5, -v5, v11, v9
	s_delay_alu instid0(TRANS32_DEP_1) | instskip(SKIP_1) | instid1(VALU_DEP_2)
	v_fma_f32 v1, -v6, v8, 1.0
	s_wait_alu 0xfffd
	v_div_fmas_f32 v5, v5, v7, v11
	s_delay_alu instid0(VALU_DEP_2) | instskip(SKIP_1) | instid1(VALU_DEP_2)
	v_fmac_f32_e32 v8, v1, v8
	s_mov_b32 vcc_lo, s3
	v_div_fixup_f32 v2, v5, v3, v2
	s_delay_alu instid0(VALU_DEP_2) | instskip(NEXT) | instid1(VALU_DEP_1)
	v_mul_f32_e32 v12, v10, v8
	v_fma_f32 v14, -v6, v12, v10
	s_delay_alu instid0(VALU_DEP_1) | instskip(NEXT) | instid1(VALU_DEP_1)
	v_fmac_f32_e32 v12, v14, v8
	v_fma_f32 v6, -v6, v12, v10
	s_wait_alu 0xfffe
	s_delay_alu instid0(VALU_DEP_1) | instskip(NEXT) | instid1(VALU_DEP_1)
	v_div_fmas_f32 v6, v6, v8, v12
	v_div_fixup_f32 v3, v6, v3, v4
	s_wait_loadcnt 0x0
	v_mad_co_u64_u32 v[0:1], null, v0, s25, v[132:133]
	s_delay_alu instid0(VALU_DEP_1) | instskip(NEXT) | instid1(VALU_DEP_1)
	v_mad_co_u64_u32 v[0:1], null, v0, 56, v[141:142]
	v_ashrrev_i32_e32 v1, 31, v0
	s_delay_alu instid0(VALU_DEP_1) | instskip(NEXT) | instid1(VALU_DEP_1)
	v_lshlrev_b64_e32 v[0:1], 3, v[0:1]
	v_add_co_u32 v4, vcc_lo, s72, v0
	s_wait_alu 0xfffd
	s_delay_alu instid0(VALU_DEP_2)
	v_add_co_ci_u32_e64 v5, null, s73, v1, vcc_lo
	v_mov_b32_e32 v0, 0
	global_store_b64 v[4:5], v[2:3], off
.LBB19_401:                             ;   in Loop: Header=BB19_9 Depth=1
	s_wait_alu 0xfffe
	s_or_b32 exec_lo, exec_lo, s5
	s_mov_b32 s2, -1
	s_mov_b32 s3, exec_lo
	v_cmpx_gt_i32_e32 50, v0
; %bb.402:                              ;   in Loop: Header=BB19_9 Depth=1
	v_cmp_eq_u32_e32 vcc_lo, 0, v0
	s_or_not1_b32 s2, vcc_lo, exec_lo
; %bb.403:                              ;   in Loop: Header=BB19_9 Depth=1
	s_wait_alu 0xfffe
	s_or_b32 exec_lo, exec_lo, s3
	s_delay_alu instid0(SALU_CYCLE_1)
	s_and_b32 exec_lo, exec_lo, s2
	s_cbranch_execz .LBB19_471
; %bb.404:                              ;   in Loop: Header=BB19_9 Depth=1
	v_mov_b32_e32 v0, 50
	s_and_saveexec_b32 s2, s65
	s_cbranch_execz .LBB19_406
; %bb.405:                              ;   in Loop: Header=BB19_9 Depth=1
	scratch_load_b32 v1, off, off offset:784 ; 4-byte Folded Reload
	s_wait_loadcnt 0x0
	v_add_nc_u32_e32 v0, v1, v198
	ds_load_b32 v0, v0
	ds_load_b32 v3, v1 offset:228
	s_wait_dscnt 0x1
	v_lshrrev_b32_e32 v1, 16, v0
	v_cvt_f32_f16_e32 v0, v0
	s_delay_alu instid0(VALU_DEP_2) | instskip(NEXT) | instid1(VALU_DEP_2)
	v_cvt_f32_f16_e32 v1, v1
	v_add_f32_e32 v2, 0, v0
	s_wait_dscnt 0x0
	s_delay_alu instid0(VALU_DEP_1) | instskip(NEXT) | instid1(VALU_DEP_1)
	v_div_scale_f32 v5, null, v3, v3, v2
	v_rcp_f32_e32 v7, v5
	s_delay_alu instid0(TRANS32_DEP_1) | instskip(NEXT) | instid1(VALU_DEP_1)
	v_fma_f32 v0, -v5, v7, 1.0
	v_fmac_f32_e32 v7, v0, v7
	scratch_load_b32 v0, off, off offset:40 th:TH_LOAD_LU ; 4-byte Folded Reload
	v_div_scale_f32 v9, vcc_lo, v2, v3, v2
	s_delay_alu instid0(VALU_DEP_1) | instskip(NEXT) | instid1(VALU_DEP_1)
	v_dual_add_f32 v4, 0, v1 :: v_dual_mul_f32 v11, v9, v7
	v_div_scale_f32 v6, null, v3, v3, v4
	v_div_scale_f32 v10, s3, v4, v3, v4
	s_delay_alu instid0(VALU_DEP_3) | instskip(NEXT) | instid1(VALU_DEP_3)
	v_fma_f32 v13, -v5, v11, v9
	v_rcp_f32_e32 v8, v6
	s_delay_alu instid0(VALU_DEP_1) | instskip(NEXT) | instid1(VALU_DEP_1)
	v_fmac_f32_e32 v11, v13, v7
	v_fma_f32 v5, -v5, v11, v9
	s_delay_alu instid0(TRANS32_DEP_1) | instskip(SKIP_1) | instid1(VALU_DEP_2)
	v_fma_f32 v1, -v6, v8, 1.0
	s_wait_alu 0xfffd
	v_div_fmas_f32 v5, v5, v7, v11
	s_delay_alu instid0(VALU_DEP_2) | instskip(SKIP_1) | instid1(VALU_DEP_2)
	v_fmac_f32_e32 v8, v1, v8
	s_mov_b32 vcc_lo, s3
	v_div_fixup_f32 v2, v5, v3, v2
	s_delay_alu instid0(VALU_DEP_2) | instskip(NEXT) | instid1(VALU_DEP_1)
	v_mul_f32_e32 v12, v10, v8
	v_fma_f32 v14, -v6, v12, v10
	s_delay_alu instid0(VALU_DEP_1) | instskip(NEXT) | instid1(VALU_DEP_1)
	v_fmac_f32_e32 v12, v14, v8
	v_fma_f32 v6, -v6, v12, v10
	s_wait_alu 0xfffe
	s_delay_alu instid0(VALU_DEP_1) | instskip(NEXT) | instid1(VALU_DEP_1)
	v_div_fmas_f32 v6, v6, v8, v12
	v_div_fixup_f32 v3, v6, v3, v4
	s_wait_loadcnt 0x0
	v_mad_co_u64_u32 v[0:1], null, v0, s25, v[132:133]
	s_delay_alu instid0(VALU_DEP_1) | instskip(NEXT) | instid1(VALU_DEP_1)
	v_mad_co_u64_u32 v[0:1], null, v0, 56, v[141:142]
	v_ashrrev_i32_e32 v1, 31, v0
	s_delay_alu instid0(VALU_DEP_1) | instskip(NEXT) | instid1(VALU_DEP_1)
	v_lshlrev_b64_e32 v[0:1], 3, v[0:1]
	v_add_co_u32 v4, vcc_lo, s72, v0
	s_wait_alu 0xfffd
	s_delay_alu instid0(VALU_DEP_2)
	v_add_co_ci_u32_e64 v5, null, s73, v1, vcc_lo
	v_mov_b32_e32 v0, 0
	global_store_b64 v[4:5], v[2:3], off
.LBB19_406:                             ;   in Loop: Header=BB19_9 Depth=1
	s_wait_alu 0xfffe
	s_or_b32 exec_lo, exec_lo, s2
	s_mov_b32 s2, -1
	s_mov_b32 s3, exec_lo
	v_cmpx_gt_i32_e32 50, v0
; %bb.407:                              ;   in Loop: Header=BB19_9 Depth=1
	v_cmp_eq_u32_e32 vcc_lo, 0, v0
	s_or_not1_b32 s2, vcc_lo, exec_lo
; %bb.408:                              ;   in Loop: Header=BB19_9 Depth=1
	s_wait_alu 0xfffe
	s_or_b32 exec_lo, exec_lo, s3
	s_delay_alu instid0(SALU_CYCLE_1)
	s_and_b32 exec_lo, exec_lo, s2
	s_cbranch_execz .LBB19_471
; %bb.409:                              ;   in Loop: Header=BB19_9 Depth=1
	v_mov_b32_e32 v0, 50
	s_and_saveexec_b32 s2, s64
	s_cbranch_execz .LBB19_411
; %bb.410:                              ;   in Loop: Header=BB19_9 Depth=1
	scratch_load_b32 v1, off, off offset:808 ; 4-byte Folded Reload
	s_wait_loadcnt 0x0
	v_add_nc_u32_e32 v0, v1, v198
	ds_load_b32 v0, v0
	ds_load_b32 v3, v1 offset:228
	s_wait_dscnt 0x1
	v_lshrrev_b32_e32 v1, 16, v0
	v_cvt_f32_f16_e32 v0, v0
	s_delay_alu instid0(VALU_DEP_2) | instskip(NEXT) | instid1(VALU_DEP_2)
	v_cvt_f32_f16_e32 v1, v1
	v_add_f32_e32 v2, 0, v0
	s_wait_dscnt 0x0
	s_delay_alu instid0(VALU_DEP_1) | instskip(NEXT) | instid1(VALU_DEP_1)
	v_div_scale_f32 v5, null, v3, v3, v2
	v_rcp_f32_e32 v7, v5
	s_delay_alu instid0(TRANS32_DEP_1) | instskip(NEXT) | instid1(VALU_DEP_1)
	v_fma_f32 v0, -v5, v7, 1.0
	v_fmac_f32_e32 v7, v0, v7
	scratch_load_b32 v0, off, off offset:44 th:TH_LOAD_LU ; 4-byte Folded Reload
	v_div_scale_f32 v9, vcc_lo, v2, v3, v2
	s_delay_alu instid0(VALU_DEP_1) | instskip(NEXT) | instid1(VALU_DEP_1)
	v_dual_add_f32 v4, 0, v1 :: v_dual_mul_f32 v11, v9, v7
	v_div_scale_f32 v6, null, v3, v3, v4
	v_div_scale_f32 v10, s3, v4, v3, v4
	s_delay_alu instid0(VALU_DEP_3) | instskip(NEXT) | instid1(VALU_DEP_3)
	v_fma_f32 v13, -v5, v11, v9
	v_rcp_f32_e32 v8, v6
	s_delay_alu instid0(VALU_DEP_1) | instskip(NEXT) | instid1(VALU_DEP_1)
	v_fmac_f32_e32 v11, v13, v7
	v_fma_f32 v5, -v5, v11, v9
	s_delay_alu instid0(TRANS32_DEP_1) | instskip(SKIP_1) | instid1(VALU_DEP_2)
	v_fma_f32 v1, -v6, v8, 1.0
	s_wait_alu 0xfffd
	v_div_fmas_f32 v5, v5, v7, v11
	s_delay_alu instid0(VALU_DEP_2) | instskip(SKIP_1) | instid1(VALU_DEP_2)
	v_fmac_f32_e32 v8, v1, v8
	s_mov_b32 vcc_lo, s3
	v_div_fixup_f32 v2, v5, v3, v2
	s_delay_alu instid0(VALU_DEP_2) | instskip(NEXT) | instid1(VALU_DEP_1)
	v_mul_f32_e32 v12, v10, v8
	v_fma_f32 v14, -v6, v12, v10
	s_delay_alu instid0(VALU_DEP_1) | instskip(NEXT) | instid1(VALU_DEP_1)
	v_fmac_f32_e32 v12, v14, v8
	v_fma_f32 v6, -v6, v12, v10
	s_wait_alu 0xfffe
	s_delay_alu instid0(VALU_DEP_1) | instskip(NEXT) | instid1(VALU_DEP_1)
	v_div_fmas_f32 v6, v6, v8, v12
	v_div_fixup_f32 v3, v6, v3, v4
	s_wait_loadcnt 0x0
	v_mad_co_u64_u32 v[0:1], null, v0, s25, v[132:133]
	s_delay_alu instid0(VALU_DEP_1) | instskip(NEXT) | instid1(VALU_DEP_1)
	v_mad_co_u64_u32 v[0:1], null, v0, 56, v[141:142]
	v_ashrrev_i32_e32 v1, 31, v0
	s_delay_alu instid0(VALU_DEP_1) | instskip(NEXT) | instid1(VALU_DEP_1)
	v_lshlrev_b64_e32 v[0:1], 3, v[0:1]
	v_add_co_u32 v4, vcc_lo, s72, v0
	s_wait_alu 0xfffd
	s_delay_alu instid0(VALU_DEP_2)
	v_add_co_ci_u32_e64 v5, null, s73, v1, vcc_lo
	v_mov_b32_e32 v0, 0
	global_store_b64 v[4:5], v[2:3], off
.LBB19_411:                             ;   in Loop: Header=BB19_9 Depth=1
	s_wait_alu 0xfffe
	s_or_b32 exec_lo, exec_lo, s2
	s_mov_b32 s2, -1
	s_mov_b32 s3, exec_lo
	v_cmpx_gt_i32_e32 50, v0
; %bb.412:                              ;   in Loop: Header=BB19_9 Depth=1
	v_cmp_eq_u32_e32 vcc_lo, 0, v0
	s_or_not1_b32 s2, vcc_lo, exec_lo
; %bb.413:                              ;   in Loop: Header=BB19_9 Depth=1
	s_wait_alu 0xfffe
	s_or_b32 exec_lo, exec_lo, s3
	s_delay_alu instid0(SALU_CYCLE_1)
	s_and_b32 exec_lo, exec_lo, s2
	s_cbranch_execz .LBB19_471
; %bb.414:                              ;   in Loop: Header=BB19_9 Depth=1
	v_mov_b32_e32 v0, 50
	s_and_saveexec_b32 s2, s63
	s_cbranch_execz .LBB19_416
; %bb.415:                              ;   in Loop: Header=BB19_9 Depth=1
	scratch_load_b32 v1, off, off offset:820 ; 4-byte Folded Reload
	s_wait_loadcnt 0x0
	v_add_nc_u32_e32 v0, v1, v198
	ds_load_b32 v0, v0
	ds_load_b32 v3, v1 offset:228
	s_wait_dscnt 0x1
	v_lshrrev_b32_e32 v1, 16, v0
	v_cvt_f32_f16_e32 v0, v0
	s_delay_alu instid0(VALU_DEP_2) | instskip(NEXT) | instid1(VALU_DEP_2)
	v_cvt_f32_f16_e32 v1, v1
	v_add_f32_e32 v2, 0, v0
	s_wait_dscnt 0x0
	s_delay_alu instid0(VALU_DEP_1) | instskip(NEXT) | instid1(VALU_DEP_1)
	v_div_scale_f32 v5, null, v3, v3, v2
	v_rcp_f32_e32 v7, v5
	s_delay_alu instid0(TRANS32_DEP_1) | instskip(NEXT) | instid1(VALU_DEP_1)
	v_fma_f32 v0, -v5, v7, 1.0
	v_fmac_f32_e32 v7, v0, v7
	scratch_load_b32 v0, off, off offset:48 th:TH_LOAD_LU ; 4-byte Folded Reload
	v_div_scale_f32 v9, vcc_lo, v2, v3, v2
	s_delay_alu instid0(VALU_DEP_1) | instskip(NEXT) | instid1(VALU_DEP_1)
	v_dual_add_f32 v4, 0, v1 :: v_dual_mul_f32 v11, v9, v7
	v_div_scale_f32 v6, null, v3, v3, v4
	v_div_scale_f32 v10, s3, v4, v3, v4
	s_delay_alu instid0(VALU_DEP_3) | instskip(NEXT) | instid1(VALU_DEP_3)
	v_fma_f32 v13, -v5, v11, v9
	v_rcp_f32_e32 v8, v6
	s_delay_alu instid0(VALU_DEP_1) | instskip(NEXT) | instid1(VALU_DEP_1)
	v_fmac_f32_e32 v11, v13, v7
	v_fma_f32 v5, -v5, v11, v9
	s_delay_alu instid0(TRANS32_DEP_1) | instskip(SKIP_1) | instid1(VALU_DEP_2)
	v_fma_f32 v1, -v6, v8, 1.0
	s_wait_alu 0xfffd
	v_div_fmas_f32 v5, v5, v7, v11
	s_delay_alu instid0(VALU_DEP_2) | instskip(SKIP_1) | instid1(VALU_DEP_2)
	v_fmac_f32_e32 v8, v1, v8
	s_mov_b32 vcc_lo, s3
	v_div_fixup_f32 v2, v5, v3, v2
	s_delay_alu instid0(VALU_DEP_2) | instskip(NEXT) | instid1(VALU_DEP_1)
	v_mul_f32_e32 v12, v10, v8
	v_fma_f32 v14, -v6, v12, v10
	s_delay_alu instid0(VALU_DEP_1) | instskip(NEXT) | instid1(VALU_DEP_1)
	v_fmac_f32_e32 v12, v14, v8
	v_fma_f32 v6, -v6, v12, v10
	s_wait_alu 0xfffe
	s_delay_alu instid0(VALU_DEP_1) | instskip(NEXT) | instid1(VALU_DEP_1)
	v_div_fmas_f32 v6, v6, v8, v12
	v_div_fixup_f32 v3, v6, v3, v4
	s_wait_loadcnt 0x0
	v_mad_co_u64_u32 v[0:1], null, v0, s25, v[132:133]
	s_delay_alu instid0(VALU_DEP_1) | instskip(NEXT) | instid1(VALU_DEP_1)
	v_mad_co_u64_u32 v[0:1], null, v0, 56, v[141:142]
	v_ashrrev_i32_e32 v1, 31, v0
	s_delay_alu instid0(VALU_DEP_1) | instskip(NEXT) | instid1(VALU_DEP_1)
	v_lshlrev_b64_e32 v[0:1], 3, v[0:1]
	v_add_co_u32 v4, vcc_lo, s72, v0
	s_wait_alu 0xfffd
	s_delay_alu instid0(VALU_DEP_2)
	v_add_co_ci_u32_e64 v5, null, s73, v1, vcc_lo
	v_mov_b32_e32 v0, 0
	global_store_b64 v[4:5], v[2:3], off
.LBB19_416:                             ;   in Loop: Header=BB19_9 Depth=1
	s_wait_alu 0xfffe
	s_or_b32 exec_lo, exec_lo, s2
	s_mov_b32 s2, -1
	s_mov_b32 s3, exec_lo
	v_cmpx_gt_i32_e32 50, v0
; %bb.417:                              ;   in Loop: Header=BB19_9 Depth=1
	v_cmp_eq_u32_e32 vcc_lo, 0, v0
	s_or_not1_b32 s2, vcc_lo, exec_lo
; %bb.418:                              ;   in Loop: Header=BB19_9 Depth=1
	s_wait_alu 0xfffe
	s_or_b32 exec_lo, exec_lo, s3
	s_delay_alu instid0(SALU_CYCLE_1)
	s_and_b32 exec_lo, exec_lo, s2
	s_cbranch_execz .LBB19_471
; %bb.419:                              ;   in Loop: Header=BB19_9 Depth=1
	v_mov_b32_e32 v0, 50
	s_and_saveexec_b32 s2, s62
	s_cbranch_execz .LBB19_421
; %bb.420:                              ;   in Loop: Header=BB19_9 Depth=1
	scratch_load_b32 v1, off, off offset:840 ; 4-byte Folded Reload
	s_wait_loadcnt 0x0
	v_add_nc_u32_e32 v0, v1, v198
	ds_load_b32 v0, v0
	ds_load_b32 v3, v1 offset:228
	s_wait_dscnt 0x1
	v_lshrrev_b32_e32 v1, 16, v0
	v_cvt_f32_f16_e32 v0, v0
	s_delay_alu instid0(VALU_DEP_2) | instskip(NEXT) | instid1(VALU_DEP_2)
	v_cvt_f32_f16_e32 v1, v1
	v_add_f32_e32 v2, 0, v0
	s_wait_dscnt 0x0
	s_delay_alu instid0(VALU_DEP_1) | instskip(NEXT) | instid1(VALU_DEP_1)
	v_div_scale_f32 v5, null, v3, v3, v2
	v_rcp_f32_e32 v7, v5
	s_delay_alu instid0(TRANS32_DEP_1) | instskip(NEXT) | instid1(VALU_DEP_1)
	v_fma_f32 v0, -v5, v7, 1.0
	v_fmac_f32_e32 v7, v0, v7
	scratch_load_b32 v0, off, off offset:52 th:TH_LOAD_LU ; 4-byte Folded Reload
	v_div_scale_f32 v9, vcc_lo, v2, v3, v2
	s_delay_alu instid0(VALU_DEP_1) | instskip(NEXT) | instid1(VALU_DEP_1)
	v_dual_add_f32 v4, 0, v1 :: v_dual_mul_f32 v11, v9, v7
	v_div_scale_f32 v6, null, v3, v3, v4
	v_div_scale_f32 v10, s3, v4, v3, v4
	s_delay_alu instid0(VALU_DEP_3) | instskip(NEXT) | instid1(VALU_DEP_3)
	v_fma_f32 v13, -v5, v11, v9
	v_rcp_f32_e32 v8, v6
	s_delay_alu instid0(VALU_DEP_1) | instskip(NEXT) | instid1(VALU_DEP_1)
	v_fmac_f32_e32 v11, v13, v7
	v_fma_f32 v5, -v5, v11, v9
	s_delay_alu instid0(TRANS32_DEP_1) | instskip(SKIP_1) | instid1(VALU_DEP_2)
	v_fma_f32 v1, -v6, v8, 1.0
	s_wait_alu 0xfffd
	v_div_fmas_f32 v5, v5, v7, v11
	s_delay_alu instid0(VALU_DEP_2) | instskip(SKIP_1) | instid1(VALU_DEP_2)
	v_fmac_f32_e32 v8, v1, v8
	s_mov_b32 vcc_lo, s3
	v_div_fixup_f32 v2, v5, v3, v2
	s_delay_alu instid0(VALU_DEP_2) | instskip(NEXT) | instid1(VALU_DEP_1)
	v_mul_f32_e32 v12, v10, v8
	v_fma_f32 v14, -v6, v12, v10
	s_delay_alu instid0(VALU_DEP_1) | instskip(NEXT) | instid1(VALU_DEP_1)
	v_fmac_f32_e32 v12, v14, v8
	v_fma_f32 v6, -v6, v12, v10
	s_wait_alu 0xfffe
	s_delay_alu instid0(VALU_DEP_1) | instskip(NEXT) | instid1(VALU_DEP_1)
	v_div_fmas_f32 v6, v6, v8, v12
	v_div_fixup_f32 v3, v6, v3, v4
	s_wait_loadcnt 0x0
	v_mad_co_u64_u32 v[0:1], null, v0, s25, v[132:133]
	s_delay_alu instid0(VALU_DEP_1) | instskip(NEXT) | instid1(VALU_DEP_1)
	v_mad_co_u64_u32 v[0:1], null, v0, 56, v[141:142]
	v_ashrrev_i32_e32 v1, 31, v0
	s_delay_alu instid0(VALU_DEP_1) | instskip(NEXT) | instid1(VALU_DEP_1)
	v_lshlrev_b64_e32 v[0:1], 3, v[0:1]
	v_add_co_u32 v4, vcc_lo, s72, v0
	s_wait_alu 0xfffd
	s_delay_alu instid0(VALU_DEP_2)
	v_add_co_ci_u32_e64 v5, null, s73, v1, vcc_lo
	v_mov_b32_e32 v0, 0
	global_store_b64 v[4:5], v[2:3], off
.LBB19_421:                             ;   in Loop: Header=BB19_9 Depth=1
	s_wait_alu 0xfffe
	s_or_b32 exec_lo, exec_lo, s2
	s_mov_b32 s2, -1
	s_mov_b32 s3, exec_lo
	v_cmpx_gt_i32_e32 50, v0
; %bb.422:                              ;   in Loop: Header=BB19_9 Depth=1
	v_cmp_eq_u32_e32 vcc_lo, 0, v0
	s_or_not1_b32 s2, vcc_lo, exec_lo
; %bb.423:                              ;   in Loop: Header=BB19_9 Depth=1
	s_wait_alu 0xfffe
	s_or_b32 exec_lo, exec_lo, s3
	s_delay_alu instid0(SALU_CYCLE_1)
	s_and_b32 exec_lo, exec_lo, s2
	s_cbranch_execz .LBB19_471
; %bb.424:                              ;   in Loop: Header=BB19_9 Depth=1
	v_mov_b32_e32 v0, 50
	s_and_saveexec_b32 s2, s61
	s_cbranch_execz .LBB19_426
; %bb.425:                              ;   in Loop: Header=BB19_9 Depth=1
	scratch_load_b32 v1, off, off offset:856 ; 4-byte Folded Reload
	s_wait_loadcnt 0x0
	v_add_nc_u32_e32 v0, v1, v198
	ds_load_b32 v0, v0
	ds_load_b32 v3, v1 offset:228
	s_wait_dscnt 0x1
	v_lshrrev_b32_e32 v1, 16, v0
	v_cvt_f32_f16_e32 v0, v0
	s_delay_alu instid0(VALU_DEP_2) | instskip(NEXT) | instid1(VALU_DEP_2)
	v_cvt_f32_f16_e32 v1, v1
	v_add_f32_e32 v2, 0, v0
	s_wait_dscnt 0x0
	s_delay_alu instid0(VALU_DEP_1) | instskip(NEXT) | instid1(VALU_DEP_1)
	v_div_scale_f32 v5, null, v3, v3, v2
	v_rcp_f32_e32 v7, v5
	s_delay_alu instid0(TRANS32_DEP_1) | instskip(NEXT) | instid1(VALU_DEP_1)
	v_fma_f32 v0, -v5, v7, 1.0
	v_fmac_f32_e32 v7, v0, v7
	scratch_load_b32 v0, off, off offset:56 th:TH_LOAD_LU ; 4-byte Folded Reload
	v_div_scale_f32 v9, vcc_lo, v2, v3, v2
	s_delay_alu instid0(VALU_DEP_1) | instskip(NEXT) | instid1(VALU_DEP_1)
	v_dual_add_f32 v4, 0, v1 :: v_dual_mul_f32 v11, v9, v7
	v_div_scale_f32 v6, null, v3, v3, v4
	v_div_scale_f32 v10, s3, v4, v3, v4
	s_delay_alu instid0(VALU_DEP_3) | instskip(NEXT) | instid1(VALU_DEP_3)
	v_fma_f32 v13, -v5, v11, v9
	v_rcp_f32_e32 v8, v6
	s_delay_alu instid0(VALU_DEP_1) | instskip(NEXT) | instid1(VALU_DEP_1)
	v_fmac_f32_e32 v11, v13, v7
	v_fma_f32 v5, -v5, v11, v9
	s_delay_alu instid0(TRANS32_DEP_1) | instskip(SKIP_1) | instid1(VALU_DEP_2)
	v_fma_f32 v1, -v6, v8, 1.0
	s_wait_alu 0xfffd
	v_div_fmas_f32 v5, v5, v7, v11
	s_delay_alu instid0(VALU_DEP_2) | instskip(SKIP_1) | instid1(VALU_DEP_2)
	v_fmac_f32_e32 v8, v1, v8
	s_mov_b32 vcc_lo, s3
	v_div_fixup_f32 v2, v5, v3, v2
	s_delay_alu instid0(VALU_DEP_2) | instskip(NEXT) | instid1(VALU_DEP_1)
	v_mul_f32_e32 v12, v10, v8
	v_fma_f32 v14, -v6, v12, v10
	s_delay_alu instid0(VALU_DEP_1) | instskip(NEXT) | instid1(VALU_DEP_1)
	v_fmac_f32_e32 v12, v14, v8
	v_fma_f32 v6, -v6, v12, v10
	s_wait_alu 0xfffe
	s_delay_alu instid0(VALU_DEP_1) | instskip(NEXT) | instid1(VALU_DEP_1)
	v_div_fmas_f32 v6, v6, v8, v12
	v_div_fixup_f32 v3, v6, v3, v4
	s_wait_loadcnt 0x0
	v_mad_co_u64_u32 v[0:1], null, v0, s25, v[132:133]
	s_delay_alu instid0(VALU_DEP_1) | instskip(NEXT) | instid1(VALU_DEP_1)
	v_mad_co_u64_u32 v[0:1], null, v0, 56, v[141:142]
	v_ashrrev_i32_e32 v1, 31, v0
	s_delay_alu instid0(VALU_DEP_1) | instskip(NEXT) | instid1(VALU_DEP_1)
	v_lshlrev_b64_e32 v[0:1], 3, v[0:1]
	v_add_co_u32 v4, vcc_lo, s72, v0
	s_wait_alu 0xfffd
	s_delay_alu instid0(VALU_DEP_2)
	v_add_co_ci_u32_e64 v5, null, s73, v1, vcc_lo
	v_mov_b32_e32 v0, 0
	global_store_b64 v[4:5], v[2:3], off
.LBB19_426:                             ;   in Loop: Header=BB19_9 Depth=1
	s_wait_alu 0xfffe
	s_or_b32 exec_lo, exec_lo, s2
	s_mov_b32 s2, -1
	s_mov_b32 s3, exec_lo
	v_cmpx_gt_i32_e32 50, v0
; %bb.427:                              ;   in Loop: Header=BB19_9 Depth=1
	v_cmp_eq_u32_e32 vcc_lo, 0, v0
	s_or_not1_b32 s2, vcc_lo, exec_lo
; %bb.428:                              ;   in Loop: Header=BB19_9 Depth=1
	s_wait_alu 0xfffe
	s_or_b32 exec_lo, exec_lo, s3
	s_delay_alu instid0(SALU_CYCLE_1)
	s_and_b32 exec_lo, exec_lo, s2
	s_cbranch_execz .LBB19_471
; %bb.429:                              ;   in Loop: Header=BB19_9 Depth=1
	v_mov_b32_e32 v0, 50
	s_and_saveexec_b32 s2, s60
	s_cbranch_execz .LBB19_431
; %bb.430:                              ;   in Loop: Header=BB19_9 Depth=1
	scratch_load_b32 v1, off, off offset:868 ; 4-byte Folded Reload
	s_wait_loadcnt 0x0
	v_add_nc_u32_e32 v0, v1, v198
	ds_load_b32 v0, v0
	ds_load_b32 v3, v1 offset:228
	s_wait_dscnt 0x1
	v_lshrrev_b32_e32 v1, 16, v0
	v_cvt_f32_f16_e32 v0, v0
	s_delay_alu instid0(VALU_DEP_2) | instskip(NEXT) | instid1(VALU_DEP_2)
	v_cvt_f32_f16_e32 v1, v1
	v_add_f32_e32 v2, 0, v0
	s_wait_dscnt 0x0
	s_delay_alu instid0(VALU_DEP_1) | instskip(NEXT) | instid1(VALU_DEP_1)
	v_div_scale_f32 v5, null, v3, v3, v2
	v_rcp_f32_e32 v7, v5
	s_delay_alu instid0(TRANS32_DEP_1) | instskip(NEXT) | instid1(VALU_DEP_1)
	v_fma_f32 v0, -v5, v7, 1.0
	v_fmac_f32_e32 v7, v0, v7
	scratch_load_b32 v0, off, off offset:60 th:TH_LOAD_LU ; 4-byte Folded Reload
	v_div_scale_f32 v9, vcc_lo, v2, v3, v2
	s_delay_alu instid0(VALU_DEP_1) | instskip(NEXT) | instid1(VALU_DEP_1)
	v_dual_add_f32 v4, 0, v1 :: v_dual_mul_f32 v11, v9, v7
	v_div_scale_f32 v6, null, v3, v3, v4
	v_div_scale_f32 v10, s3, v4, v3, v4
	s_delay_alu instid0(VALU_DEP_3) | instskip(NEXT) | instid1(VALU_DEP_3)
	v_fma_f32 v13, -v5, v11, v9
	v_rcp_f32_e32 v8, v6
	s_delay_alu instid0(VALU_DEP_1) | instskip(NEXT) | instid1(VALU_DEP_1)
	v_fmac_f32_e32 v11, v13, v7
	v_fma_f32 v5, -v5, v11, v9
	s_delay_alu instid0(TRANS32_DEP_1) | instskip(SKIP_1) | instid1(VALU_DEP_2)
	v_fma_f32 v1, -v6, v8, 1.0
	s_wait_alu 0xfffd
	v_div_fmas_f32 v5, v5, v7, v11
	s_delay_alu instid0(VALU_DEP_2) | instskip(SKIP_1) | instid1(VALU_DEP_2)
	v_fmac_f32_e32 v8, v1, v8
	s_mov_b32 vcc_lo, s3
	v_div_fixup_f32 v2, v5, v3, v2
	s_delay_alu instid0(VALU_DEP_2) | instskip(NEXT) | instid1(VALU_DEP_1)
	v_mul_f32_e32 v12, v10, v8
	v_fma_f32 v14, -v6, v12, v10
	s_delay_alu instid0(VALU_DEP_1) | instskip(NEXT) | instid1(VALU_DEP_1)
	v_fmac_f32_e32 v12, v14, v8
	v_fma_f32 v6, -v6, v12, v10
	s_wait_alu 0xfffe
	s_delay_alu instid0(VALU_DEP_1) | instskip(NEXT) | instid1(VALU_DEP_1)
	v_div_fmas_f32 v6, v6, v8, v12
	v_div_fixup_f32 v3, v6, v3, v4
	s_wait_loadcnt 0x0
	v_mad_co_u64_u32 v[0:1], null, v0, s25, v[132:133]
	s_delay_alu instid0(VALU_DEP_1) | instskip(NEXT) | instid1(VALU_DEP_1)
	v_mad_co_u64_u32 v[0:1], null, v0, 56, v[141:142]
	v_ashrrev_i32_e32 v1, 31, v0
	s_delay_alu instid0(VALU_DEP_1) | instskip(NEXT) | instid1(VALU_DEP_1)
	v_lshlrev_b64_e32 v[0:1], 3, v[0:1]
	v_add_co_u32 v4, vcc_lo, s72, v0
	s_wait_alu 0xfffd
	s_delay_alu instid0(VALU_DEP_2)
	v_add_co_ci_u32_e64 v5, null, s73, v1, vcc_lo
	v_mov_b32_e32 v0, 0
	global_store_b64 v[4:5], v[2:3], off
.LBB19_431:                             ;   in Loop: Header=BB19_9 Depth=1
	s_wait_alu 0xfffe
	s_or_b32 exec_lo, exec_lo, s2
	s_mov_b32 s2, -1
	s_mov_b32 s3, exec_lo
	v_cmpx_gt_i32_e32 50, v0
; %bb.432:                              ;   in Loop: Header=BB19_9 Depth=1
	v_cmp_eq_u32_e32 vcc_lo, 0, v0
	s_or_not1_b32 s2, vcc_lo, exec_lo
; %bb.433:                              ;   in Loop: Header=BB19_9 Depth=1
	s_wait_alu 0xfffe
	s_or_b32 exec_lo, exec_lo, s3
	s_delay_alu instid0(SALU_CYCLE_1)
	s_and_b32 exec_lo, exec_lo, s2
	s_cbranch_execz .LBB19_471
; %bb.434:                              ;   in Loop: Header=BB19_9 Depth=1
	v_mov_b32_e32 v0, 50
	s_and_saveexec_b32 s2, s59
	s_cbranch_execz .LBB19_436
; %bb.435:                              ;   in Loop: Header=BB19_9 Depth=1
	scratch_load_b32 v1, off, off offset:876 ; 4-byte Folded Reload
	s_wait_loadcnt 0x0
	v_add_nc_u32_e32 v0, v1, v198
	ds_load_b32 v0, v0
	ds_load_b32 v3, v1 offset:228
	s_wait_dscnt 0x1
	v_lshrrev_b32_e32 v1, 16, v0
	v_cvt_f32_f16_e32 v0, v0
	s_delay_alu instid0(VALU_DEP_2) | instskip(NEXT) | instid1(VALU_DEP_2)
	v_cvt_f32_f16_e32 v1, v1
	v_add_f32_e32 v2, 0, v0
	s_wait_dscnt 0x0
	s_delay_alu instid0(VALU_DEP_1) | instskip(NEXT) | instid1(VALU_DEP_1)
	v_div_scale_f32 v5, null, v3, v3, v2
	v_rcp_f32_e32 v7, v5
	s_delay_alu instid0(TRANS32_DEP_1) | instskip(NEXT) | instid1(VALU_DEP_1)
	v_fma_f32 v0, -v5, v7, 1.0
	v_fmac_f32_e32 v7, v0, v7
	scratch_load_b32 v0, off, off offset:64 th:TH_LOAD_LU ; 4-byte Folded Reload
	v_div_scale_f32 v9, vcc_lo, v2, v3, v2
	s_delay_alu instid0(VALU_DEP_1) | instskip(NEXT) | instid1(VALU_DEP_1)
	v_dual_add_f32 v4, 0, v1 :: v_dual_mul_f32 v11, v9, v7
	v_div_scale_f32 v6, null, v3, v3, v4
	v_div_scale_f32 v10, s3, v4, v3, v4
	s_delay_alu instid0(VALU_DEP_3) | instskip(NEXT) | instid1(VALU_DEP_3)
	v_fma_f32 v13, -v5, v11, v9
	v_rcp_f32_e32 v8, v6
	s_delay_alu instid0(VALU_DEP_1) | instskip(NEXT) | instid1(VALU_DEP_1)
	v_fmac_f32_e32 v11, v13, v7
	v_fma_f32 v5, -v5, v11, v9
	s_delay_alu instid0(TRANS32_DEP_1) | instskip(SKIP_1) | instid1(VALU_DEP_2)
	v_fma_f32 v1, -v6, v8, 1.0
	s_wait_alu 0xfffd
	v_div_fmas_f32 v5, v5, v7, v11
	s_delay_alu instid0(VALU_DEP_2) | instskip(SKIP_1) | instid1(VALU_DEP_2)
	v_fmac_f32_e32 v8, v1, v8
	s_mov_b32 vcc_lo, s3
	v_div_fixup_f32 v2, v5, v3, v2
	s_delay_alu instid0(VALU_DEP_2) | instskip(NEXT) | instid1(VALU_DEP_1)
	v_mul_f32_e32 v12, v10, v8
	v_fma_f32 v14, -v6, v12, v10
	s_delay_alu instid0(VALU_DEP_1) | instskip(NEXT) | instid1(VALU_DEP_1)
	v_fmac_f32_e32 v12, v14, v8
	v_fma_f32 v6, -v6, v12, v10
	s_wait_alu 0xfffe
	s_delay_alu instid0(VALU_DEP_1) | instskip(NEXT) | instid1(VALU_DEP_1)
	v_div_fmas_f32 v6, v6, v8, v12
	v_div_fixup_f32 v3, v6, v3, v4
	s_wait_loadcnt 0x0
	v_mad_co_u64_u32 v[0:1], null, v0, s25, v[132:133]
	s_delay_alu instid0(VALU_DEP_1) | instskip(NEXT) | instid1(VALU_DEP_1)
	v_mad_co_u64_u32 v[0:1], null, v0, 56, v[141:142]
	v_ashrrev_i32_e32 v1, 31, v0
	s_delay_alu instid0(VALU_DEP_1) | instskip(NEXT) | instid1(VALU_DEP_1)
	v_lshlrev_b64_e32 v[0:1], 3, v[0:1]
	v_add_co_u32 v4, vcc_lo, s72, v0
	s_wait_alu 0xfffd
	s_delay_alu instid0(VALU_DEP_2)
	v_add_co_ci_u32_e64 v5, null, s73, v1, vcc_lo
	v_mov_b32_e32 v0, 0
	global_store_b64 v[4:5], v[2:3], off
.LBB19_436:                             ;   in Loop: Header=BB19_9 Depth=1
	s_wait_alu 0xfffe
	s_or_b32 exec_lo, exec_lo, s2
	s_mov_b32 s2, -1
	s_mov_b32 s3, exec_lo
	v_cmpx_gt_i32_e32 50, v0
; %bb.437:                              ;   in Loop: Header=BB19_9 Depth=1
	v_cmp_eq_u32_e32 vcc_lo, 0, v0
	s_or_not1_b32 s2, vcc_lo, exec_lo
; %bb.438:                              ;   in Loop: Header=BB19_9 Depth=1
	s_wait_alu 0xfffe
	s_or_b32 exec_lo, exec_lo, s3
	s_delay_alu instid0(SALU_CYCLE_1)
	s_and_b32 exec_lo, exec_lo, s2
	s_cbranch_execz .LBB19_471
; %bb.439:                              ;   in Loop: Header=BB19_9 Depth=1
	v_mov_b32_e32 v0, 50
	s_and_saveexec_b32 s2, s58
	s_cbranch_execz .LBB19_441
; %bb.440:                              ;   in Loop: Header=BB19_9 Depth=1
	scratch_load_b32 v1, off, off offset:880 ; 4-byte Folded Reload
	s_wait_loadcnt 0x0
	v_add_nc_u32_e32 v0, v1, v198
	ds_load_b32 v0, v0
	ds_load_b32 v3, v1 offset:228
	s_wait_dscnt 0x1
	v_lshrrev_b32_e32 v1, 16, v0
	v_cvt_f32_f16_e32 v0, v0
	s_delay_alu instid0(VALU_DEP_2) | instskip(NEXT) | instid1(VALU_DEP_2)
	v_cvt_f32_f16_e32 v1, v1
	v_add_f32_e32 v2, 0, v0
	s_wait_dscnt 0x0
	s_delay_alu instid0(VALU_DEP_1) | instskip(NEXT) | instid1(VALU_DEP_1)
	v_div_scale_f32 v5, null, v3, v3, v2
	v_rcp_f32_e32 v7, v5
	s_delay_alu instid0(TRANS32_DEP_1) | instskip(NEXT) | instid1(VALU_DEP_1)
	v_fma_f32 v0, -v5, v7, 1.0
	v_fmac_f32_e32 v7, v0, v7
	scratch_load_b32 v0, off, off offset:68 th:TH_LOAD_LU ; 4-byte Folded Reload
	v_div_scale_f32 v9, vcc_lo, v2, v3, v2
	s_delay_alu instid0(VALU_DEP_1) | instskip(NEXT) | instid1(VALU_DEP_1)
	v_dual_add_f32 v4, 0, v1 :: v_dual_mul_f32 v11, v9, v7
	v_div_scale_f32 v6, null, v3, v3, v4
	v_div_scale_f32 v10, s3, v4, v3, v4
	s_delay_alu instid0(VALU_DEP_3) | instskip(NEXT) | instid1(VALU_DEP_3)
	v_fma_f32 v13, -v5, v11, v9
	v_rcp_f32_e32 v8, v6
	s_delay_alu instid0(VALU_DEP_1) | instskip(NEXT) | instid1(VALU_DEP_1)
	v_fmac_f32_e32 v11, v13, v7
	v_fma_f32 v5, -v5, v11, v9
	s_delay_alu instid0(TRANS32_DEP_1) | instskip(SKIP_1) | instid1(VALU_DEP_2)
	v_fma_f32 v1, -v6, v8, 1.0
	s_wait_alu 0xfffd
	v_div_fmas_f32 v5, v5, v7, v11
	s_delay_alu instid0(VALU_DEP_2) | instskip(SKIP_1) | instid1(VALU_DEP_2)
	v_fmac_f32_e32 v8, v1, v8
	s_mov_b32 vcc_lo, s3
	v_div_fixup_f32 v2, v5, v3, v2
	s_delay_alu instid0(VALU_DEP_2) | instskip(NEXT) | instid1(VALU_DEP_1)
	v_mul_f32_e32 v12, v10, v8
	v_fma_f32 v14, -v6, v12, v10
	s_delay_alu instid0(VALU_DEP_1) | instskip(NEXT) | instid1(VALU_DEP_1)
	v_fmac_f32_e32 v12, v14, v8
	v_fma_f32 v6, -v6, v12, v10
	s_wait_alu 0xfffe
	s_delay_alu instid0(VALU_DEP_1) | instskip(NEXT) | instid1(VALU_DEP_1)
	v_div_fmas_f32 v6, v6, v8, v12
	v_div_fixup_f32 v3, v6, v3, v4
	s_wait_loadcnt 0x0
	v_mad_co_u64_u32 v[0:1], null, v0, s25, v[132:133]
	s_delay_alu instid0(VALU_DEP_1) | instskip(NEXT) | instid1(VALU_DEP_1)
	v_mad_co_u64_u32 v[0:1], null, v0, 56, v[141:142]
	v_ashrrev_i32_e32 v1, 31, v0
	s_delay_alu instid0(VALU_DEP_1) | instskip(NEXT) | instid1(VALU_DEP_1)
	v_lshlrev_b64_e32 v[0:1], 3, v[0:1]
	v_add_co_u32 v4, vcc_lo, s72, v0
	s_wait_alu 0xfffd
	s_delay_alu instid0(VALU_DEP_2)
	v_add_co_ci_u32_e64 v5, null, s73, v1, vcc_lo
	v_mov_b32_e32 v0, 0
	global_store_b64 v[4:5], v[2:3], off
.LBB19_441:                             ;   in Loop: Header=BB19_9 Depth=1
	s_wait_alu 0xfffe
	s_or_b32 exec_lo, exec_lo, s2
	s_mov_b32 s2, -1
	s_mov_b32 s3, exec_lo
	v_cmpx_gt_i32_e32 50, v0
; %bb.442:                              ;   in Loop: Header=BB19_9 Depth=1
	v_cmp_eq_u32_e32 vcc_lo, 0, v0
	s_or_not1_b32 s2, vcc_lo, exec_lo
; %bb.443:                              ;   in Loop: Header=BB19_9 Depth=1
	s_wait_alu 0xfffe
	s_or_b32 exec_lo, exec_lo, s3
	s_delay_alu instid0(SALU_CYCLE_1)
	s_and_b32 exec_lo, exec_lo, s2
	s_cbranch_execz .LBB19_471
; %bb.444:                              ;   in Loop: Header=BB19_9 Depth=1
	v_mov_b32_e32 v0, 50
	s_and_saveexec_b32 s2, s45
	s_cbranch_execz .LBB19_446
; %bb.445:                              ;   in Loop: Header=BB19_9 Depth=1
	scratch_load_b32 v1, off, off offset:884 ; 4-byte Folded Reload
	s_wait_loadcnt 0x0
	v_add_nc_u32_e32 v0, v1, v198
	ds_load_b32 v0, v0
	ds_load_b32 v3, v1 offset:228
	s_wait_dscnt 0x1
	v_lshrrev_b32_e32 v1, 16, v0
	v_cvt_f32_f16_e32 v0, v0
	s_delay_alu instid0(VALU_DEP_2) | instskip(NEXT) | instid1(VALU_DEP_2)
	v_cvt_f32_f16_e32 v1, v1
	v_add_f32_e32 v2, 0, v0
	s_wait_dscnt 0x0
	s_delay_alu instid0(VALU_DEP_1) | instskip(NEXT) | instid1(VALU_DEP_1)
	v_div_scale_f32 v5, null, v3, v3, v2
	v_rcp_f32_e32 v7, v5
	s_delay_alu instid0(TRANS32_DEP_1) | instskip(NEXT) | instid1(VALU_DEP_1)
	v_fma_f32 v0, -v5, v7, 1.0
	v_fmac_f32_e32 v7, v0, v7
	v_div_scale_f32 v9, vcc_lo, v2, v3, v2
	s_delay_alu instid0(VALU_DEP_1) | instskip(NEXT) | instid1(VALU_DEP_1)
	v_dual_add_f32 v4, 0, v1 :: v_dual_mul_f32 v11, v9, v7
	v_div_scale_f32 v6, null, v3, v3, v4
	v_div_scale_f32 v10, s3, v4, v3, v4
	s_delay_alu instid0(VALU_DEP_3) | instskip(NEXT) | instid1(VALU_DEP_3)
	v_fma_f32 v13, -v5, v11, v9
	v_rcp_f32_e32 v8, v6
	s_delay_alu instid0(VALU_DEP_1) | instskip(NEXT) | instid1(VALU_DEP_1)
	v_fmac_f32_e32 v11, v13, v7
	v_fma_f32 v5, -v5, v11, v9
	s_delay_alu instid0(TRANS32_DEP_1) | instskip(SKIP_1) | instid1(VALU_DEP_2)
	v_fma_f32 v1, -v6, v8, 1.0
	s_wait_alu 0xfffd
	v_div_fmas_f32 v5, v5, v7, v11
	s_delay_alu instid0(VALU_DEP_2)
	v_fmac_f32_e32 v8, v1, v8
	v_mad_co_u64_u32 v[0:1], null, v176, s25, v[132:133]
	s_mov_b32 vcc_lo, s3
	v_div_fixup_f32 v2, v5, v3, v2
	v_mul_f32_e32 v12, v10, v8
	v_mad_co_u64_u32 v[0:1], null, v0, 56, v[141:142]
	s_delay_alu instid0(VALU_DEP_2) | instskip(NEXT) | instid1(VALU_DEP_1)
	v_fma_f32 v14, -v6, v12, v10
	v_fmac_f32_e32 v12, v14, v8
	s_delay_alu instid0(VALU_DEP_3) | instskip(NEXT) | instid1(VALU_DEP_2)
	v_ashrrev_i32_e32 v1, 31, v0
	v_fma_f32 v6, -v6, v12, v10
	s_delay_alu instid0(VALU_DEP_2) | instskip(SKIP_1) | instid1(VALU_DEP_2)
	v_lshlrev_b64_e32 v[0:1], 3, v[0:1]
	s_wait_alu 0xfffe
	v_div_fmas_f32 v6, v6, v8, v12
	s_delay_alu instid0(VALU_DEP_1) | instskip(NEXT) | instid1(VALU_DEP_3)
	v_div_fixup_f32 v3, v6, v3, v4
	v_add_co_u32 v4, vcc_lo, s72, v0
	s_wait_alu 0xfffd
	v_add_co_ci_u32_e64 v5, null, s73, v1, vcc_lo
	v_mov_b32_e32 v0, 0
	global_store_b64 v[4:5], v[2:3], off
.LBB19_446:                             ;   in Loop: Header=BB19_9 Depth=1
	s_wait_alu 0xfffe
	s_or_b32 exec_lo, exec_lo, s2
	s_mov_b32 s2, -1
	s_mov_b32 s3, exec_lo
	v_cmpx_gt_i32_e32 50, v0
; %bb.447:                              ;   in Loop: Header=BB19_9 Depth=1
	v_cmp_eq_u32_e32 vcc_lo, 0, v0
	s_or_not1_b32 s2, vcc_lo, exec_lo
; %bb.448:                              ;   in Loop: Header=BB19_9 Depth=1
	s_wait_alu 0xfffe
	s_or_b32 exec_lo, exec_lo, s3
	s_delay_alu instid0(SALU_CYCLE_1)
	s_and_b32 exec_lo, exec_lo, s2
	s_cbranch_execz .LBB19_471
; %bb.449:                              ;   in Loop: Header=BB19_9 Depth=1
	v_mov_b32_e32 v0, 50
	s_and_saveexec_b32 s2, s99
	s_cbranch_execz .LBB19_451
; %bb.450:                              ;   in Loop: Header=BB19_9 Depth=1
	scratch_load_b32 v1, off, off offset:888 ; 4-byte Folded Reload
	s_wait_loadcnt 0x0
	v_add_nc_u32_e32 v0, v1, v198
	ds_load_b32 v0, v0
	ds_load_b32 v3, v1 offset:228
	s_wait_dscnt 0x1
	v_lshrrev_b32_e32 v1, 16, v0
	v_cvt_f32_f16_e32 v0, v0
	s_delay_alu instid0(VALU_DEP_2) | instskip(NEXT) | instid1(VALU_DEP_2)
	v_cvt_f32_f16_e32 v1, v1
	v_add_f32_e32 v2, 0, v0
	s_wait_dscnt 0x0
	s_delay_alu instid0(VALU_DEP_1) | instskip(NEXT) | instid1(VALU_DEP_1)
	v_div_scale_f32 v5, null, v3, v3, v2
	v_rcp_f32_e32 v7, v5
	s_delay_alu instid0(TRANS32_DEP_1) | instskip(NEXT) | instid1(VALU_DEP_1)
	v_fma_f32 v0, -v5, v7, 1.0
	v_fmac_f32_e32 v7, v0, v7
	v_div_scale_f32 v9, vcc_lo, v2, v3, v2
	s_delay_alu instid0(VALU_DEP_1) | instskip(NEXT) | instid1(VALU_DEP_1)
	v_dual_add_f32 v4, 0, v1 :: v_dual_mul_f32 v11, v9, v7
	v_div_scale_f32 v6, null, v3, v3, v4
	v_div_scale_f32 v10, s3, v4, v3, v4
	s_delay_alu instid0(VALU_DEP_3) | instskip(NEXT) | instid1(VALU_DEP_3)
	v_fma_f32 v13, -v5, v11, v9
	v_rcp_f32_e32 v8, v6
	s_delay_alu instid0(VALU_DEP_1) | instskip(NEXT) | instid1(VALU_DEP_1)
	v_fmac_f32_e32 v11, v13, v7
	v_fma_f32 v5, -v5, v11, v9
	s_delay_alu instid0(TRANS32_DEP_1) | instskip(SKIP_1) | instid1(VALU_DEP_2)
	v_fma_f32 v1, -v6, v8, 1.0
	s_wait_alu 0xfffd
	v_div_fmas_f32 v5, v5, v7, v11
	s_delay_alu instid0(VALU_DEP_2)
	v_fmac_f32_e32 v8, v1, v8
	v_mad_co_u64_u32 v[0:1], null, v175, s25, v[132:133]
	s_mov_b32 vcc_lo, s3
	v_div_fixup_f32 v2, v5, v3, v2
	v_mul_f32_e32 v12, v10, v8
	v_mad_co_u64_u32 v[0:1], null, v0, 56, v[141:142]
	s_delay_alu instid0(VALU_DEP_2) | instskip(NEXT) | instid1(VALU_DEP_1)
	v_fma_f32 v14, -v6, v12, v10
	v_fmac_f32_e32 v12, v14, v8
	s_delay_alu instid0(VALU_DEP_3) | instskip(NEXT) | instid1(VALU_DEP_2)
	v_ashrrev_i32_e32 v1, 31, v0
	v_fma_f32 v6, -v6, v12, v10
	s_delay_alu instid0(VALU_DEP_2) | instskip(SKIP_1) | instid1(VALU_DEP_2)
	v_lshlrev_b64_e32 v[0:1], 3, v[0:1]
	s_wait_alu 0xfffe
	v_div_fmas_f32 v6, v6, v8, v12
	s_delay_alu instid0(VALU_DEP_1) | instskip(NEXT) | instid1(VALU_DEP_3)
	v_div_fixup_f32 v3, v6, v3, v4
	v_add_co_u32 v4, vcc_lo, s72, v0
	s_wait_alu 0xfffd
	v_add_co_ci_u32_e64 v5, null, s73, v1, vcc_lo
	v_mov_b32_e32 v0, 0
	global_store_b64 v[4:5], v[2:3], off
.LBB19_451:                             ;   in Loop: Header=BB19_9 Depth=1
	s_wait_alu 0xfffe
	s_or_b32 exec_lo, exec_lo, s2
	s_mov_b32 s2, -1
	s_mov_b32 s3, exec_lo
	v_cmpx_gt_i32_e32 50, v0
; %bb.452:                              ;   in Loop: Header=BB19_9 Depth=1
	v_cmp_eq_u32_e32 vcc_lo, 0, v0
	s_or_not1_b32 s2, vcc_lo, exec_lo
; %bb.453:                              ;   in Loop: Header=BB19_9 Depth=1
	s_wait_alu 0xfffe
	s_or_b32 exec_lo, exec_lo, s3
	s_delay_alu instid0(SALU_CYCLE_1)
	s_and_b32 exec_lo, exec_lo, s2
	s_cbranch_execz .LBB19_471
; %bb.454:                              ;   in Loop: Header=BB19_9 Depth=1
	v_mov_b32_e32 v0, 50
	s_and_saveexec_b32 s2, s50
	s_cbranch_execz .LBB19_456
; %bb.455:                              ;   in Loop: Header=BB19_9 Depth=1
	scratch_load_b32 v1, off, off offset:896 ; 4-byte Folded Reload
	s_wait_loadcnt 0x0
	v_add_nc_u32_e32 v0, v1, v198
	ds_load_b32 v0, v0
	ds_load_b32 v3, v1 offset:228
	s_wait_dscnt 0x1
	v_lshrrev_b32_e32 v1, 16, v0
	v_cvt_f32_f16_e32 v0, v0
	s_delay_alu instid0(VALU_DEP_2) | instskip(NEXT) | instid1(VALU_DEP_2)
	v_cvt_f32_f16_e32 v1, v1
	v_add_f32_e32 v2, 0, v0
	s_wait_dscnt 0x0
	s_delay_alu instid0(VALU_DEP_1) | instskip(NEXT) | instid1(VALU_DEP_1)
	v_div_scale_f32 v5, null, v3, v3, v2
	v_rcp_f32_e32 v7, v5
	s_delay_alu instid0(TRANS32_DEP_1) | instskip(NEXT) | instid1(VALU_DEP_1)
	v_fma_f32 v0, -v5, v7, 1.0
	v_fmac_f32_e32 v7, v0, v7
	v_div_scale_f32 v9, vcc_lo, v2, v3, v2
	s_delay_alu instid0(VALU_DEP_1) | instskip(NEXT) | instid1(VALU_DEP_1)
	v_dual_add_f32 v4, 0, v1 :: v_dual_mul_f32 v11, v9, v7
	v_div_scale_f32 v6, null, v3, v3, v4
	v_div_scale_f32 v10, s3, v4, v3, v4
	s_delay_alu instid0(VALU_DEP_3) | instskip(NEXT) | instid1(VALU_DEP_3)
	v_fma_f32 v13, -v5, v11, v9
	v_rcp_f32_e32 v8, v6
	s_delay_alu instid0(VALU_DEP_1) | instskip(NEXT) | instid1(VALU_DEP_1)
	v_fmac_f32_e32 v11, v13, v7
	v_fma_f32 v5, -v5, v11, v9
	s_delay_alu instid0(TRANS32_DEP_1) | instskip(SKIP_1) | instid1(VALU_DEP_2)
	v_fma_f32 v1, -v6, v8, 1.0
	s_wait_alu 0xfffd
	v_div_fmas_f32 v5, v5, v7, v11
	s_delay_alu instid0(VALU_DEP_2)
	v_fmac_f32_e32 v8, v1, v8
	v_mad_co_u64_u32 v[0:1], null, v174, s25, v[132:133]
	s_mov_b32 vcc_lo, s3
	v_div_fixup_f32 v2, v5, v3, v2
	v_mul_f32_e32 v12, v10, v8
	v_mad_co_u64_u32 v[0:1], null, v0, 56, v[141:142]
	s_delay_alu instid0(VALU_DEP_2) | instskip(NEXT) | instid1(VALU_DEP_1)
	v_fma_f32 v14, -v6, v12, v10
	v_fmac_f32_e32 v12, v14, v8
	s_delay_alu instid0(VALU_DEP_3) | instskip(NEXT) | instid1(VALU_DEP_2)
	v_ashrrev_i32_e32 v1, 31, v0
	v_fma_f32 v6, -v6, v12, v10
	s_delay_alu instid0(VALU_DEP_2) | instskip(SKIP_1) | instid1(VALU_DEP_2)
	v_lshlrev_b64_e32 v[0:1], 3, v[0:1]
	s_wait_alu 0xfffe
	v_div_fmas_f32 v6, v6, v8, v12
	s_delay_alu instid0(VALU_DEP_1) | instskip(NEXT) | instid1(VALU_DEP_3)
	v_div_fixup_f32 v3, v6, v3, v4
	v_add_co_u32 v4, vcc_lo, s72, v0
	s_wait_alu 0xfffd
	v_add_co_ci_u32_e64 v5, null, s73, v1, vcc_lo
	v_mov_b32_e32 v0, 0
	global_store_b64 v[4:5], v[2:3], off
.LBB19_456:                             ;   in Loop: Header=BB19_9 Depth=1
	s_wait_alu 0xfffe
	s_or_b32 exec_lo, exec_lo, s2
	s_mov_b32 s2, -1
	s_mov_b32 s3, exec_lo
	v_cmpx_gt_i32_e32 50, v0
; %bb.457:                              ;   in Loop: Header=BB19_9 Depth=1
	v_cmp_eq_u32_e32 vcc_lo, 0, v0
	s_or_not1_b32 s2, vcc_lo, exec_lo
; %bb.458:                              ;   in Loop: Header=BB19_9 Depth=1
	s_wait_alu 0xfffe
	s_or_b32 exec_lo, exec_lo, s3
	s_delay_alu instid0(SALU_CYCLE_1)
	s_and_b32 exec_lo, exec_lo, s2
	s_cbranch_execz .LBB19_471
; %bb.459:                              ;   in Loop: Header=BB19_9 Depth=1
	v_mov_b32_e32 v0, 50
	s_and_saveexec_b32 s2, s30
	s_cbranch_execz .LBB19_461
; %bb.460:                              ;   in Loop: Header=BB19_9 Depth=1
	scratch_load_b32 v1, off, off offset:900 ; 4-byte Folded Reload
	s_wait_loadcnt 0x0
	v_add_nc_u32_e32 v0, v1, v198
	ds_load_b32 v0, v0
	ds_load_b32 v3, v1 offset:228
	s_wait_dscnt 0x1
	v_lshrrev_b32_e32 v1, 16, v0
	v_cvt_f32_f16_e32 v0, v0
	s_delay_alu instid0(VALU_DEP_2) | instskip(NEXT) | instid1(VALU_DEP_2)
	v_cvt_f32_f16_e32 v1, v1
	v_add_f32_e32 v2, 0, v0
	s_wait_dscnt 0x0
	s_delay_alu instid0(VALU_DEP_1) | instskip(NEXT) | instid1(VALU_DEP_1)
	v_div_scale_f32 v5, null, v3, v3, v2
	v_rcp_f32_e32 v7, v5
	s_delay_alu instid0(TRANS32_DEP_1) | instskip(NEXT) | instid1(VALU_DEP_1)
	v_fma_f32 v0, -v5, v7, 1.0
	v_fmac_f32_e32 v7, v0, v7
	v_div_scale_f32 v9, vcc_lo, v2, v3, v2
	s_delay_alu instid0(VALU_DEP_1) | instskip(NEXT) | instid1(VALU_DEP_1)
	v_dual_add_f32 v4, 0, v1 :: v_dual_mul_f32 v11, v9, v7
	v_div_scale_f32 v6, null, v3, v3, v4
	v_div_scale_f32 v10, s3, v4, v3, v4
	s_delay_alu instid0(VALU_DEP_3) | instskip(NEXT) | instid1(VALU_DEP_3)
	v_fma_f32 v13, -v5, v11, v9
	v_rcp_f32_e32 v8, v6
	s_delay_alu instid0(VALU_DEP_1) | instskip(NEXT) | instid1(VALU_DEP_1)
	v_fmac_f32_e32 v11, v13, v7
	v_fma_f32 v5, -v5, v11, v9
	s_delay_alu instid0(TRANS32_DEP_1) | instskip(SKIP_1) | instid1(VALU_DEP_2)
	v_fma_f32 v1, -v6, v8, 1.0
	s_wait_alu 0xfffd
	v_div_fmas_f32 v5, v5, v7, v11
	s_delay_alu instid0(VALU_DEP_2)
	v_fmac_f32_e32 v8, v1, v8
	v_mad_co_u64_u32 v[0:1], null, v173, s25, v[132:133]
	s_mov_b32 vcc_lo, s3
	v_div_fixup_f32 v2, v5, v3, v2
	v_mul_f32_e32 v12, v10, v8
	v_mad_co_u64_u32 v[0:1], null, v0, 56, v[141:142]
	s_delay_alu instid0(VALU_DEP_2) | instskip(NEXT) | instid1(VALU_DEP_1)
	v_fma_f32 v14, -v6, v12, v10
	v_fmac_f32_e32 v12, v14, v8
	s_delay_alu instid0(VALU_DEP_3) | instskip(NEXT) | instid1(VALU_DEP_2)
	v_ashrrev_i32_e32 v1, 31, v0
	v_fma_f32 v6, -v6, v12, v10
	s_delay_alu instid0(VALU_DEP_2) | instskip(SKIP_1) | instid1(VALU_DEP_2)
	v_lshlrev_b64_e32 v[0:1], 3, v[0:1]
	s_wait_alu 0xfffe
	v_div_fmas_f32 v6, v6, v8, v12
	s_delay_alu instid0(VALU_DEP_1) | instskip(NEXT) | instid1(VALU_DEP_3)
	v_div_fixup_f32 v3, v6, v3, v4
	v_add_co_u32 v4, vcc_lo, s72, v0
	s_wait_alu 0xfffd
	v_add_co_ci_u32_e64 v5, null, s73, v1, vcc_lo
	v_mov_b32_e32 v0, 0
	global_store_b64 v[4:5], v[2:3], off
.LBB19_461:                             ;   in Loop: Header=BB19_9 Depth=1
	s_wait_alu 0xfffe
	s_or_b32 exec_lo, exec_lo, s2
	s_mov_b32 s2, -1
	s_mov_b32 s3, exec_lo
	v_cmpx_gt_i32_e32 50, v0
; %bb.462:                              ;   in Loop: Header=BB19_9 Depth=1
	v_cmp_eq_u32_e32 vcc_lo, 0, v0
	s_or_not1_b32 s2, vcc_lo, exec_lo
; %bb.463:                              ;   in Loop: Header=BB19_9 Depth=1
	s_wait_alu 0xfffe
	s_or_b32 exec_lo, exec_lo, s3
	s_delay_alu instid0(SALU_CYCLE_1)
	s_and_b32 exec_lo, exec_lo, s2
	s_cbranch_execz .LBB19_471
; %bb.464:                              ;   in Loop: Header=BB19_9 Depth=1
	v_mov_b32_e32 v0, 50
	s_and_saveexec_b32 s2, vcc_hi
	s_cbranch_execz .LBB19_466
; %bb.465:                              ;   in Loop: Header=BB19_9 Depth=1
	scratch_load_b32 v1, off, off offset:904 ; 4-byte Folded Reload
	s_wait_loadcnt 0x0
	v_add_nc_u32_e32 v0, v1, v198
	ds_load_b32 v0, v0
	ds_load_b32 v3, v1 offset:228
	s_wait_dscnt 0x1
	v_lshrrev_b32_e32 v1, 16, v0
	v_cvt_f32_f16_e32 v0, v0
	s_delay_alu instid0(VALU_DEP_2) | instskip(NEXT) | instid1(VALU_DEP_2)
	v_cvt_f32_f16_e32 v1, v1
	v_add_f32_e32 v2, 0, v0
	s_wait_dscnt 0x0
	s_delay_alu instid0(VALU_DEP_1) | instskip(NEXT) | instid1(VALU_DEP_1)
	v_div_scale_f32 v5, null, v3, v3, v2
	v_rcp_f32_e32 v7, v5
	s_delay_alu instid0(TRANS32_DEP_1) | instskip(NEXT) | instid1(VALU_DEP_1)
	v_fma_f32 v0, -v5, v7, 1.0
	v_fmac_f32_e32 v7, v0, v7
	v_div_scale_f32 v9, vcc_lo, v2, v3, v2
	s_delay_alu instid0(VALU_DEP_1) | instskip(NEXT) | instid1(VALU_DEP_1)
	v_dual_add_f32 v4, 0, v1 :: v_dual_mul_f32 v11, v9, v7
	v_div_scale_f32 v6, null, v3, v3, v4
	v_div_scale_f32 v10, s3, v4, v3, v4
	s_delay_alu instid0(VALU_DEP_3) | instskip(NEXT) | instid1(VALU_DEP_3)
	v_fma_f32 v13, -v5, v11, v9
	v_rcp_f32_e32 v8, v6
	s_delay_alu instid0(VALU_DEP_1) | instskip(NEXT) | instid1(VALU_DEP_1)
	v_fmac_f32_e32 v11, v13, v7
	v_fma_f32 v5, -v5, v11, v9
	s_delay_alu instid0(TRANS32_DEP_1) | instskip(SKIP_1) | instid1(VALU_DEP_2)
	v_fma_f32 v1, -v6, v8, 1.0
	s_wait_alu 0xfffd
	v_div_fmas_f32 v5, v5, v7, v11
	s_delay_alu instid0(VALU_DEP_2)
	v_fmac_f32_e32 v8, v1, v8
	v_mad_co_u64_u32 v[0:1], null, v172, s25, v[132:133]
	s_mov_b32 vcc_lo, s3
	v_div_fixup_f32 v2, v5, v3, v2
	v_mul_f32_e32 v12, v10, v8
	v_mad_co_u64_u32 v[0:1], null, v0, 56, v[141:142]
	s_delay_alu instid0(VALU_DEP_2) | instskip(NEXT) | instid1(VALU_DEP_1)
	v_fma_f32 v14, -v6, v12, v10
	v_fmac_f32_e32 v12, v14, v8
	s_delay_alu instid0(VALU_DEP_3) | instskip(NEXT) | instid1(VALU_DEP_2)
	v_ashrrev_i32_e32 v1, 31, v0
	v_fma_f32 v6, -v6, v12, v10
	s_delay_alu instid0(VALU_DEP_2) | instskip(SKIP_1) | instid1(VALU_DEP_2)
	v_lshlrev_b64_e32 v[0:1], 3, v[0:1]
	s_wait_alu 0xfffe
	v_div_fmas_f32 v6, v6, v8, v12
	s_delay_alu instid0(VALU_DEP_1) | instskip(NEXT) | instid1(VALU_DEP_3)
	v_div_fixup_f32 v3, v6, v3, v4
	v_add_co_u32 v4, vcc_lo, s72, v0
	s_wait_alu 0xfffd
	v_add_co_ci_u32_e64 v5, null, s73, v1, vcc_lo
	v_mov_b32_e32 v0, 0
	global_store_b64 v[4:5], v[2:3], off
.LBB19_466:                             ;   in Loop: Header=BB19_9 Depth=1
	s_wait_alu 0xfffe
	s_or_b32 exec_lo, exec_lo, s2
	s_mov_b32 s2, -1
	s_mov_b32 s3, exec_lo
	v_cmpx_gt_i32_e32 50, v0
; %bb.467:                              ;   in Loop: Header=BB19_9 Depth=1
	v_cmp_eq_u32_e32 vcc_lo, 0, v0
	s_or_not1_b32 s2, vcc_lo, exec_lo
; %bb.468:                              ;   in Loop: Header=BB19_9 Depth=1
	s_wait_alu 0xfffe
	s_or_b32 exec_lo, exec_lo, s3
	s_delay_alu instid0(SALU_CYCLE_1)
	s_and_b32 exec_lo, exec_lo, s2
	s_cbranch_execz .LBB19_471
; %bb.469:                              ;   in Loop: Header=BB19_9 Depth=1
	s_and_b32 exec_lo, exec_lo, s43
	s_cbranch_execz .LBB19_471
; %bb.470:                              ;   in Loop: Header=BB19_9 Depth=1
	scratch_load_b32 v1, off, off offset:908 ; 4-byte Folded Reload
	s_wait_loadcnt 0x0
	v_add_nc_u32_e32 v0, v1, v198
	ds_load_b32 v0, v0
	ds_load_b32 v3, v1 offset:228
	s_wait_dscnt 0x1
	v_lshrrev_b32_e32 v1, 16, v0
	v_cvt_f32_f16_e32 v0, v0
	s_delay_alu instid0(VALU_DEP_2) | instskip(NEXT) | instid1(VALU_DEP_2)
	v_cvt_f32_f16_e32 v1, v1
	v_add_f32_e32 v2, 0, v0
	s_wait_dscnt 0x0
	s_delay_alu instid0(VALU_DEP_1) | instskip(NEXT) | instid1(VALU_DEP_1)
	v_div_scale_f32 v5, null, v3, v3, v2
	v_rcp_f32_e32 v7, v5
	s_delay_alu instid0(TRANS32_DEP_1) | instskip(NEXT) | instid1(VALU_DEP_1)
	v_fma_f32 v0, -v5, v7, 1.0
	v_fmac_f32_e32 v7, v0, v7
	v_div_scale_f32 v9, vcc_lo, v2, v3, v2
	s_delay_alu instid0(VALU_DEP_1) | instskip(NEXT) | instid1(VALU_DEP_1)
	v_dual_add_f32 v4, 0, v1 :: v_dual_mul_f32 v11, v9, v7
	v_div_scale_f32 v6, null, v3, v3, v4
	v_div_scale_f32 v10, s3, v4, v3, v4
	s_delay_alu instid0(VALU_DEP_3) | instskip(NEXT) | instid1(VALU_DEP_3)
	v_fma_f32 v13, -v5, v11, v9
	v_rcp_f32_e32 v8, v6
	s_delay_alu instid0(VALU_DEP_1) | instskip(NEXT) | instid1(VALU_DEP_1)
	v_fmac_f32_e32 v11, v13, v7
	v_fma_f32 v5, -v5, v11, v9
	s_delay_alu instid0(TRANS32_DEP_1) | instskip(SKIP_1) | instid1(VALU_DEP_2)
	v_fma_f32 v1, -v6, v8, 1.0
	s_wait_alu 0xfffd
	v_div_fmas_f32 v5, v5, v7, v11
	s_delay_alu instid0(VALU_DEP_2)
	v_fmac_f32_e32 v8, v1, v8
	v_mad_co_u64_u32 v[0:1], null, v171, s25, v[132:133]
	s_mov_b32 vcc_lo, s3
	v_div_fixup_f32 v2, v5, v3, v2
	v_mul_f32_e32 v12, v10, v8
	v_mad_co_u64_u32 v[0:1], null, v0, 56, v[141:142]
	s_delay_alu instid0(VALU_DEP_2) | instskip(NEXT) | instid1(VALU_DEP_1)
	v_fma_f32 v14, -v6, v12, v10
	v_fmac_f32_e32 v12, v14, v8
	s_delay_alu instid0(VALU_DEP_3) | instskip(NEXT) | instid1(VALU_DEP_2)
	v_ashrrev_i32_e32 v1, 31, v0
	v_fma_f32 v6, -v6, v12, v10
	s_delay_alu instid0(VALU_DEP_2) | instskip(SKIP_1) | instid1(VALU_DEP_2)
	v_lshlrev_b64_e32 v[0:1], 3, v[0:1]
	s_wait_alu 0xfffe
	v_div_fmas_f32 v6, v6, v8, v12
	s_delay_alu instid0(VALU_DEP_2) | instskip(SKIP_1) | instid1(VALU_DEP_3)
	v_add_co_u32 v0, vcc_lo, s72, v0
	s_wait_alu 0xfffd
	v_add_co_ci_u32_e64 v1, null, s73, v1, vcc_lo
	s_delay_alu instid0(VALU_DEP_3)
	v_div_fixup_f32 v3, v6, v3, v4
	global_store_b64 v[0:1], v[2:3], off
.LBB19_471:                             ;   in Loop: Header=BB19_9 Depth=1
	s_wait_alu 0xfffe
	s_or_b32 exec_lo, exec_lo, s4
	v_mov_b32_e32 v0, 50
	s_and_saveexec_b32 s2, s42
	s_cbranch_execz .LBB19_473
; %bb.472:                              ;   in Loop: Header=BB19_9 Depth=1
	s_clause 0x1
	scratch_load_b32 v0, off, off offset:248
	scratch_load_b32 v1, off, off offset:536
	s_wait_loadcnt 0x1
	ds_load_b32 v0, v0 offset:128
	s_wait_loadcnt 0x0
	ds_load_b32 v3, v1 offset:228
	s_wait_dscnt 0x1
	v_lshrrev_b32_e32 v1, 16, v0
	v_cvt_f32_f16_e32 v0, v0
	s_delay_alu instid0(VALU_DEP_2) | instskip(NEXT) | instid1(VALU_DEP_2)
	v_cvt_f32_f16_e32 v1, v1
	v_add_f32_e32 v2, 0, v0
	s_delay_alu instid0(VALU_DEP_2) | instskip(SKIP_1) | instid1(VALU_DEP_2)
	v_add_f32_e32 v4, 0, v1
	s_wait_dscnt 0x0
	v_div_scale_f32 v5, null, v3, v3, v2
	v_mad_co_u64_u32 v[0:1], null, v170, s25, v[30:31]
	s_delay_alu instid0(VALU_DEP_3) | instskip(NEXT) | instid1(VALU_DEP_3)
	v_div_scale_f32 v6, null, v3, v3, v4
	v_rcp_f32_e32 v7, v5
	s_delay_alu instid0(VALU_DEP_1) | instskip(NEXT) | instid1(VALU_DEP_2)
	v_rcp_f32_e32 v8, v6
	v_mul_lo_u32 v0, v0, 56
	s_delay_alu instid0(TRANS32_DEP_2) | instskip(NEXT) | instid1(TRANS32_DEP_1)
	v_fma_f32 v9, -v5, v7, 1.0
	v_fma_f32 v10, -v6, v8, 1.0
	s_delay_alu instid0(VALU_DEP_2) | instskip(SKIP_2) | instid1(VALU_DEP_4)
	v_fmac_f32_e32 v7, v9, v7
	v_div_scale_f32 v1, vcc_lo, v2, v3, v2
	v_div_scale_f32 v9, s3, v4, v3, v4
	v_fmac_f32_e32 v8, v10, v8
	s_delay_alu instid0(VALU_DEP_3) | instskip(NEXT) | instid1(VALU_DEP_2)
	v_mul_f32_e32 v10, v1, v7
	v_mul_f32_e32 v11, v9, v8
	s_delay_alu instid0(VALU_DEP_2) | instskip(NEXT) | instid1(VALU_DEP_2)
	v_fma_f32 v12, -v5, v10, v1
	v_fma_f32 v13, -v6, v11, v9
	s_delay_alu instid0(VALU_DEP_2) | instskip(SKIP_2) | instid1(VALU_DEP_4)
	v_fmac_f32_e32 v10, v12, v7
	v_ashrrev_i32_e32 v12, 31, v0
	v_add_co_u32 v0, s4, v0, v144
	v_fmac_f32_e32 v11, v13, v8
	s_delay_alu instid0(VALU_DEP_4) | instskip(SKIP_2) | instid1(VALU_DEP_3)
	v_fma_f32 v5, -v5, v10, v1
	s_wait_alu 0xf1ff
	v_add_co_ci_u32_e64 v1, null, 0, v12, s4
	v_fma_f32 v6, -v6, v11, v9
	s_wait_alu 0xfffd
	v_div_fmas_f32 v5, v5, v7, v10
	s_mov_b32 vcc_lo, s3
	v_lshlrev_b64_e32 v[0:1], 3, v[0:1]
	s_wait_alu 0xfffe
	v_div_fmas_f32 v6, v6, v8, v11
	v_div_fixup_f32 v2, v5, v3, v2
	s_delay_alu instid0(VALU_DEP_2) | instskip(NEXT) | instid1(VALU_DEP_4)
	v_div_fixup_f32 v3, v6, v3, v4
	v_add_co_u32 v4, vcc_lo, s72, v0
	s_wait_alu 0xfffd
	v_add_co_ci_u32_e64 v5, null, s73, v1, vcc_lo
	v_mov_b32_e32 v0, 0
	global_store_b64 v[4:5], v[2:3], off offset:256
.LBB19_473:                             ;   in Loop: Header=BB19_9 Depth=1
	s_wait_alu 0xfffe
	s_or_b32 exec_lo, exec_lo, s2
	s_mov_b32 s3, -1
	s_mov_b32 s2, exec_lo
	v_cmpx_gt_i32_e32 50, v0
; %bb.474:                              ;   in Loop: Header=BB19_9 Depth=1
	v_cmp_eq_u32_e32 vcc_lo, 0, v0
	s_or_not1_b32 s3, vcc_lo, exec_lo
; %bb.475:                              ;   in Loop: Header=BB19_9 Depth=1
	s_wait_alu 0xfffe
	s_or_b32 exec_lo, exec_lo, s2
	s_and_saveexec_b32 s2, s3
	s_cbranch_execz .LBB19_508
; %bb.476:                              ;   in Loop: Header=BB19_9 Depth=1
	v_mov_b32_e32 v0, 50
	s_and_saveexec_b32 s5, s41
	s_cbranch_execz .LBB19_478
; %bb.477:                              ;   in Loop: Header=BB19_9 Depth=1
	s_clause 0x1
	scratch_load_b32 v0, off, off offset:260
	scratch_load_b32 v1, off, off offset:744
	s_wait_loadcnt 0x1
	ds_load_b32 v0, v0 offset:128
	s_wait_loadcnt 0x0
	ds_load_b32 v3, v1 offset:228
	s_wait_dscnt 0x1
	v_lshrrev_b32_e32 v1, 16, v0
	v_cvt_f32_f16_e32 v0, v0
	s_delay_alu instid0(VALU_DEP_2) | instskip(NEXT) | instid1(VALU_DEP_2)
	v_cvt_f32_f16_e32 v1, v1
	v_add_f32_e32 v2, 0, v0
	s_delay_alu instid0(VALU_DEP_2) | instskip(SKIP_1) | instid1(VALU_DEP_2)
	v_add_f32_e32 v4, 0, v1
	s_wait_dscnt 0x0
	v_div_scale_f32 v5, null, v3, v3, v2
	v_mad_co_u64_u32 v[0:1], null, v169, s25, v[30:31]
	s_delay_alu instid0(VALU_DEP_3) | instskip(NEXT) | instid1(VALU_DEP_3)
	v_div_scale_f32 v6, null, v3, v3, v4
	v_rcp_f32_e32 v7, v5
	s_delay_alu instid0(VALU_DEP_1) | instskip(NEXT) | instid1(VALU_DEP_2)
	v_rcp_f32_e32 v8, v6
	v_mul_lo_u32 v0, v0, 56
	s_delay_alu instid0(TRANS32_DEP_2) | instskip(NEXT) | instid1(TRANS32_DEP_1)
	v_fma_f32 v9, -v5, v7, 1.0
	v_fma_f32 v10, -v6, v8, 1.0
	s_delay_alu instid0(VALU_DEP_2) | instskip(SKIP_2) | instid1(VALU_DEP_4)
	v_fmac_f32_e32 v7, v9, v7
	v_div_scale_f32 v1, vcc_lo, v2, v3, v2
	v_div_scale_f32 v9, s3, v4, v3, v4
	v_fmac_f32_e32 v8, v10, v8
	s_delay_alu instid0(VALU_DEP_3) | instskip(NEXT) | instid1(VALU_DEP_2)
	v_mul_f32_e32 v10, v1, v7
	v_mul_f32_e32 v11, v9, v8
	s_delay_alu instid0(VALU_DEP_2) | instskip(NEXT) | instid1(VALU_DEP_2)
	v_fma_f32 v12, -v5, v10, v1
	v_fma_f32 v13, -v6, v11, v9
	s_delay_alu instid0(VALU_DEP_2) | instskip(SKIP_2) | instid1(VALU_DEP_4)
	v_fmac_f32_e32 v10, v12, v7
	v_ashrrev_i32_e32 v12, 31, v0
	v_add_co_u32 v0, s4, v0, v144
	v_fmac_f32_e32 v11, v13, v8
	s_delay_alu instid0(VALU_DEP_4) | instskip(SKIP_2) | instid1(VALU_DEP_3)
	v_fma_f32 v5, -v5, v10, v1
	s_wait_alu 0xf1ff
	v_add_co_ci_u32_e64 v1, null, 0, v12, s4
	v_fma_f32 v6, -v6, v11, v9
	s_wait_alu 0xfffd
	v_div_fmas_f32 v5, v5, v7, v10
	s_mov_b32 vcc_lo, s3
	v_lshlrev_b64_e32 v[0:1], 3, v[0:1]
	s_wait_alu 0xfffe
	v_div_fmas_f32 v6, v6, v8, v11
	v_div_fixup_f32 v2, v5, v3, v2
	s_delay_alu instid0(VALU_DEP_2) | instskip(NEXT) | instid1(VALU_DEP_4)
	v_div_fixup_f32 v3, v6, v3, v4
	v_add_co_u32 v4, vcc_lo, s72, v0
	s_wait_alu 0xfffd
	v_add_co_ci_u32_e64 v5, null, s73, v1, vcc_lo
	v_mov_b32_e32 v0, 0
	global_store_b64 v[4:5], v[2:3], off offset:256
.LBB19_478:                             ;   in Loop: Header=BB19_9 Depth=1
	s_wait_alu 0xfffe
	s_or_b32 exec_lo, exec_lo, s5
	s_mov_b32 s3, -1
	s_mov_b32 s4, exec_lo
	v_cmpx_gt_i32_e32 50, v0
; %bb.479:                              ;   in Loop: Header=BB19_9 Depth=1
	v_cmp_eq_u32_e32 vcc_lo, 0, v0
	s_or_not1_b32 s3, vcc_lo, exec_lo
; %bb.480:                              ;   in Loop: Header=BB19_9 Depth=1
	s_wait_alu 0xfffe
	s_or_b32 exec_lo, exec_lo, s4
	s_delay_alu instid0(SALU_CYCLE_1)
	s_and_b32 exec_lo, exec_lo, s3
	s_cbranch_execz .LBB19_508
; %bb.481:                              ;   in Loop: Header=BB19_9 Depth=1
	v_mov_b32_e32 v0, 50
	s_and_saveexec_b32 s5, s40
	s_cbranch_execz .LBB19_483
; %bb.482:                              ;   in Loop: Header=BB19_9 Depth=1
	s_clause 0x1
	scratch_load_b32 v0, off, off offset:772
	scratch_load_b32 v1, off, off offset:768
	s_wait_loadcnt 0x1
	ds_load_b32 v0, v0 offset:128
	s_wait_loadcnt 0x0
	ds_load_b32 v3, v1 offset:228
	s_wait_dscnt 0x1
	v_lshrrev_b32_e32 v1, 16, v0
	v_cvt_f32_f16_e32 v0, v0
	s_delay_alu instid0(VALU_DEP_2) | instskip(NEXT) | instid1(VALU_DEP_2)
	v_cvt_f32_f16_e32 v1, v1
	v_add_f32_e32 v2, 0, v0
	s_delay_alu instid0(VALU_DEP_2) | instskip(SKIP_1) | instid1(VALU_DEP_2)
	v_add_f32_e32 v4, 0, v1
	s_wait_dscnt 0x0
	v_div_scale_f32 v5, null, v3, v3, v2
	v_mad_co_u64_u32 v[0:1], null, v168, s25, v[30:31]
	s_delay_alu instid0(VALU_DEP_3) | instskip(NEXT) | instid1(VALU_DEP_3)
	v_div_scale_f32 v6, null, v3, v3, v4
	v_rcp_f32_e32 v7, v5
	s_delay_alu instid0(VALU_DEP_1) | instskip(NEXT) | instid1(VALU_DEP_2)
	v_rcp_f32_e32 v8, v6
	v_mul_lo_u32 v0, v0, 56
	s_delay_alu instid0(TRANS32_DEP_2) | instskip(NEXT) | instid1(TRANS32_DEP_1)
	v_fma_f32 v9, -v5, v7, 1.0
	v_fma_f32 v10, -v6, v8, 1.0
	s_delay_alu instid0(VALU_DEP_2) | instskip(SKIP_2) | instid1(VALU_DEP_4)
	v_fmac_f32_e32 v7, v9, v7
	v_div_scale_f32 v1, vcc_lo, v2, v3, v2
	v_div_scale_f32 v9, s3, v4, v3, v4
	v_fmac_f32_e32 v8, v10, v8
	s_delay_alu instid0(VALU_DEP_3) | instskip(NEXT) | instid1(VALU_DEP_2)
	v_mul_f32_e32 v10, v1, v7
	v_mul_f32_e32 v11, v9, v8
	s_delay_alu instid0(VALU_DEP_2) | instskip(NEXT) | instid1(VALU_DEP_2)
	v_fma_f32 v12, -v5, v10, v1
	v_fma_f32 v13, -v6, v11, v9
	s_delay_alu instid0(VALU_DEP_2) | instskip(SKIP_2) | instid1(VALU_DEP_4)
	v_fmac_f32_e32 v10, v12, v7
	v_ashrrev_i32_e32 v12, 31, v0
	v_add_co_u32 v0, s4, v0, v144
	v_fmac_f32_e32 v11, v13, v8
	s_delay_alu instid0(VALU_DEP_4) | instskip(SKIP_2) | instid1(VALU_DEP_3)
	v_fma_f32 v5, -v5, v10, v1
	s_wait_alu 0xf1ff
	v_add_co_ci_u32_e64 v1, null, 0, v12, s4
	v_fma_f32 v6, -v6, v11, v9
	s_wait_alu 0xfffd
	v_div_fmas_f32 v5, v5, v7, v10
	s_mov_b32 vcc_lo, s3
	v_lshlrev_b64_e32 v[0:1], 3, v[0:1]
	s_wait_alu 0xfffe
	v_div_fmas_f32 v6, v6, v8, v11
	v_div_fixup_f32 v2, v5, v3, v2
	s_delay_alu instid0(VALU_DEP_2) | instskip(NEXT) | instid1(VALU_DEP_4)
	v_div_fixup_f32 v3, v6, v3, v4
	v_add_co_u32 v4, vcc_lo, s72, v0
	s_wait_alu 0xfffd
	v_add_co_ci_u32_e64 v5, null, s73, v1, vcc_lo
	v_mov_b32_e32 v0, 0
	global_store_b64 v[4:5], v[2:3], off offset:256
.LBB19_483:                             ;   in Loop: Header=BB19_9 Depth=1
	s_wait_alu 0xfffe
	s_or_b32 exec_lo, exec_lo, s5
	s_mov_b32 s3, -1
	s_mov_b32 s4, exec_lo
	v_cmpx_gt_i32_e32 50, v0
; %bb.484:                              ;   in Loop: Header=BB19_9 Depth=1
	v_cmp_eq_u32_e32 vcc_lo, 0, v0
	s_or_not1_b32 s3, vcc_lo, exec_lo
; %bb.485:                              ;   in Loop: Header=BB19_9 Depth=1
	s_wait_alu 0xfffe
	s_or_b32 exec_lo, exec_lo, s4
	s_delay_alu instid0(SALU_CYCLE_1)
	s_and_b32 exec_lo, exec_lo, s3
	s_cbranch_execz .LBB19_508
; %bb.486:                              ;   in Loop: Header=BB19_9 Depth=1
	v_mov_b32_e32 v0, 50
	s_and_saveexec_b32 s5, s51
	s_cbranch_execz .LBB19_488
; %bb.487:                              ;   in Loop: Header=BB19_9 Depth=1
	s_clause 0x1
	scratch_load_b32 v0, off, off offset:796
	scratch_load_b32 v1, off, off offset:792
	s_wait_loadcnt 0x1
	ds_load_b32 v0, v0 offset:128
	s_wait_loadcnt 0x0
	ds_load_b32 v3, v1 offset:228
	s_wait_dscnt 0x1
	v_lshrrev_b32_e32 v1, 16, v0
	v_cvt_f32_f16_e32 v0, v0
	s_delay_alu instid0(VALU_DEP_2) | instskip(NEXT) | instid1(VALU_DEP_2)
	v_cvt_f32_f16_e32 v1, v1
	v_add_f32_e32 v2, 0, v0
	s_delay_alu instid0(VALU_DEP_2) | instskip(SKIP_1) | instid1(VALU_DEP_2)
	v_add_f32_e32 v4, 0, v1
	s_wait_dscnt 0x0
	v_div_scale_f32 v5, null, v3, v3, v2
	v_mad_co_u64_u32 v[0:1], null, v167, s25, v[30:31]
	s_delay_alu instid0(VALU_DEP_3) | instskip(NEXT) | instid1(VALU_DEP_3)
	v_div_scale_f32 v6, null, v3, v3, v4
	v_rcp_f32_e32 v7, v5
	s_delay_alu instid0(VALU_DEP_1) | instskip(NEXT) | instid1(VALU_DEP_2)
	v_rcp_f32_e32 v8, v6
	v_mul_lo_u32 v0, v0, 56
	s_delay_alu instid0(TRANS32_DEP_2) | instskip(NEXT) | instid1(TRANS32_DEP_1)
	v_fma_f32 v9, -v5, v7, 1.0
	v_fma_f32 v10, -v6, v8, 1.0
	s_delay_alu instid0(VALU_DEP_2) | instskip(SKIP_2) | instid1(VALU_DEP_4)
	v_fmac_f32_e32 v7, v9, v7
	v_div_scale_f32 v1, vcc_lo, v2, v3, v2
	v_div_scale_f32 v9, s3, v4, v3, v4
	v_fmac_f32_e32 v8, v10, v8
	s_delay_alu instid0(VALU_DEP_3) | instskip(NEXT) | instid1(VALU_DEP_2)
	v_mul_f32_e32 v10, v1, v7
	v_mul_f32_e32 v11, v9, v8
	s_delay_alu instid0(VALU_DEP_2) | instskip(NEXT) | instid1(VALU_DEP_2)
	v_fma_f32 v12, -v5, v10, v1
	v_fma_f32 v13, -v6, v11, v9
	s_delay_alu instid0(VALU_DEP_2) | instskip(SKIP_2) | instid1(VALU_DEP_4)
	v_fmac_f32_e32 v10, v12, v7
	v_ashrrev_i32_e32 v12, 31, v0
	v_add_co_u32 v0, s4, v0, v144
	v_fmac_f32_e32 v11, v13, v8
	s_delay_alu instid0(VALU_DEP_4) | instskip(SKIP_2) | instid1(VALU_DEP_3)
	v_fma_f32 v5, -v5, v10, v1
	s_wait_alu 0xf1ff
	v_add_co_ci_u32_e64 v1, null, 0, v12, s4
	v_fma_f32 v6, -v6, v11, v9
	s_wait_alu 0xfffd
	v_div_fmas_f32 v5, v5, v7, v10
	s_mov_b32 vcc_lo, s3
	v_lshlrev_b64_e32 v[0:1], 3, v[0:1]
	s_wait_alu 0xfffe
	v_div_fmas_f32 v6, v6, v8, v11
	v_div_fixup_f32 v2, v5, v3, v2
	s_delay_alu instid0(VALU_DEP_2) | instskip(NEXT) | instid1(VALU_DEP_4)
	v_div_fixup_f32 v3, v6, v3, v4
	v_add_co_u32 v4, vcc_lo, s72, v0
	s_wait_alu 0xfffd
	v_add_co_ci_u32_e64 v5, null, s73, v1, vcc_lo
	v_mov_b32_e32 v0, 0
	global_store_b64 v[4:5], v[2:3], off offset:256
.LBB19_488:                             ;   in Loop: Header=BB19_9 Depth=1
	s_wait_alu 0xfffe
	s_or_b32 exec_lo, exec_lo, s5
	s_mov_b32 s3, -1
	s_mov_b32 s4, exec_lo
	v_cmpx_gt_i32_e32 50, v0
; %bb.489:                              ;   in Loop: Header=BB19_9 Depth=1
	v_cmp_eq_u32_e32 vcc_lo, 0, v0
	s_or_not1_b32 s3, vcc_lo, exec_lo
; %bb.490:                              ;   in Loop: Header=BB19_9 Depth=1
	s_wait_alu 0xfffe
	s_or_b32 exec_lo, exec_lo, s4
	s_delay_alu instid0(SALU_CYCLE_1)
	s_and_b32 exec_lo, exec_lo, s3
	s_cbranch_execz .LBB19_508
; %bb.491:                              ;   in Loop: Header=BB19_9 Depth=1
	v_mov_b32_e32 v0, 50
	s_and_saveexec_b32 s5, s0
	s_cbranch_execz .LBB19_493
; %bb.492:                              ;   in Loop: Header=BB19_9 Depth=1
	s_clause 0x1
	scratch_load_b32 v0, off, off offset:828
	scratch_load_b32 v1, off, off offset:824
	s_wait_loadcnt 0x1
	ds_load_b32 v0, v0 offset:128
	s_wait_loadcnt 0x0
	ds_load_b32 v3, v1 offset:228
	s_wait_dscnt 0x1
	v_lshrrev_b32_e32 v1, 16, v0
	v_cvt_f32_f16_e32 v0, v0
	s_delay_alu instid0(VALU_DEP_2) | instskip(NEXT) | instid1(VALU_DEP_2)
	v_cvt_f32_f16_e32 v1, v1
	v_add_f32_e32 v2, 0, v0
	s_delay_alu instid0(VALU_DEP_2) | instskip(SKIP_1) | instid1(VALU_DEP_2)
	v_add_f32_e32 v4, 0, v1
	s_wait_dscnt 0x0
	v_div_scale_f32 v5, null, v3, v3, v2
	v_mad_co_u64_u32 v[0:1], null, v166, s25, v[30:31]
	s_delay_alu instid0(VALU_DEP_3) | instskip(NEXT) | instid1(VALU_DEP_3)
	v_div_scale_f32 v6, null, v3, v3, v4
	v_rcp_f32_e32 v7, v5
	s_delay_alu instid0(VALU_DEP_1) | instskip(NEXT) | instid1(VALU_DEP_2)
	v_rcp_f32_e32 v8, v6
	v_mul_lo_u32 v0, v0, 56
	s_delay_alu instid0(TRANS32_DEP_2) | instskip(NEXT) | instid1(TRANS32_DEP_1)
	v_fma_f32 v9, -v5, v7, 1.0
	v_fma_f32 v10, -v6, v8, 1.0
	s_delay_alu instid0(VALU_DEP_2) | instskip(SKIP_2) | instid1(VALU_DEP_4)
	v_fmac_f32_e32 v7, v9, v7
	v_div_scale_f32 v1, vcc_lo, v2, v3, v2
	v_div_scale_f32 v9, s3, v4, v3, v4
	v_fmac_f32_e32 v8, v10, v8
	s_delay_alu instid0(VALU_DEP_3) | instskip(NEXT) | instid1(VALU_DEP_2)
	v_mul_f32_e32 v10, v1, v7
	v_mul_f32_e32 v11, v9, v8
	s_delay_alu instid0(VALU_DEP_2) | instskip(NEXT) | instid1(VALU_DEP_2)
	v_fma_f32 v12, -v5, v10, v1
	v_fma_f32 v13, -v6, v11, v9
	s_delay_alu instid0(VALU_DEP_2) | instskip(SKIP_2) | instid1(VALU_DEP_4)
	v_fmac_f32_e32 v10, v12, v7
	v_ashrrev_i32_e32 v12, 31, v0
	v_add_co_u32 v0, s4, v0, v144
	v_fmac_f32_e32 v11, v13, v8
	s_delay_alu instid0(VALU_DEP_4) | instskip(SKIP_2) | instid1(VALU_DEP_3)
	v_fma_f32 v5, -v5, v10, v1
	s_wait_alu 0xf1ff
	v_add_co_ci_u32_e64 v1, null, 0, v12, s4
	v_fma_f32 v6, -v6, v11, v9
	s_wait_alu 0xfffd
	v_div_fmas_f32 v5, v5, v7, v10
	s_mov_b32 vcc_lo, s3
	v_lshlrev_b64_e32 v[0:1], 3, v[0:1]
	s_wait_alu 0xfffe
	v_div_fmas_f32 v6, v6, v8, v11
	v_div_fixup_f32 v2, v5, v3, v2
	s_delay_alu instid0(VALU_DEP_2) | instskip(NEXT) | instid1(VALU_DEP_4)
	v_div_fixup_f32 v3, v6, v3, v4
	v_add_co_u32 v4, vcc_lo, s72, v0
	s_wait_alu 0xfffd
	v_add_co_ci_u32_e64 v5, null, s73, v1, vcc_lo
	v_mov_b32_e32 v0, 0
	global_store_b64 v[4:5], v[2:3], off offset:256
.LBB19_493:                             ;   in Loop: Header=BB19_9 Depth=1
	s_wait_alu 0xfffe
	s_or_b32 exec_lo, exec_lo, s5
	s_mov_b32 s0, -1
	s_mov_b32 s3, exec_lo
	v_cmpx_gt_i32_e32 50, v0
; %bb.494:                              ;   in Loop: Header=BB19_9 Depth=1
	v_cmp_eq_u32_e32 vcc_lo, 0, v0
	s_or_not1_b32 s0, vcc_lo, exec_lo
; %bb.495:                              ;   in Loop: Header=BB19_9 Depth=1
	s_wait_alu 0xfffe
	s_or_b32 exec_lo, exec_lo, s3
	s_delay_alu instid0(SALU_CYCLE_1)
	s_and_b32 exec_lo, exec_lo, s0
	s_cbranch_execz .LBB19_508
; %bb.496:                              ;   in Loop: Header=BB19_9 Depth=1
	v_mov_b32_e32 v0, 50
	s_and_saveexec_b32 s0, s1
	s_cbranch_execz .LBB19_498
; %bb.497:                              ;   in Loop: Header=BB19_9 Depth=1
	s_clause 0x1
	scratch_load_b32 v0, off, off offset:836
	scratch_load_b32 v1, off, off offset:832
	s_wait_loadcnt 0x1
	ds_load_b32 v0, v0 offset:128
	s_wait_loadcnt 0x0
	ds_load_b32 v3, v1 offset:228
	s_wait_dscnt 0x1
	v_lshrrev_b32_e32 v1, 16, v0
	v_cvt_f32_f16_e32 v0, v0
	s_delay_alu instid0(VALU_DEP_2) | instskip(NEXT) | instid1(VALU_DEP_2)
	v_cvt_f32_f16_e32 v1, v1
	v_add_f32_e32 v2, 0, v0
	s_delay_alu instid0(VALU_DEP_2) | instskip(SKIP_1) | instid1(VALU_DEP_2)
	v_add_f32_e32 v4, 0, v1
	s_wait_dscnt 0x0
	v_div_scale_f32 v5, null, v3, v3, v2
	v_mad_co_u64_u32 v[0:1], null, v165, s25, v[30:31]
	s_delay_alu instid0(VALU_DEP_3) | instskip(NEXT) | instid1(VALU_DEP_3)
	v_div_scale_f32 v6, null, v3, v3, v4
	v_rcp_f32_e32 v7, v5
	s_delay_alu instid0(VALU_DEP_1) | instskip(NEXT) | instid1(VALU_DEP_2)
	v_rcp_f32_e32 v8, v6
	v_mul_lo_u32 v0, v0, 56
	s_delay_alu instid0(TRANS32_DEP_2) | instskip(NEXT) | instid1(TRANS32_DEP_1)
	v_fma_f32 v9, -v5, v7, 1.0
	v_fma_f32 v10, -v6, v8, 1.0
	s_delay_alu instid0(VALU_DEP_2) | instskip(SKIP_2) | instid1(VALU_DEP_4)
	v_fmac_f32_e32 v7, v9, v7
	v_div_scale_f32 v1, vcc_lo, v2, v3, v2
	v_div_scale_f32 v9, s3, v4, v3, v4
	v_fmac_f32_e32 v8, v10, v8
	s_delay_alu instid0(VALU_DEP_3) | instskip(NEXT) | instid1(VALU_DEP_2)
	v_mul_f32_e32 v10, v1, v7
	v_mul_f32_e32 v11, v9, v8
	s_delay_alu instid0(VALU_DEP_2) | instskip(NEXT) | instid1(VALU_DEP_2)
	v_fma_f32 v12, -v5, v10, v1
	v_fma_f32 v13, -v6, v11, v9
	s_delay_alu instid0(VALU_DEP_2) | instskip(SKIP_2) | instid1(VALU_DEP_4)
	v_fmac_f32_e32 v10, v12, v7
	v_ashrrev_i32_e32 v12, 31, v0
	v_add_co_u32 v0, s4, v0, v144
	v_fmac_f32_e32 v11, v13, v8
	s_delay_alu instid0(VALU_DEP_4) | instskip(SKIP_2) | instid1(VALU_DEP_3)
	v_fma_f32 v5, -v5, v10, v1
	s_wait_alu 0xf1ff
	v_add_co_ci_u32_e64 v1, null, 0, v12, s4
	v_fma_f32 v6, -v6, v11, v9
	s_wait_alu 0xfffd
	v_div_fmas_f32 v5, v5, v7, v10
	s_mov_b32 vcc_lo, s3
	v_lshlrev_b64_e32 v[0:1], 3, v[0:1]
	s_wait_alu 0xfffe
	v_div_fmas_f32 v6, v6, v8, v11
	v_div_fixup_f32 v2, v5, v3, v2
	s_delay_alu instid0(VALU_DEP_2) | instskip(NEXT) | instid1(VALU_DEP_4)
	v_div_fixup_f32 v3, v6, v3, v4
	v_add_co_u32 v4, vcc_lo, s72, v0
	s_wait_alu 0xfffd
	v_add_co_ci_u32_e64 v5, null, s73, v1, vcc_lo
	v_mov_b32_e32 v0, 0
	global_store_b64 v[4:5], v[2:3], off offset:256
.LBB19_498:                             ;   in Loop: Header=BB19_9 Depth=1
	s_wait_alu 0xfffe
	s_or_b32 exec_lo, exec_lo, s0
	s_mov_b32 s0, -1
	s_mov_b32 s1, exec_lo
	v_cmpx_gt_i32_e32 50, v0
; %bb.499:                              ;   in Loop: Header=BB19_9 Depth=1
	v_cmp_eq_u32_e32 vcc_lo, 0, v0
	s_or_not1_b32 s0, vcc_lo, exec_lo
; %bb.500:                              ;   in Loop: Header=BB19_9 Depth=1
	s_wait_alu 0xfffe
	s_or_b32 exec_lo, exec_lo, s1
	s_delay_alu instid0(SALU_CYCLE_1)
	s_and_b32 exec_lo, exec_lo, s0
	s_cbranch_execz .LBB19_508
; %bb.501:                              ;   in Loop: Header=BB19_9 Depth=1
	v_mov_b32_e32 v0, 50
	s_and_saveexec_b32 s0, s44
	s_cbranch_execz .LBB19_503
; %bb.502:                              ;   in Loop: Header=BB19_9 Depth=1
	s_clause 0x1
	scratch_load_b32 v0, off, off offset:852
	scratch_load_b32 v1, off, off offset:848
	s_wait_loadcnt 0x1
	ds_load_b32 v0, v0 offset:128
	s_wait_loadcnt 0x0
	ds_load_b32 v3, v1 offset:228
	s_wait_dscnt 0x1
	v_cvt_f32_f16_e32 v1, v0
	v_lshrrev_b32_e32 v0, 16, v0
	s_delay_alu instid0(VALU_DEP_1) | instskip(NEXT) | instid1(VALU_DEP_1)
	v_cvt_f32_f16_e32 v0, v0
	v_dual_add_f32 v2, 0, v1 :: v_dual_add_f32 v5, 0, v0
	s_wait_dscnt 0x0
	s_delay_alu instid0(VALU_DEP_1) | instskip(SKIP_1) | instid1(VALU_DEP_3)
	v_div_scale_f32 v4, null, v3, v3, v2
	v_mad_co_u64_u32 v[0:1], null, v164, s25, v[30:31]
	v_div_scale_f32 v7, null, v3, v3, v5
	s_delay_alu instid0(VALU_DEP_3) | instskip(SKIP_1) | instid1(VALU_DEP_2)
	v_rcp_f32_e32 v6, v4
	v_div_scale_f32 v1, vcc_lo, v2, v3, v2
	v_rcp_f32_e32 v8, v7
	v_div_scale_f32 v10, s3, v5, v3, v5
	s_delay_alu instid0(VALU_DEP_4) | instskip(NEXT) | instid1(TRANS32_DEP_2)
	v_mul_lo_u32 v0, v0, 56
	v_fma_f32 v9, -v4, v6, 1.0
	s_delay_alu instid0(VALU_DEP_2) | instskip(NEXT) | instid1(VALU_DEP_2)
	v_ashrrev_i32_e32 v13, 31, v0
	v_fmac_f32_e32 v6, v9, v6
	s_delay_alu instid0(TRANS32_DEP_1) | instskip(SKIP_1) | instid1(VALU_DEP_2)
	v_fma_f32 v9, -v7, v8, 1.0
	v_add_co_u32 v0, s4, v0, v144
	v_fmac_f32_e32 v8, v9, v8
	s_delay_alu instid0(VALU_DEP_1) | instskip(NEXT) | instid1(VALU_DEP_1)
	v_dual_mul_f32 v11, v1, v6 :: v_dual_mul_f32 v12, v10, v8
	v_fma_f32 v9, -v4, v11, v1
	s_delay_alu instid0(VALU_DEP_1) | instskip(NEXT) | instid1(VALU_DEP_3)
	v_fmac_f32_e32 v11, v9, v6
	v_fma_f32 v9, -v7, v12, v10
	s_delay_alu instid0(VALU_DEP_2) | instskip(NEXT) | instid1(VALU_DEP_2)
	v_fma_f32 v4, -v4, v11, v1
	v_fmac_f32_e32 v12, v9, v8
	s_wait_alu 0xf1ff
	v_add_co_ci_u32_e64 v1, null, 0, v13, s4
	s_wait_alu 0xfffd
	v_div_fmas_f32 v4, v4, v6, v11
	v_fma_f32 v7, -v7, v12, v10
	s_delay_alu instid0(VALU_DEP_3) | instskip(SKIP_1) | instid1(VALU_DEP_3)
	v_lshlrev_b64_e32 v[0:1], 3, v[0:1]
	s_mov_b32 vcc_lo, s3
	v_div_fixup_f32 v2, v4, v3, v2
	s_wait_alu 0xfffe
	v_div_fmas_f32 v6, v7, v8, v12
	s_delay_alu instid0(VALU_DEP_3) | instskip(SKIP_1) | instid1(VALU_DEP_3)
	v_add_co_u32 v4, vcc_lo, s72, v0
	v_mov_b32_e32 v0, 0
	v_div_fixup_f32 v3, v6, v3, v5
	s_wait_alu 0xfffd
	v_add_co_ci_u32_e64 v5, null, s73, v1, vcc_lo
	global_store_b64 v[4:5], v[2:3], off offset:256
.LBB19_503:                             ;   in Loop: Header=BB19_9 Depth=1
	s_wait_alu 0xfffe
	s_or_b32 exec_lo, exec_lo, s0
	s_mov_b32 s0, -1
	s_mov_b32 s1, exec_lo
	v_cmpx_gt_i32_e32 50, v0
; %bb.504:                              ;   in Loop: Header=BB19_9 Depth=1
	v_cmp_eq_u32_e32 vcc_lo, 0, v0
	s_or_not1_b32 s0, vcc_lo, exec_lo
; %bb.505:                              ;   in Loop: Header=BB19_9 Depth=1
	s_wait_alu 0xfffe
	s_or_b32 exec_lo, exec_lo, s1
	s_delay_alu instid0(SALU_CYCLE_1)
	s_and_b32 exec_lo, exec_lo, s0
	s_cbranch_execz .LBB19_508
; %bb.506:                              ;   in Loop: Header=BB19_9 Depth=1
	s_and_b32 exec_lo, exec_lo, s6
	s_cbranch_execz .LBB19_508
; %bb.507:                              ;   in Loop: Header=BB19_9 Depth=1
	s_clause 0x1
	scratch_load_b32 v0, off, off offset:864
	scratch_load_b32 v1, off, off offset:860
	s_wait_loadcnt 0x1
	ds_load_b32 v0, v0 offset:128
	s_wait_loadcnt 0x0
	ds_load_b32 v3, v1 offset:228
	s_wait_dscnt 0x1
	v_cvt_f32_f16_e32 v1, v0
	v_lshrrev_b32_e32 v0, 16, v0
	s_delay_alu instid0(VALU_DEP_1) | instskip(NEXT) | instid1(VALU_DEP_1)
	v_cvt_f32_f16_e32 v0, v0
	v_dual_add_f32 v2, 0, v1 :: v_dual_add_f32 v5, 0, v0
	s_wait_dscnt 0x0
	s_delay_alu instid0(VALU_DEP_1) | instskip(SKIP_1) | instid1(VALU_DEP_3)
	v_div_scale_f32 v4, null, v3, v3, v2
	v_mad_co_u64_u32 v[0:1], null, v163, s25, v[30:31]
	v_div_scale_f32 v7, null, v3, v3, v5
	s_delay_alu instid0(VALU_DEP_3) | instskip(SKIP_1) | instid1(VALU_DEP_2)
	v_rcp_f32_e32 v6, v4
	v_div_scale_f32 v1, vcc_lo, v2, v3, v2
	v_rcp_f32_e32 v8, v7
	v_div_scale_f32 v10, s3, v5, v3, v5
	s_delay_alu instid0(VALU_DEP_4) | instskip(NEXT) | instid1(TRANS32_DEP_2)
	v_mul_lo_u32 v0, v0, 56
	v_fma_f32 v9, -v4, v6, 1.0
	s_delay_alu instid0(VALU_DEP_2) | instskip(NEXT) | instid1(VALU_DEP_2)
	v_ashrrev_i32_e32 v13, 31, v0
	v_fmac_f32_e32 v6, v9, v6
	s_delay_alu instid0(TRANS32_DEP_1) | instskip(SKIP_1) | instid1(VALU_DEP_2)
	v_fma_f32 v9, -v7, v8, 1.0
	v_add_co_u32 v0, s4, v0, v144
	v_fmac_f32_e32 v8, v9, v8
	s_delay_alu instid0(VALU_DEP_1) | instskip(NEXT) | instid1(VALU_DEP_1)
	v_dual_mul_f32 v11, v1, v6 :: v_dual_mul_f32 v12, v10, v8
	v_fma_f32 v9, -v4, v11, v1
	s_delay_alu instid0(VALU_DEP_1) | instskip(NEXT) | instid1(VALU_DEP_3)
	v_fmac_f32_e32 v11, v9, v6
	v_fma_f32 v9, -v7, v12, v10
	s_delay_alu instid0(VALU_DEP_2) | instskip(NEXT) | instid1(VALU_DEP_2)
	v_fma_f32 v4, -v4, v11, v1
	v_fmac_f32_e32 v12, v9, v8
	s_wait_alu 0xf1ff
	v_add_co_ci_u32_e64 v1, null, 0, v13, s4
	s_wait_alu 0xfffd
	v_div_fmas_f32 v4, v4, v6, v11
	v_fma_f32 v7, -v7, v12, v10
	s_delay_alu instid0(VALU_DEP_3) | instskip(SKIP_1) | instid1(VALU_DEP_3)
	v_lshlrev_b64_e32 v[0:1], 3, v[0:1]
	s_mov_b32 vcc_lo, s3
	v_div_fixup_f32 v2, v4, v3, v2
	s_wait_alu 0xfffe
	v_div_fmas_f32 v6, v7, v8, v12
	s_delay_alu instid0(VALU_DEP_3) | instskip(SKIP_2) | instid1(VALU_DEP_3)
	v_add_co_u32 v0, vcc_lo, s72, v0
	s_wait_alu 0xfffd
	v_add_co_ci_u32_e64 v1, null, s73, v1, vcc_lo
	v_div_fixup_f32 v3, v6, v3, v5
	global_store_b64 v[0:1], v[2:3], off offset:256
.LBB19_508:                             ;   in Loop: Header=BB19_9 Depth=1
	s_wait_alu 0xfffe
	s_or_b32 exec_lo, exec_lo, s2
	v_mov_b32_e32 v0, 50
	s_and_saveexec_b32 s0, s94
	s_cbranch_execz .LBB19_510
; %bb.509:                              ;   in Loop: Header=BB19_9 Depth=1
	s_clause 0x1
	scratch_load_b32 v0, off, off offset:252
	scratch_load_b32 v1, off, off offset:532
	s_wait_loadcnt 0x1
	ds_load_b32 v0, v0 offset:192
	s_wait_loadcnt 0x0
	ds_load_b32 v3, v1 offset:228
	s_wait_dscnt 0x1
	v_lshrrev_b32_e32 v1, 16, v0
	v_cvt_f32_f16_e32 v0, v0
	s_delay_alu instid0(VALU_DEP_2) | instskip(NEXT) | instid1(VALU_DEP_2)
	v_cvt_f32_f16_e32 v1, v1
	v_add_f32_e32 v2, 0, v0
	s_wait_dscnt 0x0
	s_delay_alu instid0(VALU_DEP_1) | instskip(NEXT) | instid1(VALU_DEP_1)
	v_div_scale_f32 v5, null, v3, v3, v2
	v_rcp_f32_e32 v7, v5
	s_delay_alu instid0(TRANS32_DEP_1) | instskip(NEXT) | instid1(VALU_DEP_1)
	v_fma_f32 v0, -v5, v7, 1.0
	v_fmac_f32_e32 v7, v0, v7
	v_div_scale_f32 v9, vcc_lo, v2, v3, v2
	s_delay_alu instid0(VALU_DEP_1) | instskip(NEXT) | instid1(VALU_DEP_1)
	v_dual_add_f32 v4, 0, v1 :: v_dual_mul_f32 v11, v9, v7
	v_div_scale_f32 v6, null, v3, v3, v4
	v_div_scale_f32 v10, s3, v4, v3, v4
	s_delay_alu instid0(VALU_DEP_2) | instskip(NEXT) | instid1(TRANS32_DEP_1)
	v_rcp_f32_e32 v8, v6
	v_fma_f32 v1, -v6, v8, 1.0
	s_delay_alu instid0(VALU_DEP_1) | instskip(SKIP_2) | instid1(VALU_DEP_1)
	v_fmac_f32_e32 v8, v1, v8
	v_mad_co_u64_u32 v[0:1], null, v162, s25, v[31:32]
	v_fma_f32 v1, -v5, v11, v9
	v_dual_mul_f32 v12, v10, v8 :: v_dual_fmac_f32 v11, v1, v7
	s_delay_alu instid0(VALU_DEP_3) | instskip(NEXT) | instid1(VALU_DEP_2)
	v_mul_lo_u32 v0, v0, 56
	v_fma_f32 v13, -v6, v12, v10
	s_delay_alu instid0(VALU_DEP_3) | instskip(NEXT) | instid1(VALU_DEP_2)
	v_fma_f32 v5, -v5, v11, v9
	v_fmac_f32_e32 v12, v13, v8
	s_delay_alu instid0(VALU_DEP_4)
	v_ashrrev_i32_e32 v1, 31, v0
	v_or_b32_e32 v0, v0, v210
	s_wait_alu 0xfffd
	v_div_fmas_f32 v5, v5, v7, v11
	v_fma_f32 v6, -v6, v12, v10
	s_mov_b32 vcc_lo, s3
	v_lshlrev_b64_e32 v[0:1], 3, v[0:1]
	s_delay_alu instid0(VALU_DEP_3) | instskip(SKIP_2) | instid1(VALU_DEP_1)
	v_div_fixup_f32 v2, v5, v3, v2
	s_wait_alu 0xfffe
	v_div_fmas_f32 v6, v6, v8, v12
	v_div_fixup_f32 v3, v6, v3, v4
	s_delay_alu instid0(VALU_DEP_4)
	v_add_co_u32 v4, vcc_lo, s72, v0
	s_wait_alu 0xfffd
	v_add_co_ci_u32_e64 v5, null, s73, v1, vcc_lo
	v_mov_b32_e32 v0, 0
	global_store_b64 v[4:5], v[2:3], off offset:384
.LBB19_510:                             ;   in Loop: Header=BB19_9 Depth=1
	s_wait_alu 0xfffe
	s_or_b32 exec_lo, exec_lo, s0
	s_mov_b32 s1, -1
	s_mov_b32 s0, exec_lo
	v_cmpx_gt_i32_e32 50, v0
; %bb.511:                              ;   in Loop: Header=BB19_9 Depth=1
	v_cmp_eq_u32_e32 vcc_lo, 0, v0
	s_or_not1_b32 s1, vcc_lo, exec_lo
; %bb.512:                              ;   in Loop: Header=BB19_9 Depth=1
	s_wait_alu 0xfffe
	s_or_b32 exec_lo, exec_lo, s0
                                        ; implicit-def: $vgpr1
	s_and_saveexec_b32 s0, s1
	s_cbranch_execz .LBB19_528
; %bb.513:                              ;   in Loop: Header=BB19_9 Depth=1
	v_mov_b32_e32 v0, 50
	s_and_saveexec_b32 s1, s93
	s_cbranch_execz .LBB19_515
; %bb.514:                              ;   in Loop: Header=BB19_9 Depth=1
	s_clause 0x1
	scratch_load_b32 v0, off, off offset:752
	scratch_load_b32 v1, off, off offset:748
	s_wait_loadcnt 0x1
	ds_load_b32 v0, v0 offset:192
	s_wait_loadcnt 0x0
	ds_load_b32 v3, v1 offset:228
	s_wait_dscnt 0x1
	v_lshrrev_b32_e32 v1, 16, v0
	v_cvt_f32_f16_e32 v0, v0
	s_delay_alu instid0(VALU_DEP_2) | instskip(NEXT) | instid1(VALU_DEP_2)
	v_cvt_f32_f16_e32 v1, v1
	v_add_f32_e32 v2, 0, v0
	s_wait_dscnt 0x0
	s_delay_alu instid0(VALU_DEP_1) | instskip(NEXT) | instid1(VALU_DEP_1)
	v_div_scale_f32 v5, null, v3, v3, v2
	v_rcp_f32_e32 v7, v5
	s_delay_alu instid0(TRANS32_DEP_1) | instskip(NEXT) | instid1(VALU_DEP_1)
	v_fma_f32 v0, -v5, v7, 1.0
	v_fmac_f32_e32 v7, v0, v7
	v_div_scale_f32 v9, vcc_lo, v2, v3, v2
	s_delay_alu instid0(VALU_DEP_1) | instskip(NEXT) | instid1(VALU_DEP_1)
	v_dual_add_f32 v4, 0, v1 :: v_dual_mul_f32 v11, v9, v7
	v_div_scale_f32 v6, null, v3, v3, v4
	v_div_scale_f32 v10, s3, v4, v3, v4
	s_delay_alu instid0(VALU_DEP_2) | instskip(NEXT) | instid1(TRANS32_DEP_1)
	v_rcp_f32_e32 v8, v6
	v_fma_f32 v1, -v6, v8, 1.0
	s_delay_alu instid0(VALU_DEP_1) | instskip(SKIP_2) | instid1(VALU_DEP_1)
	v_fmac_f32_e32 v8, v1, v8
	v_mad_co_u64_u32 v[0:1], null, v161, s25, v[31:32]
	v_fma_f32 v1, -v5, v11, v9
	v_dual_mul_f32 v12, v10, v8 :: v_dual_fmac_f32 v11, v1, v7
	s_delay_alu instid0(VALU_DEP_3) | instskip(NEXT) | instid1(VALU_DEP_2)
	v_mul_lo_u32 v0, v0, 56
	v_fma_f32 v13, -v6, v12, v10
	s_delay_alu instid0(VALU_DEP_3) | instskip(NEXT) | instid1(VALU_DEP_2)
	v_fma_f32 v5, -v5, v11, v9
	v_fmac_f32_e32 v12, v13, v8
	s_delay_alu instid0(VALU_DEP_4)
	v_ashrrev_i32_e32 v1, 31, v0
	v_or_b32_e32 v0, v0, v210
	s_wait_alu 0xfffd
	v_div_fmas_f32 v5, v5, v7, v11
	v_fma_f32 v6, -v6, v12, v10
	s_mov_b32 vcc_lo, s3
	v_lshlrev_b64_e32 v[0:1], 3, v[0:1]
	s_delay_alu instid0(VALU_DEP_3) | instskip(SKIP_2) | instid1(VALU_DEP_1)
	v_div_fixup_f32 v2, v5, v3, v2
	s_wait_alu 0xfffe
	v_div_fmas_f32 v6, v6, v8, v12
	v_div_fixup_f32 v3, v6, v3, v4
	s_delay_alu instid0(VALU_DEP_4)
	v_add_co_u32 v4, vcc_lo, s72, v0
	s_wait_alu 0xfffd
	v_add_co_ci_u32_e64 v5, null, s73, v1, vcc_lo
	v_mov_b32_e32 v0, 0
	global_store_b64 v[4:5], v[2:3], off offset:384
.LBB19_515:                             ;   in Loop: Header=BB19_9 Depth=1
	s_wait_alu 0xfffe
	s_or_b32 exec_lo, exec_lo, s1
	s_mov_b32 s3, -1
	s_mov_b32 s1, exec_lo
	v_cmpx_gt_i32_e32 50, v0
; %bb.516:                              ;   in Loop: Header=BB19_9 Depth=1
	v_cmp_eq_u32_e32 vcc_lo, 0, v0
	s_or_not1_b32 s3, vcc_lo, exec_lo
; %bb.517:                              ;   in Loop: Header=BB19_9 Depth=1
	s_wait_alu 0xfffe
	s_or_b32 exec_lo, exec_lo, s1
	s_mov_b32 s2, s39
                                        ; implicit-def: $vgpr1
	s_and_saveexec_b32 s1, s3
	s_cbranch_execz .LBB19_527
; %bb.518:                              ;   in Loop: Header=BB19_9 Depth=1
	v_mov_b32_e32 v0, 50
	s_and_saveexec_b32 s2, s92
	s_cbranch_execz .LBB19_520
; %bb.519:                              ;   in Loop: Header=BB19_9 Depth=1
	s_clause 0x1
	scratch_load_b32 v0, off, off offset:780
	scratch_load_b32 v1, off, off offset:776
	s_wait_loadcnt 0x1
	ds_load_b32 v0, v0 offset:192
	s_wait_loadcnt 0x0
	ds_load_b32 v3, v1 offset:228
	s_wait_dscnt 0x1
	v_lshrrev_b32_e32 v1, 16, v0
	v_cvt_f32_f16_e32 v0, v0
	s_delay_alu instid0(VALU_DEP_2) | instskip(NEXT) | instid1(VALU_DEP_2)
	v_cvt_f32_f16_e32 v1, v1
	v_add_f32_e32 v2, 0, v0
	s_wait_dscnt 0x0
	s_delay_alu instid0(VALU_DEP_1) | instskip(NEXT) | instid1(VALU_DEP_1)
	v_div_scale_f32 v5, null, v3, v3, v2
	v_rcp_f32_e32 v7, v5
	s_delay_alu instid0(TRANS32_DEP_1) | instskip(NEXT) | instid1(VALU_DEP_1)
	v_fma_f32 v0, -v5, v7, 1.0
	v_fmac_f32_e32 v7, v0, v7
	v_div_scale_f32 v9, vcc_lo, v2, v3, v2
	s_delay_alu instid0(VALU_DEP_1) | instskip(NEXT) | instid1(VALU_DEP_1)
	v_dual_add_f32 v4, 0, v1 :: v_dual_mul_f32 v11, v9, v7
	v_div_scale_f32 v6, null, v3, v3, v4
	v_div_scale_f32 v10, s3, v4, v3, v4
	s_delay_alu instid0(VALU_DEP_2) | instskip(NEXT) | instid1(TRANS32_DEP_1)
	v_rcp_f32_e32 v8, v6
	v_fma_f32 v1, -v6, v8, 1.0
	s_delay_alu instid0(VALU_DEP_1) | instskip(SKIP_2) | instid1(VALU_DEP_1)
	v_fmac_f32_e32 v8, v1, v8
	v_mad_co_u64_u32 v[0:1], null, v160, s25, v[31:32]
	v_fma_f32 v1, -v5, v11, v9
	v_dual_mul_f32 v12, v10, v8 :: v_dual_fmac_f32 v11, v1, v7
	s_delay_alu instid0(VALU_DEP_3) | instskip(NEXT) | instid1(VALU_DEP_2)
	v_mul_lo_u32 v0, v0, 56
	v_fma_f32 v13, -v6, v12, v10
	s_delay_alu instid0(VALU_DEP_3) | instskip(NEXT) | instid1(VALU_DEP_2)
	v_fma_f32 v5, -v5, v11, v9
	v_fmac_f32_e32 v12, v13, v8
	s_delay_alu instid0(VALU_DEP_4)
	v_ashrrev_i32_e32 v1, 31, v0
	v_or_b32_e32 v0, v0, v210
	s_wait_alu 0xfffd
	v_div_fmas_f32 v5, v5, v7, v11
	v_fma_f32 v6, -v6, v12, v10
	s_mov_b32 vcc_lo, s3
	v_lshlrev_b64_e32 v[0:1], 3, v[0:1]
	s_delay_alu instid0(VALU_DEP_3) | instskip(SKIP_2) | instid1(VALU_DEP_1)
	v_div_fixup_f32 v2, v5, v3, v2
	s_wait_alu 0xfffe
	v_div_fmas_f32 v6, v6, v8, v12
	v_div_fixup_f32 v3, v6, v3, v4
	s_delay_alu instid0(VALU_DEP_4)
	v_add_co_u32 v4, vcc_lo, s72, v0
	s_wait_alu 0xfffd
	v_add_co_ci_u32_e64 v5, null, s73, v1, vcc_lo
	v_mov_b32_e32 v0, 0
	global_store_b64 v[4:5], v[2:3], off offset:384
.LBB19_520:                             ;   in Loop: Header=BB19_9 Depth=1
	s_wait_alu 0xfffe
	s_or_b32 exec_lo, exec_lo, s2
	s_mov_b32 s4, -1
	s_mov_b32 s2, exec_lo
	v_cmpx_gt_i32_e32 50, v0
; %bb.521:                              ;   in Loop: Header=BB19_9 Depth=1
	v_cmp_eq_u32_e32 vcc_lo, 0, v0
	s_or_not1_b32 s4, vcc_lo, exec_lo
; %bb.522:                              ;   in Loop: Header=BB19_9 Depth=1
	s_wait_alu 0xfffe
	s_or_b32 exec_lo, exec_lo, s2
	s_mov_b32 s3, s39
                                        ; implicit-def: $vgpr1
	s_and_saveexec_b32 s2, s4
	s_cbranch_execz .LBB19_526
; %bb.523:                              ;   in Loop: Header=BB19_9 Depth=1
	s_mov_b32 s3, s39
                                        ; implicit-def: $vgpr1
	s_and_saveexec_b32 s4, s67
	s_cbranch_execz .LBB19_525
; %bb.524:                              ;   in Loop: Header=BB19_9 Depth=1
	s_clause 0x1
	scratch_load_b32 v0, off, off offset:804
	scratch_load_b32 v1, off, off offset:800
	s_wait_loadcnt 0x1
	ds_load_b32 v0, v0 offset:192
	s_wait_loadcnt 0x0
	ds_load_b32 v1, v1 offset:228
	s_wait_dscnt 0x1
	v_lshrrev_b32_e32 v2, 16, v0
	v_cvt_f32_f16_e32 v0, v0
	s_delay_alu instid0(VALU_DEP_2) | instskip(NEXT) | instid1(VALU_DEP_2)
	v_cvt_f32_f16_e32 v2, v2
	v_add_f32_e32 v0, 0, v0
	s_delay_alu instid0(VALU_DEP_2) | instskip(SKIP_1) | instid1(VALU_DEP_2)
	v_add_f32_e32 v2, 0, v2
	s_wait_dscnt 0x0
	v_div_scale_f32 v3, null, v1, v1, v0
	s_delay_alu instid0(VALU_DEP_2) | instskip(NEXT) | instid1(VALU_DEP_2)
	v_div_scale_f32 v4, null, v1, v1, v2
	v_rcp_f32_e32 v5, v3
	s_delay_alu instid0(VALU_DEP_1) | instskip(NEXT) | instid1(TRANS32_DEP_2)
	v_rcp_f32_e32 v6, v4
	v_fma_f32 v7, -v3, v5, 1.0
	s_delay_alu instid0(TRANS32_DEP_1) | instskip(NEXT) | instid1(VALU_DEP_2)
	v_fma_f32 v8, -v4, v6, 1.0
	v_fmac_f32_e32 v5, v7, v5
	v_div_scale_f32 v9, vcc_lo, v0, v1, v0
	v_div_scale_f32 v7, s3, v2, v1, v2
	s_delay_alu instid0(VALU_DEP_4) | instskip(NEXT) | instid1(VALU_DEP_3)
	v_fmac_f32_e32 v6, v8, v6
	v_mul_f32_e32 v8, v9, v5
	s_delay_alu instid0(VALU_DEP_2) | instskip(NEXT) | instid1(VALU_DEP_2)
	v_mul_f32_e32 v10, v7, v6
	v_fma_f32 v11, -v3, v8, v9
	s_delay_alu instid0(VALU_DEP_2) | instskip(NEXT) | instid1(VALU_DEP_2)
	v_fma_f32 v12, -v4, v10, v7
	v_fmac_f32_e32 v8, v11, v5
	s_delay_alu instid0(VALU_DEP_2) | instskip(NEXT) | instid1(VALU_DEP_2)
	v_fmac_f32_e32 v10, v12, v6
	v_fma_f32 v3, -v3, v8, v9
	s_delay_alu instid0(VALU_DEP_2) | instskip(SKIP_1) | instid1(VALU_DEP_2)
	v_fma_f32 v4, -v4, v10, v7
	s_wait_alu 0xfffd
	v_div_fmas_f32 v3, v3, v5, v8
	s_wait_alu 0xfffe
	s_mov_b32 vcc_lo, s3
	s_or_b32 s3, s39, exec_lo
	s_wait_alu 0xfffe
	v_div_fmas_f32 v4, v4, v6, v10
	v_div_fixup_f32 v0, v3, v1, v0
	s_delay_alu instid0(VALU_DEP_2)
	v_div_fixup_f32 v1, v4, v1, v2
.LBB19_525:                             ;   in Loop: Header=BB19_9 Depth=1
	s_wait_alu 0xfffe
	s_or_b32 exec_lo, exec_lo, s4
	s_delay_alu instid0(SALU_CYCLE_1)
	s_and_not1_b32 s4, s39, exec_lo
	s_and_b32 s3, s3, exec_lo
	s_wait_alu 0xfffe
	s_or_b32 s3, s4, s3
.LBB19_526:                             ;   in Loop: Header=BB19_9 Depth=1
	s_wait_alu 0xfffe
	s_or_b32 exec_lo, exec_lo, s2
	s_delay_alu instid0(SALU_CYCLE_1)
	s_and_not1_b32 s2, s39, exec_lo
	s_and_b32 s3, s3, exec_lo
	s_wait_alu 0xfffe
	s_or_b32 s2, s2, s3
.LBB19_527:                             ;   in Loop: Header=BB19_9 Depth=1
	s_wait_alu 0xfffe
	s_or_b32 exec_lo, exec_lo, s1
	s_delay_alu instid0(SALU_CYCLE_1)
	s_and_not1_b32 s1, s39, exec_lo
	s_and_b32 s2, s2, exec_lo
	s_wait_alu 0xfffe
	s_or_b32 s39, s1, s2
.LBB19_528:                             ;   in Loop: Header=BB19_9 Depth=1
	s_wait_alu 0xfffe
	s_or_b32 exec_lo, exec_lo, s0
.LBB19_529:                             ;   in Loop: Header=BB19_9 Depth=1
	s_wait_alu 0xfffe
	s_and_saveexec_b32 s0, s39
	s_cbranch_execz .LBB19_8
; %bb.530:                              ;   in Loop: Header=BB19_9 Depth=1
	v_mad_co_u64_u32 v[2:3], null, v180, s25, v[31:32]
	s_delay_alu instid0(VALU_DEP_1) | instskip(NEXT) | instid1(VALU_DEP_1)
	v_mul_lo_u32 v2, v2, 56
	v_ashrrev_i32_e32 v3, 31, v2
	v_or_b32_e32 v2, v2, v210
	s_delay_alu instid0(VALU_DEP_1) | instskip(NEXT) | instid1(VALU_DEP_1)
	v_lshlrev_b64_e32 v[2:3], 3, v[2:3]
	v_add_co_u32 v2, vcc_lo, s72, v2
	s_wait_alu 0xfffd
	s_delay_alu instid0(VALU_DEP_2)
	v_add_co_ci_u32_e64 v3, null, s73, v3, vcc_lo
	global_store_b64 v[2:3], v[0:1], off offset:384
	s_branch .LBB19_8
.LBB19_531:
	s_and_not1_b32 vcc_lo, exec_lo, s0
	v_readlane_b32 s0, v255, 14
	s_add_nc_u64 s[4:5], s[96:97], 0xd0
	v_readlane_b32 s1, v255, 15
	s_wait_alu 0xfffe
	s_cbranch_vccnz .LBB19_659
; %bb.532:
	v_readlane_b32 s17, v255, 3
	s_mov_b32 s30, s0
	s_abs_i32 s3, s48
	v_readlane_b32 s21, v255, 2
	v_readlane_b32 s25, v255, 1
	s_abs_i32 s0, s17
	s_wait_alu 0xfffe
	s_cvt_f32_u32 s1, s0
	s_sub_co_i32 s2, 0, s0
	s_wait_alu 0xfffe
	s_delay_alu instid0(SALU_CYCLE_1) | instskip(NEXT) | instid1(TRANS32_DEP_1)
	v_rcp_iflag_f32_e32 v0, s1
	v_readfirstlane_b32 s1, v0
	s_mul_f32 s1, s1, 0x4f7ffffe
	s_wait_alu 0xfffe
	s_delay_alu instid0(SALU_CYCLE_2) | instskip(SKIP_1) | instid1(SALU_CYCLE_2)
	s_cvt_u32_f32 s1, s1
	s_wait_alu 0xfffe
	s_mul_i32 s2, s2, s1
	s_wait_alu 0xfffe
	s_mul_hi_u32 s2, s1, s2
	s_wait_alu 0xfffe
	s_add_co_i32 s1, s1, s2
	s_xor_b32 s2, s48, s17
	s_wait_alu 0xfffe
	s_mul_hi_u32 s1, s3, s1
	s_ashr_i32 s2, s2, 31
	s_wait_alu 0xfffe
	s_mul_i32 s6, s1, s0
	s_wait_alu 0xfffe
	s_sub_co_i32 s3, s3, s6
	s_add_co_i32 s6, s1, 1
	s_wait_alu 0xfffe
	s_sub_co_i32 s16, s3, s0
	s_cmp_ge_u32 s3, s0
	s_cselect_b32 s1, s6, s1
	s_cselect_b32 s3, s16, s3
	s_wait_alu 0xfffe
	s_add_co_i32 s6, s1, 1
	s_cmp_ge_u32 s3, s0
	s_wait_alu 0xfffe
	s_cselect_b32 s0, s6, s1
	s_abs_i32 s1, s21
	s_wait_alu 0xfffe
	s_xor_b32 s0, s0, s2
	s_cvt_f32_u32 s3, s1
	s_wait_alu 0xfffe
	s_sub_co_i32 s2, s0, s2
	s_sub_co_i32 s0, 0, s1
	s_wait_alu 0xfffe
	s_mul_i32 s6, s2, s17
	v_rcp_iflag_f32_e32 v0, s3
	s_wait_alu 0xfffe
	s_sub_co_i32 s6, s48, s6
	s_wait_alu 0xfffe
	s_abs_i32 s16, s6
	s_delay_alu instid0(TRANS32_DEP_1) | instskip(SKIP_2) | instid1(SALU_CYCLE_2)
	v_readfirstlane_b32 s3, v0
	s_mul_f32 s3, s3, 0x4f7ffffe
	s_wait_alu 0xfffe
	s_cvt_u32_f32 s3, s3
	s_wait_alu 0xfffe
	s_delay_alu instid0(SALU_CYCLE_2)
	s_mul_i32 s0, s0, s3
	s_wait_alu 0xfffe
	s_mul_hi_u32 s0, s3, s0
	s_wait_alu 0xfffe
	s_add_co_i32 s3, s3, s0
	s_wait_alu 0xfffe
	s_mul_hi_u32 s0, s16, s3
	s_xor_b32 s3, s6, s21
	s_wait_alu 0xfffe
	s_mul_i32 s17, s0, s1
	s_ashr_i32 s3, s3, 31
	s_sub_co_i32 s16, s16, s17
	s_add_co_i32 s17, s0, 1
	s_sub_co_i32 s20, s16, s1
	s_cmp_ge_u32 s16, s1
	s_cselect_b32 s0, s17, s0
	s_cselect_b32 s16, s20, s16
	s_wait_alu 0xfffe
	s_add_co_i32 s17, s0, 1
	s_cmp_ge_u32 s16, s1
	s_cselect_b32 s0, s17, s0
	s_abs_i32 s1, s25
	s_wait_alu 0xfffe
	s_xor_b32 s0, s0, s3
	s_cvt_f32_u32 s16, s1
	s_wait_alu 0xfffe
	s_sub_co_i32 s20, s0, s3
	s_sub_co_i32 s0, 0, s1
	s_mul_i32 s3, s20, s21
	v_rcp_iflag_f32_e32 v0, s16
	s_wait_alu 0xfffe
	s_sub_co_i32 s3, s6, s3
	s_wait_alu 0xfffe
	s_abs_i32 s6, s3
	s_delay_alu instid0(TRANS32_DEP_1) | instskip(SKIP_2) | instid1(SALU_CYCLE_2)
	v_readfirstlane_b32 s16, v0
	s_mul_f32 s16, s16, 0x4f7ffffe
	s_wait_alu 0xfffe
	s_cvt_u32_f32 s16, s16
	s_wait_alu 0xfffe
	s_delay_alu instid0(SALU_CYCLE_2)
	s_mul_i32 s0, s0, s16
	s_wait_alu 0xfffe
	s_mul_hi_u32 s0, s16, s0
	s_wait_alu 0xfffe
	s_add_co_i32 s16, s16, s0
	s_wait_alu 0xfffe
	s_mul_hi_u32 s0, s6, s16
	s_xor_b32 s16, s3, s25
	s_wait_alu 0xfffe
	s_mul_i32 s17, s0, s1
	s_ashr_i32 s16, s16, 31
	s_wait_alu 0xfffe
	s_sub_co_i32 s6, s6, s17
	s_add_co_i32 s17, s0, 1
	s_wait_alu 0xfffe
	s_sub_co_i32 s21, s6, s1
	s_cmp_ge_u32 s6, s1
	s_cselect_b32 s0, s17, s0
	s_cselect_b32 s6, s21, s6
	s_wait_alu 0xfffe
	s_add_co_i32 s17, s0, 1
	s_cmp_ge_u32 s6, s1
	v_readlane_b32 s6, v255, 10
	s_wait_alu 0xfffe
	s_cselect_b32 s0, s17, s0
	s_mov_b32 s17, 0
	s_wait_alu 0xfffe
	s_xor_b32 s0, s0, s16
	s_wait_alu 0xfffe
	s_sub_co_i32 s0, s0, s16
	s_wait_alu 0xfffe
	s_mul_i32 s1, s0, s25
	s_wait_alu 0xfffe
	s_sub_co_i32 s1, s3, s1
	s_wait_alu 0xfffe
	s_abs_i32 s16, s1
	s_ashr_i32 s1, s1, 31
	s_wait_alu 0xfffe
	s_mul_u64 s[40:41], s[16:17], s[52:53]
	s_xor_b32 s1, s1, s6
	s_wait_alu 0xfffe
	s_mul_i32 s3, s41, s55
	s_add_co_i32 s6, s41, 1
	s_wait_alu 0xfffe
	s_sub_co_i32 s3, s16, s3
	s_wait_alu 0xfffe
	s_sub_co_i32 s16, s3, s55
	s_cmp_ge_u32 s3, s55
	s_cselect_b32 s6, s6, s41
	s_wait_alu 0xfffe
	s_cselect_b32 s3, s16, s3
	s_add_co_i32 s16, s6, 1
	s_wait_alu 0xfffe
	s_cmp_ge_u32 s3, s55
	s_cselect_b32 s3, s16, s6
	s_abs_i32 s21, s30
	s_delay_alu instid0(SALU_CYCLE_1) | instskip(SKIP_1) | instid1(SALU_CYCLE_2)
	s_cvt_f32_u32 s6, s21
	s_wait_alu 0xfffe
	v_rcp_iflag_f32_e32 v0, s6
	s_xor_b32 s6, s3, s1
	s_wait_alu 0xfffe
	s_sub_co_i32 s1, s6, s1
	s_cmp_eq_u64 s[18:19], 0
	s_delay_alu instid0(TRANS32_DEP_1)
	v_readfirstlane_b32 s3, v0
	v_mov_b32_e32 v0, s49
	s_cbranch_scc1 .LBB19_534
; %bb.533:
	v_readlane_b32 s6, v255, 0
	v_mov_b32_e32 v0, 0
	s_mul_i32 s6, s2, s6
	s_wait_alu 0xfffe
	s_add_co_i32 s40, s1, s6
	s_wait_alu 0xfffe
	s_ashr_i32 s41, s40, 31
	s_wait_alu 0xfffe
	s_lshl_b64 s[40:41], s[40:41], 2
	s_wait_alu 0xfffe
	s_add_nc_u64 s[18:19], s[18:19], s[40:41]
	global_load_b32 v0, v0, s[18:19]
	s_wait_loadcnt 0x0
	v_ashrrev_i32_e32 v1, 31, v0
	s_delay_alu instid0(VALU_DEP_1) | instskip(NEXT) | instid1(VALU_DEP_1)
	v_lshrrev_b32_e32 v1, 26, v1
	v_add_nc_u32_e32 v0, v0, v1
	s_delay_alu instid0(VALU_DEP_1) | instskip(NEXT) | instid1(VALU_DEP_1)
	v_ashrrev_i32_e32 v0, 6, v0
	v_min_i32_e32 v0, s49, v0
.LBB19_534:
	v_bfe_u32 v1, v143, 1, 9
	s_mul_i32 s6, s20, s33
	s_lshl_b32 s16, s0, 1
	s_mul_i32 s0, s2, s47
	s_wait_alu 0xfffe
	s_add_co_i32 s18, s16, s6
	s_lshl_b32 s6, s1, 5
	v_or_b32_e32 v2, s16, v132
	s_wait_alu 0xfffe
	v_add_nc_u32_e32 v1, s6, v1
	v_lshl_add_u32 v167, v141, 2, 0
	s_ashr_i32 s1, s0, 31
	v_readlane_b32 s25, v255, 16
	s_wait_alu 0xfffe
	s_add_nc_u64 s[8:9], s[8:9], s[0:1]
	v_cmp_le_i32_e64 s0, s24, v1
	v_cmp_le_i32_e64 s1, s33, v2
	v_mad_u32_u24 v166, 0xf0, v140, v167
	s_mul_i32 s18, s18, s46
	s_and_b32 s25, 0xffff, s25
	s_ashr_i32 s19, s18, 31
	s_or_b32 s0, s0, s1
	v_cmp_gt_i32_e32 vcc_lo, s33, v2
	s_wait_alu 0xfffe
	s_and_saveexec_b32 s1, s0
	s_wait_alu 0xfffe
	s_xor_b32 s0, exec_lo, s1
; %bb.535:
	v_mov_b32_e32 v1, 0
	ds_store_b32 v166, v1
                                        ; implicit-def: $vgpr1
; %bb.536:
	s_wait_alu 0xfffe
	s_or_saveexec_b32 s1, s0
	v_readlane_b32 s27, v255, 13
	s_add_nc_u64 s[8:9], s[8:9], s[18:19]
	s_mul_i32 s18, s25, 0x10001
	s_wait_alu 0xfffe
	s_xor_b32 exec_lo, exec_lo, s1
	s_cbranch_execz .LBB19_538
; %bb.537:
	v_mul_lo_u32 v1, v1, s7
	v_mul_lo_u32 v2, v132, s27
	s_delay_alu instid0(VALU_DEP_1) | instskip(NEXT) | instid1(VALU_DEP_1)
	v_add3_u32 v1, v2, v141, v1
	v_ashrrev_i32_e32 v2, 31, v1
	s_delay_alu instid0(VALU_DEP_1) | instskip(NEXT) | instid1(VALU_DEP_1)
	v_lshlrev_b64_e32 v[1:2], 3, v[1:2]
	v_add_co_u32 v1, s0, s8, v1
	s_wait_alu 0xf1ff
	s_delay_alu instid0(VALU_DEP_2) | instskip(SKIP_4) | instid1(VALU_DEP_1)
	v_add_co_ci_u32_e64 v2, null, s9, v2, s0
	global_load_b64 v[1:2], v[1:2], off
	s_wait_loadcnt 0x0
	v_cvt_f16_f32_e32 v1, v1
	v_cvt_f16_f32_e32 v2, v2
	v_pack_b32_f16 v1, v1, v2
	s_delay_alu instid0(VALU_DEP_1)
	v_pk_mul_f16 v1, v1, s18
	ds_store_b32 v166, v1
.LBB19_538:
	s_or_b32 exec_lo, exec_lo, s1
	v_lshrrev_b32_e32 v1, 1, v197
	s_xor_b32 s1, vcc_lo, -1
	s_delay_alu instid0(VALU_DEP_1) | instskip(NEXT) | instid1(VALU_DEP_1)
	v_add_nc_u32_e32 v1, s6, v1
	v_cmp_le_i32_e64 s0, s24, v1
	s_wait_alu 0xfffe
	s_or_b32 s0, s0, s1
	s_wait_alu 0xfffe
	s_and_saveexec_b32 s19, s0
	s_wait_alu 0xfffe
	s_xor_b32 s0, exec_lo, s19
; %bb.539:
	v_mad_u32_u24 v1, 0xf0, v197, v167
	v_mov_b32_e32 v2, 0
	ds_store_b32 v1, v2
                                        ; implicit-def: $vgpr1
; %bb.540:
	s_wait_alu 0xfffe
	s_and_not1_saveexec_b32 s0, s0
	s_cbranch_execz .LBB19_542
; %bb.541:
	v_mul_lo_u32 v1, v1, s7
	v_mul_lo_u32 v2, v132, s27
	s_delay_alu instid0(VALU_DEP_1) | instskip(NEXT) | instid1(VALU_DEP_1)
	v_add3_u32 v1, v2, v141, v1
	v_ashrrev_i32_e32 v2, 31, v1
	s_delay_alu instid0(VALU_DEP_1) | instskip(NEXT) | instid1(VALU_DEP_1)
	v_lshlrev_b64_e32 v[1:2], 3, v[1:2]
	v_add_co_u32 v1, vcc_lo, s8, v1
	s_wait_alu 0xfffd
	s_delay_alu instid0(VALU_DEP_2) | instskip(SKIP_4) | instid1(VALU_DEP_1)
	v_add_co_ci_u32_e64 v2, null, s9, v2, vcc_lo
	global_load_b64 v[1:2], v[1:2], off
	s_wait_loadcnt 0x0
	v_cvt_f16_f32_e32 v1, v1
	v_cvt_f16_f32_e32 v2, v2
	v_pack_b32_f16 v1, v1, v2
	v_mad_u32_u24 v2, 0xf0, v197, v167
	s_delay_alu instid0(VALU_DEP_2)
	v_pk_mul_f16 v1, v1, s18
	ds_store_b32 v2, v1
.LBB19_542:
	s_wait_alu 0xfffe
	s_or_b32 exec_lo, exec_lo, s0
	v_lshrrev_b32_e32 v1, 1, v182
	s_delay_alu instid0(VALU_DEP_1) | instskip(NEXT) | instid1(VALU_DEP_1)
	v_add_nc_u32_e32 v1, s6, v1
	v_cmp_le_i32_e32 vcc_lo, s24, v1
	s_or_b32 s0, vcc_lo, s1
	s_wait_alu 0xfffe
	s_and_saveexec_b32 s19, s0
	s_wait_alu 0xfffe
	s_xor_b32 s0, exec_lo, s19
; %bb.543:
	v_mad_u32_u24 v1, 0xf0, v182, v167
	v_mov_b32_e32 v2, 0
	ds_store_b32 v1, v2
                                        ; implicit-def: $vgpr1
; %bb.544:
	s_wait_alu 0xfffe
	s_and_not1_saveexec_b32 s0, s0
	s_cbranch_execz .LBB19_546
; %bb.545:
	v_mul_lo_u32 v1, v1, s7
	v_mul_lo_u32 v2, v132, s27
	s_delay_alu instid0(VALU_DEP_1) | instskip(NEXT) | instid1(VALU_DEP_1)
	v_add3_u32 v1, v2, v141, v1
	v_ashrrev_i32_e32 v2, 31, v1
	s_delay_alu instid0(VALU_DEP_1) | instskip(NEXT) | instid1(VALU_DEP_1)
	v_lshlrev_b64_e32 v[1:2], 3, v[1:2]
	v_add_co_u32 v1, vcc_lo, s8, v1
	s_wait_alu 0xfffd
	s_delay_alu instid0(VALU_DEP_2) | instskip(SKIP_4) | instid1(VALU_DEP_1)
	v_add_co_ci_u32_e64 v2, null, s9, v2, vcc_lo
	global_load_b64 v[1:2], v[1:2], off
	s_wait_loadcnt 0x0
	v_cvt_f16_f32_e32 v1, v1
	v_cvt_f16_f32_e32 v2, v2
	v_pack_b32_f16 v1, v1, v2
	v_mad_u32_u24 v2, 0xf0, v182, v167
	s_delay_alu instid0(VALU_DEP_2)
	v_pk_mul_f16 v1, v1, s18
	ds_store_b32 v2, v1
.LBB19_546:
	s_wait_alu 0xfffe
	s_or_b32 exec_lo, exec_lo, s0
	v_lshrrev_b32_e32 v1, 1, v192
	s_delay_alu instid0(VALU_DEP_1) | instskip(NEXT) | instid1(VALU_DEP_1)
	v_add_nc_u32_e32 v1, s6, v1
	v_cmp_le_i32_e32 vcc_lo, s24, v1
	s_or_b32 s0, vcc_lo, s1
	;; [unrolled: 42-line block ×8, first 2 shown]
	s_wait_alu 0xfffe
	s_and_saveexec_b32 s19, s0
	s_wait_alu 0xfffe
	s_xor_b32 s0, exec_lo, s19
; %bb.571:
	v_mad_u32_u24 v1, 0xf0, v142, v167
	v_mov_b32_e32 v2, 0
                                        ; implicit-def: $vgpr142
	ds_store_b32 v1, v2
                                        ; implicit-def: $vgpr1
; %bb.572:
	s_wait_alu 0xfffe
	s_and_not1_saveexec_b32 s0, s0
	s_cbranch_execz .LBB19_574
; %bb.573:
	v_mul_lo_u32 v1, v1, s7
	v_mul_lo_u32 v2, v132, s27
	s_delay_alu instid0(VALU_DEP_1) | instskip(NEXT) | instid1(VALU_DEP_1)
	v_add3_u32 v1, v2, v141, v1
	v_ashrrev_i32_e32 v2, 31, v1
	s_delay_alu instid0(VALU_DEP_1) | instskip(NEXT) | instid1(VALU_DEP_1)
	v_lshlrev_b64_e32 v[1:2], 3, v[1:2]
	v_add_co_u32 v1, vcc_lo, s8, v1
	s_wait_alu 0xfffd
	s_delay_alu instid0(VALU_DEP_2) | instskip(SKIP_4) | instid1(VALU_DEP_1)
	v_add_co_ci_u32_e64 v2, null, s9, v2, vcc_lo
	global_load_b64 v[1:2], v[1:2], off
	s_wait_loadcnt 0x0
	v_cvt_f16_f32_e32 v1, v1
	v_cvt_f16_f32_e32 v2, v2
	v_pack_b32_f16 v1, v1, v2
	v_mad_u32_u24 v2, 0xf0, v142, v167
	s_delay_alu instid0(VALU_DEP_2)
	v_pk_mul_f16 v1, v1, s18
	ds_store_b32 v2, v1
.LBB19_574:
	s_wait_alu 0xfffe
	s_or_b32 exec_lo, exec_lo, s0
	v_lshrrev_b32_e32 v1, 1, v137
	s_delay_alu instid0(VALU_DEP_1) | instskip(NEXT) | instid1(VALU_DEP_1)
	v_add_nc_u32_e32 v1, s6, v1
	v_cmp_le_i32_e32 vcc_lo, s24, v1
	s_or_b32 s0, vcc_lo, s1
	s_wait_alu 0xfffe
	s_and_saveexec_b32 s19, s0
	s_wait_alu 0xfffe
	s_xor_b32 s0, exec_lo, s19
; %bb.575:
	v_mad_u32_u24 v1, 0xf0, v137, v167
	v_mov_b32_e32 v2, 0
                                        ; implicit-def: $vgpr137
	ds_store_b32 v1, v2
                                        ; implicit-def: $vgpr1
; %bb.576:
	s_wait_alu 0xfffe
	s_and_not1_saveexec_b32 s0, s0
	s_cbranch_execz .LBB19_578
; %bb.577:
	v_mul_lo_u32 v1, v1, s7
	v_mul_lo_u32 v2, v132, s27
	s_delay_alu instid0(VALU_DEP_1) | instskip(NEXT) | instid1(VALU_DEP_1)
	v_add3_u32 v1, v2, v141, v1
	v_ashrrev_i32_e32 v2, 31, v1
	s_delay_alu instid0(VALU_DEP_1) | instskip(NEXT) | instid1(VALU_DEP_1)
	v_lshlrev_b64_e32 v[1:2], 3, v[1:2]
	v_add_co_u32 v1, vcc_lo, s8, v1
	s_wait_alu 0xfffd
	s_delay_alu instid0(VALU_DEP_2) | instskip(SKIP_4) | instid1(VALU_DEP_1)
	v_add_co_ci_u32_e64 v2, null, s9, v2, vcc_lo
	global_load_b64 v[1:2], v[1:2], off
	s_wait_loadcnt 0x0
	v_cvt_f16_f32_e32 v1, v1
	v_cvt_f16_f32_e32 v2, v2
	v_pack_b32_f16 v1, v1, v2
	v_mad_u32_u24 v2, 0xf0, v137, v167
	s_delay_alu instid0(VALU_DEP_2)
	v_pk_mul_f16 v1, v1, s18
	ds_store_b32 v2, v1
.LBB19_578:
	s_wait_alu 0xfffe
	s_or_b32 exec_lo, exec_lo, s0
	v_lshrrev_b32_e32 v1, 1, v136
	s_delay_alu instid0(VALU_DEP_1) | instskip(NEXT) | instid1(VALU_DEP_1)
	v_add_nc_u32_e32 v1, s6, v1
	v_cmp_le_i32_e32 vcc_lo, s24, v1
	s_or_b32 s0, vcc_lo, s1
	s_wait_alu 0xfffe
	s_and_saveexec_b32 s19, s0
	s_wait_alu 0xfffe
	s_xor_b32 s0, exec_lo, s19
; %bb.579:
	v_mad_u32_u24 v1, 0xf0, v136, v167
	v_mov_b32_e32 v2, 0
                                        ; implicit-def: $vgpr136
	ds_store_b32 v1, v2
                                        ; implicit-def: $vgpr1
; %bb.580:
	s_wait_alu 0xfffe
	s_and_not1_saveexec_b32 s0, s0
	s_cbranch_execz .LBB19_582
; %bb.581:
	v_mul_lo_u32 v1, v1, s7
	v_mul_lo_u32 v2, v132, s27
	s_delay_alu instid0(VALU_DEP_1) | instskip(NEXT) | instid1(VALU_DEP_1)
	v_add3_u32 v1, v2, v141, v1
	v_ashrrev_i32_e32 v2, 31, v1
	s_delay_alu instid0(VALU_DEP_1) | instskip(NEXT) | instid1(VALU_DEP_1)
	v_lshlrev_b64_e32 v[1:2], 3, v[1:2]
	v_add_co_u32 v1, vcc_lo, s8, v1
	s_wait_alu 0xfffd
	s_delay_alu instid0(VALU_DEP_2) | instskip(SKIP_4) | instid1(VALU_DEP_1)
	v_add_co_ci_u32_e64 v2, null, s9, v2, vcc_lo
	global_load_b64 v[1:2], v[1:2], off
	s_wait_loadcnt 0x0
	v_cvt_f16_f32_e32 v1, v1
	v_cvt_f16_f32_e32 v2, v2
	v_pack_b32_f16 v1, v1, v2
	v_mad_u32_u24 v2, 0xf0, v136, v167
	s_delay_alu instid0(VALU_DEP_2)
	v_pk_mul_f16 v1, v1, s18
	ds_store_b32 v2, v1
.LBB19_582:
	s_wait_alu 0xfffe
	s_or_b32 exec_lo, exec_lo, s0
	v_lshrrev_b32_e32 v1, 1, v138
	s_delay_alu instid0(VALU_DEP_1) | instskip(NEXT) | instid1(VALU_DEP_1)
	v_add_nc_u32_e32 v1, s6, v1
	v_cmp_le_i32_e32 vcc_lo, s24, v1
	s_or_b32 s0, vcc_lo, s1
	s_wait_alu 0xfffe
	s_and_saveexec_b32 s19, s0
	s_wait_alu 0xfffe
	s_xor_b32 s0, exec_lo, s19
; %bb.583:
	v_mad_u32_u24 v1, 0xf0, v138, v167
	v_mov_b32_e32 v2, 0
	ds_store_b32 v1, v2
                                        ; implicit-def: $vgpr1
; %bb.584:
	s_wait_alu 0xfffe
	s_and_not1_saveexec_b32 s0, s0
	s_cbranch_execz .LBB19_586
; %bb.585:
	v_mul_lo_u32 v1, v1, s7
	v_mul_lo_u32 v2, v132, s27
	s_delay_alu instid0(VALU_DEP_1) | instskip(NEXT) | instid1(VALU_DEP_1)
	v_add3_u32 v1, v2, v141, v1
	v_ashrrev_i32_e32 v2, 31, v1
	s_delay_alu instid0(VALU_DEP_1) | instskip(NEXT) | instid1(VALU_DEP_1)
	v_lshlrev_b64_e32 v[1:2], 3, v[1:2]
	v_add_co_u32 v1, vcc_lo, s8, v1
	s_wait_alu 0xfffd
	s_delay_alu instid0(VALU_DEP_2) | instskip(SKIP_4) | instid1(VALU_DEP_1)
	v_add_co_ci_u32_e64 v2, null, s9, v2, vcc_lo
	global_load_b64 v[1:2], v[1:2], off
	s_wait_loadcnt 0x0
	v_cvt_f16_f32_e32 v1, v1
	v_cvt_f16_f32_e32 v2, v2
	v_pack_b32_f16 v1, v1, v2
	v_mad_u32_u24 v2, 0xf0, v138, v167
	s_delay_alu instid0(VALU_DEP_2)
	v_pk_mul_f16 v1, v1, s18
	ds_store_b32 v2, v1
.LBB19_586:
	s_wait_alu 0xfffe
	s_or_b32 exec_lo, exec_lo, s0
	v_lshrrev_b32_e32 v1, 1, v135
	s_delay_alu instid0(VALU_DEP_1) | instskip(NEXT) | instid1(VALU_DEP_1)
	v_add_nc_u32_e32 v1, s6, v1
	v_cmp_le_i32_e32 vcc_lo, s24, v1
	s_or_b32 s0, vcc_lo, s1
	s_wait_alu 0xfffe
	s_and_saveexec_b32 s19, s0
	s_wait_alu 0xfffe
	s_xor_b32 s0, exec_lo, s19
; %bb.587:
	v_mad_u32_u24 v1, 0xf0, v135, v167
	v_mov_b32_e32 v2, 0
                                        ; implicit-def: $vgpr135
	ds_store_b32 v1, v2
                                        ; implicit-def: $vgpr1
; %bb.588:
	s_wait_alu 0xfffe
	s_and_not1_saveexec_b32 s0, s0
	s_cbranch_execz .LBB19_590
; %bb.589:
	v_mul_lo_u32 v1, v1, s7
	v_mul_lo_u32 v2, v132, s27
	s_delay_alu instid0(VALU_DEP_1) | instskip(NEXT) | instid1(VALU_DEP_1)
	v_add3_u32 v1, v2, v141, v1
	v_ashrrev_i32_e32 v2, 31, v1
	s_delay_alu instid0(VALU_DEP_1) | instskip(NEXT) | instid1(VALU_DEP_1)
	v_lshlrev_b64_e32 v[1:2], 3, v[1:2]
	v_add_co_u32 v1, vcc_lo, s8, v1
	s_wait_alu 0xfffd
	s_delay_alu instid0(VALU_DEP_2) | instskip(SKIP_4) | instid1(VALU_DEP_1)
	v_add_co_ci_u32_e64 v2, null, s9, v2, vcc_lo
	global_load_b64 v[1:2], v[1:2], off
	s_wait_loadcnt 0x0
	v_cvt_f16_f32_e32 v1, v1
	v_cvt_f16_f32_e32 v2, v2
	v_pack_b32_f16 v1, v1, v2
	v_mad_u32_u24 v2, 0xf0, v135, v167
	s_delay_alu instid0(VALU_DEP_2)
	v_pk_mul_f16 v1, v1, s18
	ds_store_b32 v2, v1
.LBB19_590:
	s_wait_alu 0xfffe
	s_or_b32 exec_lo, exec_lo, s0
	v_lshrrev_b32_e32 v1, 1, v134
	s_delay_alu instid0(VALU_DEP_1) | instskip(NEXT) | instid1(VALU_DEP_1)
	v_add_nc_u32_e32 v1, s6, v1
	v_cmp_le_i32_e32 vcc_lo, s24, v1
	s_or_b32 s0, vcc_lo, s1
	s_wait_alu 0xfffe
	s_and_saveexec_b32 s19, s0
	s_wait_alu 0xfffe
	s_xor_b32 s0, exec_lo, s19
; %bb.591:
	v_mad_u32_u24 v1, 0xf0, v134, v167
	v_mov_b32_e32 v2, 0
                                        ; implicit-def: $vgpr134
	ds_store_b32 v1, v2
                                        ; implicit-def: $vgpr1
; %bb.592:
	s_wait_alu 0xfffe
	s_and_not1_saveexec_b32 s0, s0
	s_cbranch_execz .LBB19_594
; %bb.593:
	v_mul_lo_u32 v1, v1, s7
	v_mul_lo_u32 v2, v132, s27
	s_delay_alu instid0(VALU_DEP_1) | instskip(NEXT) | instid1(VALU_DEP_1)
	v_add3_u32 v1, v2, v141, v1
	v_ashrrev_i32_e32 v2, 31, v1
	s_delay_alu instid0(VALU_DEP_1) | instskip(NEXT) | instid1(VALU_DEP_1)
	v_lshlrev_b64_e32 v[1:2], 3, v[1:2]
	v_add_co_u32 v1, vcc_lo, s8, v1
	s_wait_alu 0xfffd
	s_delay_alu instid0(VALU_DEP_2) | instskip(SKIP_4) | instid1(VALU_DEP_1)
	v_add_co_ci_u32_e64 v2, null, s9, v2, vcc_lo
	global_load_b64 v[1:2], v[1:2], off
	s_wait_loadcnt 0x0
	v_cvt_f16_f32_e32 v1, v1
	v_cvt_f16_f32_e32 v2, v2
	v_pack_b32_f16 v1, v1, v2
	v_mad_u32_u24 v2, 0xf0, v134, v167
	s_delay_alu instid0(VALU_DEP_2)
	v_pk_mul_f16 v1, v1, s18
	ds_store_b32 v2, v1
.LBB19_594:
	s_wait_alu 0xfffe
	s_or_b32 exec_lo, exec_lo, s0
	v_lshrrev_b32_e32 v1, 1, v133
	s_delay_alu instid0(VALU_DEP_1) | instskip(NEXT) | instid1(VALU_DEP_1)
	v_add_nc_u32_e32 v1, s6, v1
	v_cmp_le_i32_e32 vcc_lo, s24, v1
	s_or_b32 s0, vcc_lo, s1
	s_wait_alu 0xfffe
	s_and_saveexec_b32 s1, s0
	s_wait_alu 0xfffe
	s_xor_b32 s0, exec_lo, s1
; %bb.595:
	v_mad_u32_u24 v1, 0xf0, v133, v167
	v_mov_b32_e32 v2, 0
                                        ; implicit-def: $vgpr132
                                        ; implicit-def: $vgpr133
	ds_store_b32 v1, v2
                                        ; implicit-def: $vgpr1
; %bb.596:
	s_wait_alu 0xfffe
	s_and_not1_saveexec_b32 s0, s0
	s_cbranch_execz .LBB19_598
; %bb.597:
	v_mul_lo_u32 v1, v1, s7
	v_mul_lo_u32 v2, v132, s27
	s_delay_alu instid0(VALU_DEP_1) | instskip(NEXT) | instid1(VALU_DEP_1)
	v_add3_u32 v1, v2, v141, v1
	v_ashrrev_i32_e32 v2, 31, v1
	s_delay_alu instid0(VALU_DEP_1) | instskip(NEXT) | instid1(VALU_DEP_1)
	v_lshlrev_b64_e32 v[1:2], 3, v[1:2]
	v_add_co_u32 v1, vcc_lo, s8, v1
	s_wait_alu 0xfffd
	s_delay_alu instid0(VALU_DEP_2) | instskip(SKIP_4) | instid1(VALU_DEP_1)
	v_add_co_ci_u32_e64 v2, null, s9, v2, vcc_lo
	global_load_b64 v[1:2], v[1:2], off
	s_wait_loadcnt 0x0
	v_cvt_f16_f32_e32 v1, v1
	v_cvt_f16_f32_e32 v2, v2
	v_pack_b32_f16 v1, v1, v2
	v_mad_u32_u24 v2, 0xf0, v133, v167
	s_delay_alu instid0(VALU_DEP_2)
	v_pk_mul_f16 v1, v1, s18
	ds_store_b32 v2, v1
.LBB19_598:
	s_wait_alu 0xfffe
	s_or_b32 exec_lo, exec_lo, s0
	v_lshrrev_b32_e32 v1, 4, v141
	v_and_b32_e32 v186, 15, v141
	s_delay_alu instid0(VALU_DEP_2) | instskip(SKIP_1) | instid1(VALU_DEP_2)
	v_lshl_add_u32 v168, v140, 1, v1
	v_and_b32_e32 v1, 1, v1
	v_lshrrev_b32_e32 v2, 1, v168
	s_delay_alu instid0(VALU_DEP_1) | instskip(NEXT) | instid1(VALU_DEP_3)
	v_add_nc_u32_e32 v3, s6, v2
	v_or_b32_e32 v2, s16, v1
	s_delay_alu instid0(VALU_DEP_2) | instskip(NEXT) | instid1(VALU_DEP_2)
	v_cmp_le_i32_e64 s0, s24, v3
	v_cmp_le_i32_e64 s1, s33, v2
	v_cmp_gt_i32_e32 vcc_lo, s33, v2
	s_or_b32 s0, s0, s1
	s_wait_alu 0xfffe
	s_and_saveexec_b32 s1, s0
	s_wait_alu 0xfffe
	s_xor_b32 s0, exec_lo, s1
	s_cbranch_execz .LBB19_600
; %bb.599:
	v_mul_u32_u24_e32 v2, 0xf0, v168
	v_lshlrev_b32_e32 v3, 2, v186
	s_delay_alu instid0(VALU_DEP_1)
	v_add3_u32 v2, 0, v2, v3
	v_mov_b32_e32 v3, 0
	ds_store_b32 v2, v3 offset:128
                                        ; implicit-def: $vgpr3
.LBB19_600:
	s_wait_alu 0xfffe
	s_or_saveexec_b32 s1, s0
	v_lshl_add_u32 v169, v186, 2, 0
	v_or_b32_e32 v2, 32, v186
	s_delay_alu instid0(VALU_DEP_2)
	v_mad_u32_u24 v220, 0xf0, v168, v169
	s_wait_alu 0xfffe
	s_xor_b32 exec_lo, exec_lo, s1
	s_cbranch_execz .LBB19_602
; %bb.601:
	v_mul_lo_u32 v3, v3, s7
	v_mul_lo_u32 v4, v1, s27
	s_delay_alu instid0(VALU_DEP_1) | instskip(NEXT) | instid1(VALU_DEP_1)
	v_add3_u32 v3, v4, v2, v3
	v_ashrrev_i32_e32 v4, 31, v3
	s_delay_alu instid0(VALU_DEP_1) | instskip(NEXT) | instid1(VALU_DEP_1)
	v_lshlrev_b64_e32 v[3:4], 3, v[3:4]
	v_add_co_u32 v3, s0, s8, v3
	s_wait_alu 0xf1ff
	s_delay_alu instid0(VALU_DEP_2) | instskip(SKIP_4) | instid1(VALU_DEP_1)
	v_add_co_ci_u32_e64 v4, null, s9, v4, s0
	global_load_b64 v[3:4], v[3:4], off
	s_wait_loadcnt 0x0
	v_cvt_f16_f32_e32 v3, v3
	v_cvt_f16_f32_e32 v4, v4
	v_pack_b32_f16 v3, v3, v4
	s_delay_alu instid0(VALU_DEP_1)
	v_pk_mul_f16 v3, v3, s18
	ds_store_b32 v220, v3 offset:128
.LBB19_602:
	s_or_b32 exec_lo, exec_lo, s1
	v_add_nc_u32_e32 v3, 8, v168
	s_xor_b32 s1, vcc_lo, -1
	s_delay_alu instid0(VALU_DEP_1) | instskip(NEXT) | instid1(VALU_DEP_1)
	v_lshrrev_b32_e32 v4, 1, v3
	v_add_nc_u32_e32 v4, s6, v4
	s_delay_alu instid0(VALU_DEP_1)
	v_cmp_le_i32_e64 s0, s24, v4
	s_wait_alu 0xfffe
	s_or_b32 s0, s0, s1
	s_wait_alu 0xfffe
	s_and_saveexec_b32 s19, s0
	s_wait_alu 0xfffe
	s_xor_b32 s0, exec_lo, s19
	s_cbranch_execz .LBB19_604
; %bb.603:
	v_mul_u32_u24_e32 v3, 0xf0, v3
	v_lshlrev_b32_e32 v4, 2, v186
	s_delay_alu instid0(VALU_DEP_1)
	v_add3_u32 v3, 0, v3, v4
	v_mov_b32_e32 v4, 0
	ds_store_b32 v3, v4 offset:128
                                        ; implicit-def: $vgpr4
                                        ; implicit-def: $vgpr3
.LBB19_604:
	s_wait_alu 0xfffe
	s_and_not1_saveexec_b32 s0, s0
	s_cbranch_execz .LBB19_606
; %bb.605:
	v_mul_lo_u32 v4, v4, s7
	v_mul_lo_u32 v5, v1, s27
	v_mad_u32_u24 v3, 0xf0, v3, v169
	s_delay_alu instid0(VALU_DEP_2) | instskip(NEXT) | instid1(VALU_DEP_1)
	v_add3_u32 v4, v5, v2, v4
	v_ashrrev_i32_e32 v5, 31, v4
	s_delay_alu instid0(VALU_DEP_1) | instskip(NEXT) | instid1(VALU_DEP_1)
	v_lshlrev_b64_e32 v[4:5], 3, v[4:5]
	v_add_co_u32 v4, vcc_lo, s8, v4
	s_wait_alu 0xfffd
	s_delay_alu instid0(VALU_DEP_2) | instskip(SKIP_4) | instid1(VALU_DEP_1)
	v_add_co_ci_u32_e64 v5, null, s9, v5, vcc_lo
	global_load_b64 v[4:5], v[4:5], off
	s_wait_loadcnt 0x0
	v_cvt_f16_f32_e32 v4, v4
	v_cvt_f16_f32_e32 v5, v5
	v_pack_b32_f16 v4, v4, v5
	s_delay_alu instid0(VALU_DEP_1)
	v_pk_mul_f16 v4, v4, s18
	ds_store_b32 v3, v4 offset:128
.LBB19_606:
	s_wait_alu 0xfffe
	s_or_b32 exec_lo, exec_lo, s0
	v_add_nc_u32_e32 v170, 16, v168
	s_delay_alu instid0(VALU_DEP_1) | instskip(NEXT) | instid1(VALU_DEP_1)
	v_lshrrev_b32_e32 v3, 1, v170
	v_add_nc_u32_e32 v3, s6, v3
	s_delay_alu instid0(VALU_DEP_1)
	v_cmp_le_i32_e32 vcc_lo, s24, v3
	s_or_b32 s0, vcc_lo, s1
	s_wait_alu 0xfffe
	s_and_saveexec_b32 s19, s0
	s_wait_alu 0xfffe
	s_xor_b32 s0, exec_lo, s19
	s_cbranch_execz .LBB19_608
; %bb.607:
	v_mul_u32_u24_e32 v3, 0xf0, v170
	v_lshlrev_b32_e32 v4, 2, v186
	s_delay_alu instid0(VALU_DEP_1)
	v_add3_u32 v3, 0, v3, v4
	v_mov_b32_e32 v4, 0
	ds_store_b32 v3, v4 offset:128
                                        ; implicit-def: $vgpr3
.LBB19_608:
	s_wait_alu 0xfffe
	s_and_not1_saveexec_b32 s0, s0
	s_cbranch_execz .LBB19_610
; %bb.609:
	v_mul_lo_u32 v3, v3, s7
	v_mul_lo_u32 v4, v1, s27
	s_delay_alu instid0(VALU_DEP_1) | instskip(NEXT) | instid1(VALU_DEP_1)
	v_add3_u32 v3, v4, v2, v3
	v_ashrrev_i32_e32 v4, 31, v3
	s_delay_alu instid0(VALU_DEP_1) | instskip(NEXT) | instid1(VALU_DEP_1)
	v_lshlrev_b64_e32 v[3:4], 3, v[3:4]
	v_add_co_u32 v3, vcc_lo, s8, v3
	s_wait_alu 0xfffd
	s_delay_alu instid0(VALU_DEP_2) | instskip(SKIP_4) | instid1(VALU_DEP_1)
	v_add_co_ci_u32_e64 v4, null, s9, v4, vcc_lo
	global_load_b64 v[3:4], v[3:4], off
	s_wait_loadcnt 0x0
	v_cvt_f16_f32_e32 v3, v3
	v_cvt_f16_f32_e32 v4, v4
	v_pack_b32_f16 v3, v3, v4
	v_mad_u32_u24 v4, 0xf0, v170, v169
	s_delay_alu instid0(VALU_DEP_2)
	v_pk_mul_f16 v3, v3, s18
	ds_store_b32 v4, v3 offset:128
.LBB19_610:
	s_wait_alu 0xfffe
	s_or_b32 exec_lo, exec_lo, s0
	v_add_nc_u32_e32 v3, 24, v168
	s_delay_alu instid0(VALU_DEP_1) | instskip(NEXT) | instid1(VALU_DEP_1)
	v_lshrrev_b32_e32 v4, 1, v3
	v_add_nc_u32_e32 v4, s6, v4
	s_delay_alu instid0(VALU_DEP_1)
	v_cmp_le_i32_e32 vcc_lo, s24, v4
	s_or_b32 s0, vcc_lo, s1
	s_wait_alu 0xfffe
	s_and_saveexec_b32 s19, s0
	s_wait_alu 0xfffe
	s_xor_b32 s0, exec_lo, s19
	s_cbranch_execz .LBB19_612
; %bb.611:
	v_mul_u32_u24_e32 v3, 0xf0, v3
	v_lshlrev_b32_e32 v4, 2, v186
	s_delay_alu instid0(VALU_DEP_1)
	v_add3_u32 v3, 0, v3, v4
	v_mov_b32_e32 v4, 0
	ds_store_b32 v3, v4 offset:128
                                        ; implicit-def: $vgpr4
                                        ; implicit-def: $vgpr3
.LBB19_612:
	s_wait_alu 0xfffe
	s_and_not1_saveexec_b32 s0, s0
	s_cbranch_execz .LBB19_614
; %bb.613:
	v_mul_lo_u32 v4, v4, s7
	v_mul_lo_u32 v5, v1, s27
	v_mad_u32_u24 v3, 0xf0, v3, v169
	s_delay_alu instid0(VALU_DEP_2) | instskip(NEXT) | instid1(VALU_DEP_1)
	v_add3_u32 v4, v5, v2, v4
	v_ashrrev_i32_e32 v5, 31, v4
	s_delay_alu instid0(VALU_DEP_1) | instskip(NEXT) | instid1(VALU_DEP_1)
	v_lshlrev_b64_e32 v[4:5], 3, v[4:5]
	v_add_co_u32 v4, vcc_lo, s8, v4
	s_wait_alu 0xfffd
	s_delay_alu instid0(VALU_DEP_2) | instskip(SKIP_4) | instid1(VALU_DEP_1)
	v_add_co_ci_u32_e64 v5, null, s9, v5, vcc_lo
	global_load_b64 v[4:5], v[4:5], off
	s_wait_loadcnt 0x0
	v_cvt_f16_f32_e32 v4, v4
	v_cvt_f16_f32_e32 v5, v5
	v_pack_b32_f16 v4, v4, v5
	s_delay_alu instid0(VALU_DEP_1)
	v_pk_mul_f16 v4, v4, s18
	ds_store_b32 v3, v4 offset:128
.LBB19_614:
	s_wait_alu 0xfffe
	s_or_b32 exec_lo, exec_lo, s0
	v_add_nc_u32_e32 v171, 32, v168
	s_delay_alu instid0(VALU_DEP_1) | instskip(NEXT) | instid1(VALU_DEP_1)
	v_lshrrev_b32_e32 v3, 1, v171
	v_add_nc_u32_e32 v3, s6, v3
	s_delay_alu instid0(VALU_DEP_1)
	v_cmp_le_i32_e32 vcc_lo, s24, v3
	s_or_b32 s0, vcc_lo, s1
	s_wait_alu 0xfffe
	s_and_saveexec_b32 s19, s0
	s_wait_alu 0xfffe
	s_xor_b32 s0, exec_lo, s19
	s_cbranch_execz .LBB19_616
; %bb.615:
	v_mul_u32_u24_e32 v3, 0xf0, v171
	v_lshlrev_b32_e32 v4, 2, v186
	s_delay_alu instid0(VALU_DEP_1)
	v_add3_u32 v3, 0, v3, v4
	v_mov_b32_e32 v4, 0
	ds_store_b32 v3, v4 offset:128
                                        ; implicit-def: $vgpr3
.LBB19_616:
	s_wait_alu 0xfffe
	s_and_not1_saveexec_b32 s0, s0
	s_cbranch_execz .LBB19_618
; %bb.617:
	v_mul_lo_u32 v3, v3, s7
	v_mul_lo_u32 v4, v1, s27
	s_delay_alu instid0(VALU_DEP_1) | instskip(NEXT) | instid1(VALU_DEP_1)
	v_add3_u32 v3, v4, v2, v3
	v_ashrrev_i32_e32 v4, 31, v3
	s_delay_alu instid0(VALU_DEP_1) | instskip(NEXT) | instid1(VALU_DEP_1)
	v_lshlrev_b64_e32 v[3:4], 3, v[3:4]
	v_add_co_u32 v3, vcc_lo, s8, v3
	s_wait_alu 0xfffd
	s_delay_alu instid0(VALU_DEP_2) | instskip(SKIP_4) | instid1(VALU_DEP_1)
	v_add_co_ci_u32_e64 v4, null, s9, v4, vcc_lo
	global_load_b64 v[3:4], v[3:4], off
	s_wait_loadcnt 0x0
	v_cvt_f16_f32_e32 v3, v3
	v_cvt_f16_f32_e32 v4, v4
	v_pack_b32_f16 v3, v3, v4
	v_mad_u32_u24 v4, 0xf0, v171, v169
	s_delay_alu instid0(VALU_DEP_2)
	v_pk_mul_f16 v3, v3, s18
	ds_store_b32 v4, v3 offset:128
.LBB19_618:
	s_wait_alu 0xfffe
	s_or_b32 exec_lo, exec_lo, s0
	v_add_nc_u32_e32 v3, 40, v168
	s_delay_alu instid0(VALU_DEP_1) | instskip(NEXT) | instid1(VALU_DEP_1)
	v_lshrrev_b32_e32 v4, 1, v3
	v_add_nc_u32_e32 v4, s6, v4
	s_delay_alu instid0(VALU_DEP_1)
	v_cmp_le_i32_e32 vcc_lo, s24, v4
	s_or_b32 s0, vcc_lo, s1
	s_wait_alu 0xfffe
	s_and_saveexec_b32 s19, s0
	s_wait_alu 0xfffe
	s_xor_b32 s0, exec_lo, s19
	s_cbranch_execz .LBB19_620
; %bb.619:
	v_mul_u32_u24_e32 v3, 0xf0, v3
	v_lshlrev_b32_e32 v4, 2, v186
	s_delay_alu instid0(VALU_DEP_1)
	v_add3_u32 v3, 0, v3, v4
	v_mov_b32_e32 v4, 0
	ds_store_b32 v3, v4 offset:128
                                        ; implicit-def: $vgpr4
                                        ; implicit-def: $vgpr3
.LBB19_620:
	s_wait_alu 0xfffe
	s_and_not1_saveexec_b32 s0, s0
	s_cbranch_execz .LBB19_622
; %bb.621:
	v_mul_lo_u32 v4, v4, s7
	v_mul_lo_u32 v5, v1, s27
	v_mad_u32_u24 v3, 0xf0, v3, v169
	s_delay_alu instid0(VALU_DEP_2) | instskip(NEXT) | instid1(VALU_DEP_1)
	v_add3_u32 v4, v5, v2, v4
	v_ashrrev_i32_e32 v5, 31, v4
	s_delay_alu instid0(VALU_DEP_1) | instskip(NEXT) | instid1(VALU_DEP_1)
	v_lshlrev_b64_e32 v[4:5], 3, v[4:5]
	v_add_co_u32 v4, vcc_lo, s8, v4
	s_wait_alu 0xfffd
	s_delay_alu instid0(VALU_DEP_2) | instskip(SKIP_4) | instid1(VALU_DEP_1)
	v_add_co_ci_u32_e64 v5, null, s9, v5, vcc_lo
	global_load_b64 v[4:5], v[4:5], off
	s_wait_loadcnt 0x0
	v_cvt_f16_f32_e32 v4, v4
	v_cvt_f16_f32_e32 v5, v5
	v_pack_b32_f16 v4, v4, v5
	s_delay_alu instid0(VALU_DEP_1)
	v_pk_mul_f16 v4, v4, s18
	ds_store_b32 v3, v4 offset:128
.LBB19_622:
	s_wait_alu 0xfffe
	s_or_b32 exec_lo, exec_lo, s0
	v_add_nc_u32_e32 v175, 48, v168
	s_delay_alu instid0(VALU_DEP_1) | instskip(NEXT) | instid1(VALU_DEP_1)
	v_lshrrev_b32_e32 v3, 1, v175
	v_add_nc_u32_e32 v3, s6, v3
	s_delay_alu instid0(VALU_DEP_1)
	v_cmp_le_i32_e32 vcc_lo, s24, v3
	s_or_b32 s0, vcc_lo, s1
	s_wait_alu 0xfffe
	s_and_saveexec_b32 s19, s0
	s_wait_alu 0xfffe
	s_xor_b32 s0, exec_lo, s19
	s_cbranch_execz .LBB19_624
; %bb.623:
	v_mul_u32_u24_e32 v3, 0xf0, v175
	v_lshlrev_b32_e32 v4, 2, v186
	s_delay_alu instid0(VALU_DEP_1)
	v_add3_u32 v3, 0, v3, v4
	v_mov_b32_e32 v4, 0
	ds_store_b32 v3, v4 offset:128
                                        ; implicit-def: $vgpr3
.LBB19_624:
	s_wait_alu 0xfffe
	s_and_not1_saveexec_b32 s0, s0
	s_cbranch_execz .LBB19_626
; %bb.625:
	v_mul_lo_u32 v3, v3, s7
	v_mul_lo_u32 v4, v1, s27
	s_delay_alu instid0(VALU_DEP_1) | instskip(NEXT) | instid1(VALU_DEP_1)
	v_add3_u32 v3, v4, v2, v3
	v_ashrrev_i32_e32 v4, 31, v3
	s_delay_alu instid0(VALU_DEP_1) | instskip(NEXT) | instid1(VALU_DEP_1)
	v_lshlrev_b64_e32 v[3:4], 3, v[3:4]
	v_add_co_u32 v3, vcc_lo, s8, v3
	s_wait_alu 0xfffd
	s_delay_alu instid0(VALU_DEP_2) | instskip(SKIP_4) | instid1(VALU_DEP_1)
	v_add_co_ci_u32_e64 v4, null, s9, v4, vcc_lo
	global_load_b64 v[3:4], v[3:4], off
	s_wait_loadcnt 0x0
	v_cvt_f16_f32_e32 v3, v3
	v_cvt_f16_f32_e32 v4, v4
	v_pack_b32_f16 v3, v3, v4
	v_mad_u32_u24 v4, 0xf0, v175, v169
	s_delay_alu instid0(VALU_DEP_2)
	v_pk_mul_f16 v3, v3, s18
	ds_store_b32 v4, v3 offset:128
.LBB19_626:
	s_wait_alu 0xfffe
	s_or_b32 exec_lo, exec_lo, s0
	v_add_nc_u32_e32 v3, 56, v168
	s_delay_alu instid0(VALU_DEP_1) | instskip(NEXT) | instid1(VALU_DEP_1)
	v_lshrrev_b32_e32 v4, 1, v3
	v_add_nc_u32_e32 v4, s6, v4
	s_delay_alu instid0(VALU_DEP_1)
	v_cmp_le_i32_e32 vcc_lo, s24, v4
	s_or_b32 s0, vcc_lo, s1
	s_wait_alu 0xfffe
	s_and_saveexec_b32 s1, s0
	s_wait_alu 0xfffe
	s_xor_b32 s0, exec_lo, s1
	s_cbranch_execz .LBB19_628
; %bb.627:
	v_mul_u32_u24_e32 v1, 0xf0, v3
	v_lshlrev_b32_e32 v2, 2, v186
                                        ; implicit-def: $vgpr4
                                        ; implicit-def: $vgpr3
	s_delay_alu instid0(VALU_DEP_1)
	v_add3_u32 v1, 0, v1, v2
	v_mov_b32_e32 v2, 0
	ds_store_b32 v1, v2 offset:128
                                        ; implicit-def: $vgpr1
                                        ; implicit-def: $vgpr2
.LBB19_628:
	s_wait_alu 0xfffe
	s_and_not1_saveexec_b32 s0, s0
	s_cbranch_execz .LBB19_630
; %bb.629:
	v_mul_lo_u32 v4, v4, s7
	v_mul_lo_u32 v1, v1, s27
	s_delay_alu instid0(VALU_DEP_1) | instskip(NEXT) | instid1(VALU_DEP_1)
	v_add3_u32 v1, v1, v2, v4
	v_ashrrev_i32_e32 v2, 31, v1
	s_delay_alu instid0(VALU_DEP_1) | instskip(NEXT) | instid1(VALU_DEP_1)
	v_lshlrev_b64_e32 v[1:2], 3, v[1:2]
	v_add_co_u32 v1, vcc_lo, s8, v1
	s_wait_alu 0xfffd
	s_delay_alu instid0(VALU_DEP_2) | instskip(SKIP_4) | instid1(VALU_DEP_1)
	v_add_co_ci_u32_e64 v2, null, s9, v2, vcc_lo
	global_load_b64 v[1:2], v[1:2], off
	s_wait_loadcnt 0x0
	v_cvt_f16_f32_e32 v1, v1
	v_cvt_f16_f32_e32 v2, v2
	v_pack_b32_f16 v1, v1, v2
	v_mad_u32_u24 v2, 0xf0, v3, v169
	s_delay_alu instid0(VALU_DEP_2)
	v_pk_mul_f16 v1, v1, s18
	ds_store_b32 v2, v1 offset:128
.LBB19_630:
	s_wait_alu 0xfffe
	s_or_b32 exec_lo, exec_lo, s0
	v_lshrrev_b32_e32 v1, 3, v141
	v_and_b32_e32 v174, 7, v141
	s_delay_alu instid0(VALU_DEP_2) | instskip(SKIP_1) | instid1(VALU_DEP_2)
	v_lshl_add_u32 v173, v140, 2, v1
	v_and_b32_e32 v1, 1, v1
	v_lshrrev_b32_e32 v2, 1, v173
	s_delay_alu instid0(VALU_DEP_1) | instskip(NEXT) | instid1(VALU_DEP_3)
	v_add_nc_u32_e32 v3, s6, v2
	v_or_b32_e32 v2, s16, v1
	s_delay_alu instid0(VALU_DEP_2) | instskip(NEXT) | instid1(VALU_DEP_2)
	v_cmp_le_i32_e64 s0, s24, v3
	v_cmp_le_i32_e64 s1, s33, v2
	v_cmp_gt_i32_e32 vcc_lo, s33, v2
	s_or_b32 s0, s0, s1
	s_wait_alu 0xfffe
	s_and_saveexec_b32 s1, s0
	s_wait_alu 0xfffe
	s_xor_b32 s0, exec_lo, s1
	s_cbranch_execz .LBB19_632
; %bb.631:
	v_mul_u32_u24_e32 v2, 0xf0, v173
	v_lshlrev_b32_e32 v3, 2, v174
	s_delay_alu instid0(VALU_DEP_1)
	v_add3_u32 v2, 0, v2, v3
	v_mov_b32_e32 v3, 0
	ds_store_b32 v2, v3 offset:192
                                        ; implicit-def: $vgpr3
.LBB19_632:
	s_wait_alu 0xfffe
	s_or_saveexec_b32 s1, s0
	v_lshl_add_u32 v172, v174, 2, 0
	v_or_b32_e32 v2, 48, v174
	s_mul_f32 s3, s3, 0x4f7ffffe
	s_delay_alu instid0(VALU_DEP_2)
	v_mad_u32_u24 v176, 0xf0, v173, v172
	s_wait_alu 0xfffe
	s_xor_b32 exec_lo, exec_lo, s1
	s_cbranch_execz .LBB19_634
; %bb.633:
	v_mul_lo_u32 v3, v3, s7
	v_mul_lo_u32 v4, v1, s27
	s_delay_alu instid0(VALU_DEP_1) | instskip(NEXT) | instid1(VALU_DEP_1)
	v_add3_u32 v3, v4, v2, v3
	v_ashrrev_i32_e32 v4, 31, v3
	s_delay_alu instid0(VALU_DEP_1) | instskip(NEXT) | instid1(VALU_DEP_1)
	v_lshlrev_b64_e32 v[3:4], 3, v[3:4]
	v_add_co_u32 v3, s0, s8, v3
	s_wait_alu 0xf1ff
	s_delay_alu instid0(VALU_DEP_2) | instskip(SKIP_4) | instid1(VALU_DEP_1)
	v_add_co_ci_u32_e64 v4, null, s9, v4, s0
	global_load_b64 v[3:4], v[3:4], off
	s_wait_loadcnt 0x0
	v_cvt_f16_f32_e32 v3, v3
	v_cvt_f16_f32_e32 v4, v4
	v_pack_b32_f16 v3, v3, v4
	s_delay_alu instid0(VALU_DEP_1)
	v_pk_mul_f16 v3, v3, s18
	ds_store_b32 v176, v3 offset:192
.LBB19_634:
	s_or_b32 exec_lo, exec_lo, s1
	v_add_nc_u32_e32 v178, 16, v173
	s_cvt_u32_f32 s1, s3
	s_xor_b32 s3, vcc_lo, -1
	s_sub_co_i32 s19, 0, s21
	s_delay_alu instid0(VALU_DEP_1) | instskip(NEXT) | instid1(VALU_DEP_1)
	v_lshrrev_b32_e32 v3, 1, v178
	v_add_nc_u32_e32 v3, s6, v3
	s_delay_alu instid0(VALU_DEP_1)
	v_cmp_le_i32_e64 s0, s24, v3
	s_wait_alu 0xfffe
	s_or_b32 s0, s0, s3
	s_wait_alu 0xfffe
	s_and_saveexec_b32 s16, s0
	s_wait_alu 0xfffe
	s_xor_b32 s0, exec_lo, s16
	s_cbranch_execz .LBB19_636
; %bb.635:
	v_mul_u32_u24_e32 v3, 0xf0, v178
	v_lshlrev_b32_e32 v4, 2, v174
	s_delay_alu instid0(VALU_DEP_1)
	v_add3_u32 v3, 0, v3, v4
	v_mov_b32_e32 v4, 0
	ds_store_b32 v3, v4 offset:192
                                        ; implicit-def: $vgpr3
.LBB19_636:
	s_wait_alu 0xfffe
	s_or_saveexec_b32 s16, s0
	s_mul_i32 s0, s19, s1
	s_wait_alu 0xfffe
	s_xor_b32 exec_lo, exec_lo, s16
	s_cbranch_execz .LBB19_638
; %bb.637:
	v_mul_lo_u32 v3, v3, s7
	v_mul_lo_u32 v4, v1, s27
	s_delay_alu instid0(VALU_DEP_1) | instskip(NEXT) | instid1(VALU_DEP_1)
	v_add3_u32 v3, v4, v2, v3
	v_ashrrev_i32_e32 v4, 31, v3
	s_delay_alu instid0(VALU_DEP_1) | instskip(NEXT) | instid1(VALU_DEP_1)
	v_lshlrev_b64_e32 v[3:4], 3, v[3:4]
	v_add_co_u32 v3, vcc_lo, s8, v3
	s_wait_alu 0xfffd
	s_delay_alu instid0(VALU_DEP_2) | instskip(SKIP_4) | instid1(VALU_DEP_1)
	v_add_co_ci_u32_e64 v4, null, s9, v4, vcc_lo
	global_load_b64 v[3:4], v[3:4], off
	s_wait_loadcnt 0x0
	v_cvt_f16_f32_e32 v3, v3
	v_cvt_f16_f32_e32 v4, v4
	v_pack_b32_f16 v3, v3, v4
	v_mad_u32_u24 v4, 0xf0, v178, v172
	s_delay_alu instid0(VALU_DEP_2)
	v_pk_mul_f16 v3, v3, s18
	ds_store_b32 v4, v3 offset:192
.LBB19_638:
	s_or_b32 exec_lo, exec_lo, s16
	v_add_nc_u32_e32 v179, 32, v173
	s_mul_hi_u32 s0, s1, s0
	s_delay_alu instid0(VALU_DEP_1) | instskip(NEXT) | instid1(VALU_DEP_1)
	v_lshrrev_b32_e32 v3, 1, v179
	v_add_nc_u32_e32 v3, s6, v3
	s_delay_alu instid0(VALU_DEP_1)
	v_cmp_le_i32_e32 vcc_lo, s24, v3
	s_or_b32 s16, vcc_lo, s3
	s_wait_alu 0xfffe
	s_and_saveexec_b32 s19, s16
	s_wait_alu 0xfffe
	s_xor_b32 s16, exec_lo, s19
	s_cbranch_execz .LBB19_640
; %bb.639:
	v_mul_u32_u24_e32 v3, 0xf0, v179
	v_lshlrev_b32_e32 v4, 2, v174
	s_delay_alu instid0(VALU_DEP_1)
	v_add3_u32 v3, 0, v3, v4
	v_mov_b32_e32 v4, 0
	ds_store_b32 v3, v4 offset:192
                                        ; implicit-def: $vgpr3
.LBB19_640:
	s_wait_alu 0xfffe
	s_or_saveexec_b32 s19, s16
	s_abs_i32 s16, s2
	s_add_co_i32 s0, s1, s0
	s_wait_alu 0xfffe
	s_xor_b32 exec_lo, exec_lo, s19
	s_cbranch_execz .LBB19_642
; %bb.641:
	v_mul_lo_u32 v3, v3, s7
	v_mul_lo_u32 v4, v1, s27
	s_delay_alu instid0(VALU_DEP_1) | instskip(NEXT) | instid1(VALU_DEP_1)
	v_add3_u32 v3, v4, v2, v3
	v_ashrrev_i32_e32 v4, 31, v3
	s_delay_alu instid0(VALU_DEP_1) | instskip(NEXT) | instid1(VALU_DEP_1)
	v_lshlrev_b64_e32 v[3:4], 3, v[3:4]
	v_add_co_u32 v3, vcc_lo, s8, v3
	s_wait_alu 0xfffd
	s_delay_alu instid0(VALU_DEP_2) | instskip(SKIP_4) | instid1(VALU_DEP_1)
	v_add_co_ci_u32_e64 v4, null, s9, v4, vcc_lo
	global_load_b64 v[3:4], v[3:4], off
	s_wait_loadcnt 0x0
	v_cvt_f16_f32_e32 v3, v3
	v_cvt_f16_f32_e32 v4, v4
	v_pack_b32_f16 v3, v3, v4
	v_mad_u32_u24 v4, 0xf0, v179, v172
	s_delay_alu instid0(VALU_DEP_2)
	v_pk_mul_f16 v3, v3, s18
	ds_store_b32 v4, v3 offset:192
.LBB19_642:
	s_or_b32 exec_lo, exec_lo, s19
	v_add_nc_u32_e32 v177, 48, v173
	s_mov_b32 s1, s17
	s_delay_alu instid0(VALU_DEP_1) | instskip(NEXT) | instid1(VALU_DEP_1)
	v_lshrrev_b32_e32 v3, 1, v177
	v_add_nc_u32_e32 v3, s6, v3
	s_delay_alu instid0(VALU_DEP_1)
	v_cmp_le_i32_e32 vcc_lo, s24, v3
	s_or_b32 s3, vcc_lo, s3
	s_wait_alu 0xfffe
	s_and_saveexec_b32 s19, s3
	s_wait_alu 0xfffe
	s_xor_b32 s3, exec_lo, s19
	s_cbranch_execz .LBB19_644
; %bb.643:
	v_mul_u32_u24_e32 v1, 0xf0, v177
	v_lshlrev_b32_e32 v2, 2, v174
                                        ; implicit-def: $vgpr3
	s_delay_alu instid0(VALU_DEP_1)
	v_add3_u32 v1, 0, v1, v2
	v_mov_b32_e32 v2, 0
	ds_store_b32 v1, v2 offset:192
                                        ; implicit-def: $vgpr1
                                        ; implicit-def: $vgpr2
.LBB19_644:
	s_wait_alu 0xfffe
	s_or_saveexec_b32 s19, s3
	s_mul_u64 s[0:1], s[16:17], s[0:1]
	s_ashr_i32 s3, s2, 31
	s_wait_alu 0xfffe
	s_xor_b32 exec_lo, exec_lo, s19
	s_cbranch_execz .LBB19_646
; %bb.645:
	v_mul_lo_u32 v3, v3, s7
	v_mul_lo_u32 v1, v1, s27
	s_delay_alu instid0(VALU_DEP_1) | instskip(NEXT) | instid1(VALU_DEP_1)
	v_add3_u32 v1, v1, v2, v3
	v_ashrrev_i32_e32 v2, 31, v1
	s_delay_alu instid0(VALU_DEP_1) | instskip(NEXT) | instid1(VALU_DEP_1)
	v_lshlrev_b64_e32 v[1:2], 3, v[1:2]
	v_add_co_u32 v1, vcc_lo, s8, v1
	s_wait_alu 0xfffd
	s_delay_alu instid0(VALU_DEP_2) | instskip(SKIP_4) | instid1(VALU_DEP_1)
	v_add_co_ci_u32_e64 v2, null, s9, v2, vcc_lo
	global_load_b64 v[1:2], v[1:2], off
	s_wait_loadcnt 0x0
	v_cvt_f16_f32_e32 v1, v1
	v_cvt_f16_f32_e32 v2, v2
	v_pack_b32_f16 v1, v1, v2
	v_mad_u32_u24 v2, 0xf0, v177, v172
	s_delay_alu instid0(VALU_DEP_2)
	v_pk_mul_f16 v1, v1, s18
	ds_store_b32 v2, v1 offset:192
.LBB19_646:
	s_or_b32 exec_lo, exec_lo, s19
	v_lshrrev_b32_e32 v1, 2, v141
	v_mul_u32_u24_e32 v82, 0xf0, v186
	v_readlane_b32 s8, v255, 11
	v_readlane_b32 s9, v255, 12
	s_mul_i32 s1, s1, s21
	v_dual_mov_b32 v185, 0 :: v_dual_and_b32 v2, 0xfc, v1
	s_wait_alu 0xfffe
	s_sub_co_i32 s7, s16, s1
	s_mul_i32 s0, s20, s9
	s_wait_alu 0xfffe
	s_sub_co_i32 s8, s7, s21
	v_lshlrev_b32_e32 v180, 2, v2
	s_ashr_i32 s1, s0, 31
	s_cmp_ge_u32 s7, s21
	s_wait_storecnt 0x0
	s_wait_loadcnt_dscnt 0x0
	s_barrier_signal -1
	v_add3_u32 v2, v131, v82, v180
	s_barrier_wait -1
	global_inv scope:SCOPE_SE
	s_wait_alu 0xfffe
	s_cselect_b32 s7, s8, s7
	s_mul_u64 s[16:17], s[28:29], s[2:3]
	ds_load_b128 v[52:55], v2
	ds_load_b128 v[48:51], v2 offset:32
	ds_load_b128 v[44:47], v2 offset:64
	;; [unrolled: 1-line block ×6, first 2 shown]
	s_wait_alu 0xfffe
	s_sub_co_i32 s8, s7, s21
	s_cmp_ge_u32 s7, s21
	s_add_nc_u64 s[10:11], s[10:11], s[16:17]
	s_wait_alu 0xfffe
	s_cselect_b32 s7, s8, s7
	v_readlane_b32 s16, v255, 8
	s_wait_alu 0xfffe
	s_xor_b32 s7, s7, s3
	v_readlane_b32 s17, v255, 9
	s_wait_alu 0xfffe
	s_sub_co_i32 s8, s7, s3
	v_add_nc_u32_e32 v226, -1, v0
	s_wait_alu 0xfffe
	s_ashr_i32 s9, s8, 31
	v_lshlrev_b32_e32 v0, 1, v141
	s_wait_alu 0xfffe
	s_mul_u64 s[8:9], s[16:17], s[8:9]
	v_readlane_b32 s16, v255, 6
	v_readlane_b32 s17, v255, 7
	v_cmp_lt_i32_e32 vcc_lo, s94, v226
	s_movk_i32 s7, 0xf0
	s_mov_b32 s18, -1
	s_wait_loadcnt_dscnt 0x0
	s_mul_u64 s[16:17], s[16:17], s[2:3]
	s_mul_i32 s2, s20, s31
	s_wait_alu 0xfffe
	s_add_nc_u64 s[16:17], s[12:13], s[16:17]
	s_ashr_i32 s3, s2, 31
	s_barrier_signal -1
	s_barrier_wait -1
	global_inv scope:SCOPE_SE
	s_cbranch_vccnz .LBB19_650
; %bb.647:
	v_dual_mov_b32 v131, 0 :: v_dual_add_nc_u32 v2, s6, v140
	v_add_nc_u32_e32 v3, s6, v197
	v_dual_mov_b32 v113, 32 :: v_dual_add_nc_u32 v4, s6, v182
	s_delay_alu instid0(VALU_DEP_3) | instskip(NEXT) | instid1(VALU_DEP_4)
	v_mul_hi_u32 v5, s36, v2
	v_mov_b32_e32 v214, v131
	s_delay_alu instid0(VALU_DEP_4) | instskip(NEXT) | instid1(VALU_DEP_4)
	v_mul_hi_u32 v6, s36, v3
	v_mul_hi_u32 v7, s36, v4
	s_ashr_i32 s27, s26, 31
	s_ashr_i32 s35, s34, 31
	s_wait_alu 0xfffe
	v_dual_mov_b32 v57, s35 :: v_dual_add_nc_u32 v8, s6, v192
	v_mov_b32_e32 v67, s27
	v_dual_mov_b32 v184, v131 :: v_dual_add_nc_u32 v9, s6, v181
	v_add_nc_u32_e32 v6, v3, v6
	v_dual_mov_b32 v66, s26 :: v_dual_add_nc_u32 v7, v4, v7
	v_dual_mov_b32 v56, s34 :: v_dual_add_nc_u32 v5, v2, v5
	v_mul_hi_u32 v10, s36, v8
	s_delay_alu instid0(VALU_DEP_4) | instskip(NEXT) | instid1(VALU_DEP_4)
	v_lshrrev_b32_e32 v6, s37, v6
	v_lshrrev_b32_e32 v7, s37, v7
	s_delay_alu instid0(VALU_DEP_4)
	v_lshrrev_b32_e32 v5, s37, v5
	v_mul_hi_u32 v12, s36, v9
	v_add_nc_u32_e32 v13, s6, v188
	v_mul_lo_u32 v6, v6, s24
	v_mul_lo_u32 v7, v7, s24
	v_add_nc_u32_e32 v10, v8, v10
	v_mul_lo_u32 v5, v5, s24
	v_add_nc_u32_e32 v11, s6, v191
	v_lshlrev_b32_e32 v208, 4, v140
	v_add_nc_u32_e32 v12, v9, v12
	v_lshrrev_b32_e32 v10, s37, v10
	v_sub_nc_u32_e32 v3, v3, v6
	v_sub_nc_u32_e32 v4, v4, v7
	v_add_nc_u32_e32 v6, s6, v187
	v_sub_nc_u32_e32 v2, v2, v5
	v_mul_lo_u32 v5, v10, s24
	v_mad_co_i64_i32 v[150:151], null, v3, s38, 0
	v_mad_co_i64_i32 v[154:155], null, v4, s38, 0
	v_mul_hi_u32 v3, s36, v13
	v_lshrrev_b32_e32 v4, s37, v12
	v_mul_hi_u32 v7, s36, v6
	v_sub_nc_u32_e32 v5, v8, v5
	v_mad_co_i64_i32 v[152:153], null, v2, s38, 0
	s_delay_alu instid0(VALU_DEP_4)
	v_mul_lo_u32 v4, v4, s24
	v_mul_hi_u32 v2, s36, v11
	v_add_nc_u32_e32 v3, v13, v3
	v_mad_co_i64_i32 v[156:157], null, v5, s38, 0
	v_add_nc_u32_e32 v5, v6, v7
	v_mul_lo_u32 v142, s26, v173
	s_delay_alu instid0(VALU_DEP_4)
	v_lshrrev_b32_e32 v3, s37, v3
	v_sub_nc_u32_e32 v4, v9, v4
	v_add_nc_u32_e32 v2, v11, v2
	v_mul_lo_u32 v115, s34, v173
	s_movk_i32 s12, 0x240
	v_mul_lo_u32 v3, v3, s24
	v_mad_co_i64_i32 v[160:161], null, v4, s38, 0
	v_lshrrev_b32_e32 v4, s37, v5
	v_lshrrev_b32_e32 v2, s37, v2
	;; [unrolled: 1-line block ×3, first 2 shown]
	s_movk_i32 s13, 0x480
	v_mad_u32_u24 v89, v173, s7, 0xf00
	v_mul_lo_u32 v4, v4, s24
	v_sub_nc_u32_e32 v3, v13, v3
	v_mul_lo_u32 v2, v2, s24
	s_movk_i32 s7, 0x2d00
	s_wait_alu 0xfffe
	v_mad_u32_u24 v78, 0x90, v140, s12
	v_mad_u32_u24 v79, 0x90, v140, s13
	v_mad_co_i64_i32 v[158:159], null, v3, s38, 0
	v_sub_nc_u32_e32 v3, v6, v4
	v_lshl_add_u32 v4, v140, 3, v1
	v_sub_nc_u32_e32 v2, v11, v2
	s_movk_i32 s12, 0x6c0
	s_lshl_b32 s13, s26, 4
	v_mad_co_i64_i32 v[164:165], null, v3, s38, 0
	v_and_or_b32 v3, v141, 14, v208
	v_mad_co_i64_i32 v[162:163], null, v2, s38, 0
	v_add_nc_u32_e32 v2, v5, v208
	v_and_b32_e32 v5, 0x1f8, v5
	s_delay_alu instid0(VALU_DEP_4)
	v_lshrrev_b32_e32 v3, 1, v3
	v_mad_u32_u24 v91, 0xf0, v173, s7
	s_lshl_b32 s7, s34, 4
	s_wait_alu 0xfffe
	v_mad_u32_u24 v80, 0x90, v140, s12
	s_movk_i32 s12, 0x900
	v_mul_u32_u24_e32 v210, 0x90, v3
	v_add_nc_u32_e32 v3, 16, v5
	v_lshlrev_b32_e32 v6, 2, v141
	v_add_nc_u32_e32 v144, s13, v142
	v_add_nc_u32_e32 v121, s7, v115
	s_wait_alu 0xfffe
	v_mad_u32_u24 v81, 0x90, v140, s12
	v_lshrrev_b32_e32 v205, 1, v3
	v_add_nc_u32_e32 v3, 34, v5
	s_movk_i32 s12, 0xb40
	v_mul_lo_u32 v134, s26, v4
	v_mul_lo_u32 v117, s34, v4
	s_wait_alu 0xfffe
	v_mad_u32_u24 v215, 0x90, v140, s12
	s_movk_i32 s12, 0xd80
	v_mul_lo_u32 v132, s26, v2
	v_mul_u32_u24_e32 v86, 0xf0, v2
	v_and_or_b32 v130, v6, 4, 48
	v_and_or_b32 v213, v6, 12, 32
	v_and_b32_e32 v183, 28, v6
	v_add_nc_u32_e32 v146, s13, v144
	v_add_nc_u32_e32 v6, 18, v5
	;; [unrolled: 1-line block ×5, first 2 shown]
	v_lshrrev_b32_e32 v199, 1, v3
	v_add_nc_u32_e32 v3, 52, v5
	v_mul_lo_u32 v119, s34, v2
	v_add_nc_u32_e32 v126, s7, v121
	v_lshlrev_b32_e32 v2, 1, v1
	s_wait_alu 0xfffe
	v_mad_u32_u24 v83, 0x90, v140, s12
	s_movk_i32 s12, 0xfc0
	v_mul_u32_u24_e32 v85, 0xf0, v4
	s_wait_alu 0xfffe
	v_mad_u32_u24 v84, 0x90, v140, s12
	s_movk_i32 s12, 0x1e00
	v_lshl_add_u32 v136, s26, 5, v134
	s_wait_alu 0xfffe
	v_mad_u32_u24 v88, 0xf0, v4, s12
	v_add_nc_u32_e32 v148, s13, v146
	v_lshrrev_b32_e32 v211, 1, v5
	v_lshrrev_b32_e32 v207, 1, v6
	v_lshrrev_b32_e32 v209, 1, v7
	v_lshrrev_b32_e32 v212, 1, v8
	v_lshrrev_b32_e32 v202, 1, v9
	v_add_nc_u32_e32 v6, 36, v5
	v_add_nc_u32_e32 v7, 38, v5
	v_add_nc_u32_e32 v8, 48, v5
	v_add_nc_u32_e32 v9, 50, v5
	v_add_nc_u32_e32 v5, 54, v5
	v_mbcnt_lo_u32_b32 v194, -1, 0
	v_lshrrev_b32_e32 v203, 1, v3
	v_lshl_add_u32 v124, s34, 5, v117
	v_add_nc_u32_e32 v128, s7, v126
	v_and_b32_e32 v3, 0x1f8, v2
	v_or_b32_e32 v4, 6, v2
	v_or_b32_e32 v2, 7, v2
	v_mul_u32_u24_e32 v193, 0x90, v140
	v_ashrrev_i32_e32 v133, 31, v132
	v_ashrrev_i32_e32 v135, 31, v134
	;; [unrolled: 1-line block ×3, first 2 shown]
	v_mul_u32_u24_e32 v87, 0xf0, v173
	v_ashrrev_i32_e32 v143, 31, v142
	v_ashrrev_i32_e32 v145, 31, v144
	v_mad_u32_u24 v90, 0xf0, v173, s12
	v_ashrrev_i32_e32 v147, 31, v146
	v_ashrrev_i32_e32 v149, 31, v148
	v_or_b32_e32 v206, 3, v1
	v_lshrrev_b32_e32 v200, 1, v6
	v_lshrrev_b32_e32 v201, 1, v7
	;; [unrolled: 1-line block ×5, first 2 shown]
	v_xor_b32_e32 v195, 16, v194
	v_ashrrev_i32_e32 v120, 31, v119
	v_ashrrev_i32_e32 v118, 31, v117
	;; [unrolled: 1-line block ×7, first 2 shown]
	v_mul_u32_u24_e32 v123, 0xf0, v3
	v_mul_u32_u24_e32 v190, 0xf0, v4
	;; [unrolled: 1-line block ×3, first 2 shown]
	s_mov_b32 s18, 0
	s_branch .LBB19_651
.LBB19_648:
                                        ; implicit-def: $sgpr48_sgpr49
	s_load_b64 s[46:47], s[96:97], 0x74
	v_cvt_f32_u32_e32 v1, s22
	s_branch .LBB19_2
.LBB19_649:
                                        ; implicit-def: $sgpr54_sgpr55
	s_load_b64 s[36:37], s[96:97], 0x5c
	s_branch .LBB19_5
.LBB19_650:
                                        ; implicit-def: $vgpr193
                                        ; implicit-def: $vgpr152_vgpr153
                                        ; implicit-def: $vgpr78
                                        ; implicit-def: $vgpr150_vgpr151
                                        ; implicit-def: $vgpr79
                                        ; implicit-def: $vgpr154_vgpr155
                                        ; implicit-def: $vgpr80
                                        ; implicit-def: $vgpr156_vgpr157
                                        ; implicit-def: $vgpr81
                                        ; implicit-def: $vgpr160_vgpr161
                                        ; implicit-def: $vgpr215
                                        ; implicit-def: $vgpr162_vgpr163
                                        ; implicit-def: $vgpr83
                                        ; implicit-def: $vgpr158_vgpr159
                                        ; implicit-def: $vgpr84
                                        ; implicit-def: $vgpr164_vgpr165
                                        ; implicit-def: $vgpr66_vgpr67
                                        ; implicit-def: $vgpr208
                                        ; implicit-def: $vgpr86
                                        ; implicit-def: $vgpr132_vgpr133
                                        ; implicit-def: $vgpr130
                                        ; implicit-def: $vgpr85
                                        ; implicit-def: $vgpr134_vgpr135
                                        ; implicit-def: $vgpr213
                                        ; implicit-def: $vgpr88
                                        ; implicit-def: $vgpr136_vgpr137
                                        ; implicit-def: $vgpr87
                                        ; implicit-def: $vgpr183
                                        ; implicit-def: $vgpr142_vgpr143
                                        ; implicit-def: $vgpr89
                                        ; implicit-def: $vgpr144_vgpr145
                                        ; implicit-def: $vgpr90
                                        ; implicit-def: $vgpr146_vgpr147
                                        ; implicit-def: $vgpr91
                                        ; implicit-def: $vgpr148_vgpr149
                                        ; implicit-def: $vgpr210
                                        ; implicit-def: $vgpr211
                                        ; implicit-def: $vgpr206
                                        ; implicit-def: $vgpr205
                                        ; implicit-def: $vgpr207
                                        ; implicit-def: $vgpr209
                                        ; implicit-def: $vgpr212
                                        ; implicit-def: $vgpr202
                                        ; implicit-def: $vgpr199
                                        ; implicit-def: $vgpr200
                                        ; implicit-def: $vgpr201
                                        ; implicit-def: $vgpr114
                                        ; implicit-def: $vgpr198
                                        ; implicit-def: $vgpr203
                                        ; implicit-def: $vgpr204
                                        ; implicit-def: $vgpr194
                                        ; implicit-def: $vgpr195
                                        ; implicit-def: $vgpr113
                                        ; implicit-def: $vgpr56_vgpr57
                                        ; implicit-def: $vgpr119_vgpr120
                                        ; implicit-def: $vgpr117_vgpr118
                                        ; implicit-def: $vgpr124_vgpr125
                                        ; implicit-def: $vgpr115_vgpr116
                                        ; implicit-def: $vgpr121_vgpr122
                                        ; implicit-def: $vgpr126_vgpr127
                                        ; implicit-def: $vgpr128_vgpr129
                                        ; implicit-def: $vgpr123
                                        ; implicit-def: $vgpr190
                                        ; implicit-def: $vgpr196
.LBB19_651:
	v_lshlrev_b32_e32 v225, 1, v0
	v_lshlrev_b32_e32 v189, 1, v186
	s_add_nc_u64 s[10:11], s[10:11], s[0:1]
	s_add_nc_u64 s[12:13], s[14:15], s[8:9]
	s_wait_alu 0xfffe
	s_and_not1_b32 vcc_lo, exec_lo, s18
	s_add_nc_u64 s[8:9], s[16:17], s[2:3]
	s_wait_alu 0xfffe
	s_cbranch_vccnz .LBB19_655
; %bb.652:
	v_mbcnt_lo_u32_b32 v194, -1, 0
	v_dual_mov_b32 v131, 0 :: v_dual_add_nc_u32 v0, s6, v140
	v_add_nc_u32_e32 v4, s6, v182
	v_add_nc_u32_e32 v7, s6, v192
	s_delay_alu instid0(VALU_DEP_4) | instskip(NEXT) | instid1(VALU_DEP_4)
	v_xor_b32_e32 v195, 16, v194
	v_mul_hi_u32 v3, s36, v0
	v_mov_b32_e32 v185, v131
	v_mul_hi_u32 v6, s36, v4
	v_mul_hi_u32 v9, s36, v7
	v_cmp_gt_i32_e32 vcc_lo, 32, v195
	v_add_nc_u32_e32 v2, s6, v197
	v_add_co_u32 v182, s0, s12, v225
	v_dual_mov_b32 v184, v131 :: v_dual_add_nc_u32 v3, v0, v3
	s_delay_alu instid0(VALU_DEP_3)
	v_mul_hi_u32 v5, s36, v2
	v_add_nc_u32_e32 v6, v4, v6
	s_wait_alu 0xf1ff
	v_add_co_ci_u32_e64 v227, null, s13, 0, s0
	v_lshrrev_b32_e32 v3, s37, v3
	s_movk_i32 s0, 0x240
	v_lshrrev_b32_e32 v6, s37, v6
	v_dual_mov_b32 v192, 0xfeffffff :: v_dual_add_nc_u32 v5, v2, v5
	s_delay_alu instid0(VALU_DEP_3) | instskip(SKIP_1) | instid1(VALU_DEP_4)
	v_mul_lo_u32 v3, v3, s24
	v_add_nc_u32_e32 v8, s6, v181
	v_mul_lo_u32 v6, v6, s24
	s_wait_alu 0xfffe
	v_mad_u32_u24 v10, 0x90, v140, s0
	v_lshrrev_b32_e32 v5, s37, v5
	s_movk_i32 s1, 0x480
	s_movk_i32 s0, 0x6c0
	v_dual_mov_b32 v17, v131 :: v_dual_lshlrev_b32 v208, 4, v140
	s_delay_alu instid0(VALU_DEP_2)
	v_mul_lo_u32 v5, v5, s24
	v_sub_nc_u32_e32 v0, v0, v3
	v_add_nc_u32_e32 v3, v7, v9
	v_sub_nc_u32_e32 v4, v4, v6
	s_wait_alu 0xfffe
	v_mad_u32_u24 v6, 0x90, v140, s1
	scratch_store_b32 off, v10, off offset:28 ; 4-byte Folded Spill
	v_mul_hi_u32 v10, s36, v8
	v_lshrrev_b32_e32 v3, s37, v3
	v_sub_nc_u32_e32 v2, v2, v5
	v_mad_co_i64_i32 v[152:153], null, v0, s38, 0
	v_add_nc_u32_e32 v0, s6, v191
	s_delay_alu instid0(VALU_DEP_4) | instskip(NEXT) | instid1(VALU_DEP_4)
	v_mul_lo_u32 v3, v3, s24
	v_mad_co_i64_i32 v[150:151], null, v2, s38, 0
	v_add_nc_u32_e32 v2, v8, v10
	v_add_nc_u32_e32 v5, s6, v188
	v_mad_co_i64_i32 v[154:155], null, v4, s38, 0
	s_movk_i32 s2, 0xf00
	v_lshrrev_b32_e32 v2, s37, v2
	v_sub_nc_u32_e32 v3, v7, v3
	v_mad_u32_u24 v7, 0x90, v140, s0
	scratch_store_b32 off, v6, off offset:40 ; 4-byte Folded Spill
	v_mul_hi_u32 v6, s36, v0
	v_mul_lo_u32 v2, v2, s24
	v_mul_hi_u32 v9, s36, v5
	s_movk_i32 s0, 0x900
	v_mov_b32_e32 v15, v131
	v_mad_co_i64_i32 v[156:157], null, v3, s38, 0
	v_mul_lo_u32 v142, s26, v173
	v_add_nc_u32_e32 v4, v0, v6
	v_add_nc_u32_e32 v6, s6, v187
	v_sub_nc_u32_e32 v2, v8, v2
	s_wait_alu 0xfffe
	v_mad_u32_u24 v8, 0x90, v140, s0
	scratch_store_b32 off, v7, off offset:60 ; 4-byte Folded Spill
	v_add_nc_u32_e32 v9, v5, v9
	v_mul_hi_u32 v7, s36, v6
	v_lshrrev_b32_e32 v4, s37, v4
	v_mad_co_i64_i32 v[160:161], null, v2, s38, 0
	s_delay_alu instid0(VALU_DEP_4) | instskip(SKIP_1) | instid1(VALU_DEP_3)
	v_lshrrev_b32_e32 v9, s37, v9
	s_movk_i32 s0, 0xb40
	v_mul_lo_u32 v3, v4, s24
	s_wait_alu 0xfffe
	v_mad_u32_u24 v215, 0x90, v140, s0
	v_add_nc_u32_e32 v7, v6, v7
	v_mul_lo_u32 v4, v9, s24
	s_movk_i32 s0, 0xd80
	v_mul_lo_u32 v115, s34, v173
	s_lshl_b32 s1, s26, 4
	v_lshrrev_b32_e32 v2, s37, v7
	v_sub_nc_u32_e32 v0, v0, v3
	v_mov_b32_e32 v18, v131
	s_wait_alu 0xfffe
	v_add_nc_u32_e32 v144, s1, v142
	v_sub_nc_u32_e32 v3, v5, v4
	v_mul_lo_u32 v2, v2, s24
	v_mad_co_i64_i32 v[162:163], null, v0, s38, 0
	v_mad_u32_u24 v0, 0x90, v140, s0
	s_movk_i32 s0, 0xfc0
	scratch_store_b32 off, v8, off offset:88 ; 4-byte Folded Spill
	v_mad_co_i64_i32 v[158:159], null, v3, s38, 0
	v_sub_nc_u32_e32 v2, v6, v2
	v_lshlrev_b32_e32 v3, 2, v141
	s_wait_alu 0xfffe
	v_mad_u32_u24 v4, 0x90, v140, s0
	scratch_store_b32 off, v0, off offset:104 ; 4-byte Folded Spill
	v_lshrrev_b32_e32 v0, 1, v141
	v_lshl_add_u32 v5, v140, 3, v1
	v_mad_co_i64_i32 v[164:165], null, v2, s38, 0
	v_dual_mov_b32 v21, v131 :: v_dual_and_b32 v2, 4, v3
	s_delay_alu instid0(VALU_DEP_3) | instskip(SKIP_4) | instid1(VALU_DEP_2)
	v_mul_u32_u24_e32 v10, 0xf0, v5
	scratch_store_b32 off, v4, off offset:108 ; 4-byte Folded Spill
	v_dual_mov_b32 v19, v131 :: v_dual_add_nc_u32 v4, v0, v208
	s_movk_i32 s0, 0x1e00
	v_dual_mov_b32 v23, v131 :: v_dual_and_b32 v6, 12, v3
	v_mad_u32_u24 v7, 0xf0, v4, 0
	v_dual_mov_b32 v25, v131 :: v_dual_lshlrev_b32 v8, 2, v2
	v_and_b32_e32 v183, 28, v3
	s_wait_alu 0xfffe
	v_mad_u32_u24 v3, 0xf0, v5, s0
	scratch_store_b32 off, v10, off offset:112 ; 4-byte Folded Spill
	v_add3_u32 v228, v7, v8, 0xc0
	v_mul_u32_u24_e32 v8, 0xf0, v173
	v_dual_mov_b32 v14, v131 :: v_dual_lshlrev_b32 v9, 2, v6
	scratch_store_b32 off, v3, off offset:120 ; 4-byte Folded Spill
	v_dual_mov_b32 v20, v131 :: v_dual_lshlrev_b32 v3, 2, v183
	v_add3_u32 v7, 0, v10, v9
	v_and_b32_e32 v0, 0x1f8, v0
	v_or_b32_e32 v10, 3, v1
	s_delay_alu instid0(VALU_DEP_4)
	v_add3_u32 v231, 0, v8, v3
	v_mad_u32_u24 v3, 0xf0, v173, s2
	v_dual_mov_b32 v16, v131 :: v_dual_add_nc_u32 v229, 0x80, v7
	v_dual_mov_b32 v27, v131 :: v_dual_add_nc_u32 v230, 0x1e80, v7
	scratch_store_b32 off, v3, off offset:124 ; 4-byte Folded Spill
	v_mad_u32_u24 v3, 0xf0, v173, s0
	s_movk_i32 s0, 0x2d00
	v_add_nc_u32_e32 v8, 18, v0
	s_wait_alu 0xfffe
	v_mad_u32_u24 v7, 0xf0, v173, s0
	v_dual_mov_b32 v26, v131 :: v_dual_add_nc_u32 v9, 20, v0
	scratch_store_b32 off, v3, off offset:128 ; 4-byte Folded Spill
	v_and_or_b32 v3, v141, 14, v208
	s_clause 0x1
	scratch_store_b32 off, v7, off offset:132
	scratch_store_b32 off, v10, off offset:76
	v_lshrrev_b32_e32 v8, 1, v8
	v_mov_b32_e32 v24, v131
	v_lshrrev_b32_e32 v3, 1, v3
	v_mul_u32_u24_e32 v11, 0xf0, v4
	v_add_nc_u32_e32 v12, 36, v0
	scratch_store_b32 off, v8, off offset:80 ; 4-byte Folded Spill
	v_lshrrev_b32_e32 v8, 1, v9
	v_mad_u32_u24 v7, 0x90, v3, 0
	v_mul_u32_u24_e32 v3, 0x90, v3
	v_or_b32_e32 v130, 48, v2
	v_add_nc_u32_e32 v13, 50, v0
	scratch_store_b32 off, v8, off offset:84 ; 4-byte Folded Spill
	v_lshl_add_u32 v237, v10, 2, v7
	scratch_store_b32 off, v3, off offset:92 ; 4-byte Folded Spill
	v_lshrrev_b32_e32 v3, 1, v0
	v_add_nc_u32_e32 v8, 22, v0
	v_lshlrev_b32_e32 v242, 2, v2
	v_lshl_add_u32 v236, v0, 1, v7
	v_mul_lo_u32 v134, s26, v5
	scratch_store_b32 off, v3, off offset:96 ; 4-byte Folded Spill
	v_add_nc_u32_e32 v3, 16, v0
	v_lshrrev_b32_e32 v8, 1, v8
	v_mov_b32_e32 v2, v131
	v_mul_lo_u32 v117, s34, v5
	s_wait_alu 0xfffd
	v_cndmask_b32_e32 v5, v194, v195, vcc_lo
	v_lshrrev_b32_e32 v10, 1, v3
	scratch_store_b32 off, v8, off offset:100 ; 4-byte Folded Spill
	s_lshl_b32 s0, s34, 4
	scratch_store_b32 off, v176, off        ; 4-byte Folded Spill
	v_lshlrev_b32_e32 v238, 2, v5
	scratch_store_b32 off, v10, off offset:72 ; 4-byte Folded Spill
	v_add_nc_u32_e32 v10, 32, v0
	s_wait_alu 0xfffe
	v_add_nc_u32_e32 v121, s0, v115
	v_mul_lo_u32 v132, s26, v4
	v_mul_lo_u32 v119, s34, v4
	v_lshl_add_u32 v136, s26, 5, v134
	v_lshrrev_b32_e32 v8, 1, v10
	scratch_store_b32 off, v11, off offset:116 ; 4-byte Folded Spill
	v_add_nc_u32_e32 v11, 34, v0
	v_add_nc_u32_e32 v126, s0, v121
	v_lshl_add_u32 v3, v3, 1, v7
	scratch_store_b32 off, v8, off offset:56 ; 4-byte Folded Spill
	v_lshl_add_u32 v8, v10, 1, v7
	v_lshrrev_b32_e32 v10, 1, v11
	v_add_nc_u32_e32 v11, 48, v0
	v_lshl_add_u32 v9, v9, 1, v7
	v_lshl_add_u32 v124, s34, 5, v117
	v_add_nc_u32_e32 v128, s0, v126
	scratch_store_b32 off, v10, off offset:44 ; 4-byte Folded Spill
	v_lshrrev_b32_e32 v10, 1, v12
	v_lshl_add_u32 v12, v12, 1, v7
	v_dual_mov_b32 v214, v131 :: v_dual_add_nc_u32 v123, 0, v225
	v_mul_u32_u24_e32 v193, 0x90, v140
	scratch_store_b32 off, v10, off offset:48 ; 4-byte Folded Spill
	v_add_nc_u32_e32 v10, 38, v0
	v_ashrrev_i32_e32 v133, 31, v132
	v_ashrrev_i32_e32 v135, 31, v134
	v_or_b32_e32 v213, 32, v6
	v_ashrrev_i32_e32 v137, 31, v136
	v_lshrrev_b32_e32 v10, 1, v10
	v_ashrrev_i32_e32 v143, 31, v142
	v_add_nc_u32_e32 v232, 0xf00, v231
	v_dual_mov_b32 v22, v131 :: v_dual_add_nc_u32 v233, 0x1e00, v231
	scratch_store_b32 off, v10, off offset:52 ; 4-byte Folded Spill
	v_lshrrev_b32_e32 v10, 1, v11
	v_add_nc_u32_e32 v234, 0x2d00, v231
	v_add3_u32 v235, 0, v82, v180
	v_ashrrev_i32_e32 v120, 31, v119
	v_ashrrev_i32_e32 v118, 31, v117
	scratch_store_b32 off, v10, off offset:32 ; 4-byte Folded Spill
	v_lshl_add_u32 v10, v11, 1, v7
	v_lshrrev_b32_e32 v11, 1, v13
	v_ashrrev_i32_e32 v125, 31, v124
	v_ashrrev_i32_e32 v116, 31, v115
	;; [unrolled: 1-line block ×4, first 2 shown]
	scratch_store_b32 off, v11, off offset:36 ; 4-byte Folded Spill
	v_add_nc_u32_e32 v11, 52, v0
	v_add_nc_u32_e32 v0, 54, v0
	v_ashrrev_i32_e32 v129, 31, v128
	v_lshlrev_b32_e32 v243, 2, v6
	v_lshlrev_b32_e32 v244, 2, v183
	v_lshrrev_b32_e32 v4, 1, v11
	v_lshrrev_b32_e32 v0, 1, v0
	v_add_nc_u32_e32 v245, 0x3c00, v3
	v_add_nc_u32_e32 v246, 0x3c00, v9
	;; [unrolled: 1-line block ×4, first 2 shown]
	scratch_store_b32 off, v0, off offset:68 ; 4-byte Folded Spill
	v_lshlrev_b32_e32 v0, 1, v1
	v_dual_mov_b32 v6, v131 :: v_dual_add_nc_u32 v249, 0x3c00, v10
	v_dual_mov_b32 v8, v131 :: v_dual_mov_b32 v9, v131
	s_delay_alu instid0(VALU_DEP_3)
	v_and_b32_e32 v1, 0x1f8, v0
	v_or_b32_e32 v5, 6, v0
	v_or_b32_e32 v0, 7, v0
	v_mov_b32_e32 v10, v131
	v_mov_b32_e32 v12, v131
	v_mul_u32_u24_e32 v1, 0xf0, v1
	scratch_store_b32 off, v180, off offset:8 ; 4-byte Folded Spill
	v_mul_u32_u24_e32 v5, 0xf0, v5
	v_mul_u32_u24_e32 v0, 0xf0, v0
	v_mov_b32_e32 v13, v131
	scratch_store_b32 off, v1, off offset:16 ; 4-byte Folded Spill
	v_add3_u32 v239, 0, v1, v189
	v_dual_mov_b32 v1, v131 :: v_dual_add_nc_u32 v146, s1, v144
	s_clause 0x2
	scratch_store_b32 off, v5, off offset:20
	scratch_store_b32 off, v4, off offset:64
	scratch_store_b32 off, v0, off offset:24
	v_lshl_add_u32 v4, v11, 1, v7
	v_add_nc_u32_e32 v148, s1, v146
	v_ashrrev_i32_e32 v145, 31, v144
	v_ashrrev_i32_e32 v147, 31, v146
	v_add3_u32 v240, 0, v5, v189
	v_add3_u32 v241, 0, v0, v189
	v_ashrrev_i32_e32 v149, 31, v148
	v_add_nc_u32_e32 v250, 0x3c00, v4
	v_dual_mov_b32 v4, v131 :: v_dual_mov_b32 v5, v131
	v_mov_b32_e32 v7, v131
	v_dual_mov_b32 v11, v131 :: v_dual_mov_b32 v0, v131
	v_mov_b32_e32 v3, v131
	s_ashr_i32 s27, s26, 31
	s_ashr_i32 s35, s34, 31
	s_lshl_b32 s14, s94, 6
.LBB19_653:                             ; =>This Inner Loop Header: Depth=1
	s_delay_alu instid0(SALU_CYCLE_1)
	s_ashr_i32 s15, s14, 31
	v_lshlrev_b64_e32 v[56:57], 1, v[152:153]
	s_lshl_b64 s[0:1], s[14:15], 1
	v_lshlrev_b64_e32 v[58:59], 1, v[150:151]
	s_wait_alu 0xfffe
	v_add_co_u32 v72, vcc_lo, v182, s0
	s_wait_alu 0xfffd
	v_add_co_ci_u32_e64 v73, null, s1, v227, vcc_lo
	v_lshlrev_b64_e32 v[60:61], 1, v[154:155]
	s_delay_alu instid0(VALU_DEP_3)
	v_add_co_u32 v56, vcc_lo, v72, v56
	v_lshlrev_b64_e32 v[62:63], 1, v[156:157]
	s_wait_alu 0xfffd
	v_add_co_ci_u32_e64 v57, null, v73, v57, vcc_lo
	v_add_co_u32 v58, vcc_lo, v72, v58
	v_lshlrev_b64_e32 v[64:65], 1, v[160:161]
	s_wait_alu 0xfffd
	v_add_co_ci_u32_e64 v59, null, v73, v59, vcc_lo
	;; [unrolled: 4-line block ×5, first 2 shown]
	v_add_co_u32 v66, vcc_lo, v72, v66
	s_wait_alu 0xfffd
	v_add_co_ci_u32_e64 v67, null, v73, v67, vcc_lo
	v_add_co_u32 v68, vcc_lo, v72, v68
	s_wait_alu 0xfffd
	v_add_co_ci_u32_e64 v69, null, v73, v69, vcc_lo
	;; [unrolled: 3-line block ×3, first 2 shown]
	s_clause 0x6
	global_load_b32 v56, v[56:57], off
	global_load_b32 v57, v[58:59], off
	;; [unrolled: 1-line block ×7, first 2 shown]
	v_add_nc_u32_e32 v63, v123, v193
	s_mul_u64 s[0:1], s[14:15], s[26:27]
	s_add_co_i32 s94, s94, 1
	s_wait_alu 0xfffe
	s_lshl_b64 s[0:1], s[0:1], 2
	v_add_nc_u32_e32 v64, 0x3c00, v63
	s_wait_alu 0xfffe
	s_add_nc_u64 s[0:1], s[10:11], s[0:1]
	s_wait_loadcnt 0x5
	ds_store_2addr_b32 v64, v56, v57 offset1:144
	v_add_nc_u32_e32 v56, 0x4000, v63
	v_add_nc_u32_e32 v57, v123, v215
	s_wait_loadcnt 0x3
	ds_store_2addr_b32 v56, v58, v59 offset0:32 offset1:176
	global_load_b32 v56, v[66:67], off
	v_add_nc_u32_e32 v58, 0x3c00, v57
	s_wait_loadcnt 0x0
	ds_store_2addr_b32 v58, v56, v60 offset1:144
	ds_store_b32 v63, v62 offset:17664
	ds_store_b32 v57, v61 offset:16512
	v_lshlrev_b64_e32 v[56:57], 2, v[132:133]
	s_wait_alu 0xfffe
	s_delay_alu instid0(VALU_DEP_1) | instskip(SKIP_1) | instid1(VALU_DEP_2)
	v_add_co_u32 v58, vcc_lo, s0, v56
	s_wait_alu 0xfffd
	v_add_co_ci_u32_e64 v59, null, s1, v57, vcc_lo
	v_lshlrev_b64_e32 v[56:57], 2, v[134:135]
	s_delay_alu instid0(VALU_DEP_1) | instskip(SKIP_1) | instid1(VALU_DEP_2)
	v_add_co_u32 v60, vcc_lo, s0, v56
	s_wait_alu 0xfffd
	v_add_co_ci_u32_e64 v61, null, s1, v57, vcc_lo
	v_add_co_u32 v56, vcc_lo, v58, v242
	s_wait_alu 0xfffd
	v_add_co_ci_u32_e64 v57, null, 0, v59, vcc_lo
	;; [unrolled: 3-line block ×3, first 2 shown]
	s_clause 0x1
	global_load_b128 v[56:59], v[56:57], off offset:192
	global_load_b128 v[60:63], v[60:61], off offset:128
	s_wait_loadcnt 0x1
	ds_store_b128 v228, v[56:59]
	v_lshlrev_b64_e32 v[56:57], 2, v[136:137]
	s_delay_alu instid0(VALU_DEP_1) | instskip(SKIP_1) | instid1(VALU_DEP_2)
	v_add_co_u32 v58, vcc_lo, s0, v56
	s_wait_alu 0xfffd
	v_add_co_ci_u32_e64 v59, null, s1, v57, vcc_lo
	v_lshlrev_b64_e32 v[56:57], 2, v[142:143]
	s_delay_alu instid0(VALU_DEP_1) | instskip(SKIP_1) | instid1(VALU_DEP_2)
	v_add_co_u32 v64, vcc_lo, s0, v56
	s_wait_alu 0xfffd
	v_add_co_ci_u32_e64 v65, null, s1, v57, vcc_lo
	v_add_co_u32 v56, vcc_lo, v58, v243
	s_wait_alu 0xfffd
	v_add_co_ci_u32_e64 v57, null, 0, v59, vcc_lo
	;; [unrolled: 3-line block ×3, first 2 shown]
	s_clause 0x1
	global_load_b128 v[56:59], v[56:57], off offset:128
	global_load_b128 v[64:67], v[64:65], off
	s_wait_loadcnt 0x2
	ds_store_b128 v229, v[60:63]
	s_wait_loadcnt 0x1
	ds_store_b128 v230, v[56:59]
	v_lshlrev_b64_e32 v[56:57], 2, v[144:145]
	s_delay_alu instid0(VALU_DEP_1) | instskip(SKIP_1) | instid1(VALU_DEP_2)
	v_add_co_u32 v58, vcc_lo, s0, v56
	s_wait_alu 0xfffd
	v_add_co_ci_u32_e64 v59, null, s1, v57, vcc_lo
	v_lshlrev_b64_e32 v[56:57], 2, v[146:147]
	s_delay_alu instid0(VALU_DEP_1) | instskip(SKIP_1) | instid1(VALU_DEP_2)
	v_add_co_u32 v60, vcc_lo, s0, v56
	s_wait_alu 0xfffd
	v_add_co_ci_u32_e64 v61, null, s1, v57, vcc_lo
	v_add_co_u32 v56, vcc_lo, v58, v244
	s_wait_alu 0xfffd
	v_add_co_ci_u32_e64 v57, null, 0, v59, vcc_lo
	;; [unrolled: 3-line block ×3, first 2 shown]
	s_clause 0x1
	global_load_b128 v[56:59], v[56:57], off
	global_load_b128 v[60:63], v[60:61], off
	s_wait_loadcnt 0x2
	ds_store_b128 v231, v[64:67]
	s_wait_loadcnt 0x1
	ds_store_b128 v232, v[56:59]
	v_lshlrev_b64_e32 v[56:57], 2, v[148:149]
	s_delay_alu instid0(VALU_DEP_1) | instskip(SKIP_1) | instid1(VALU_DEP_2)
	v_add_co_u32 v56, vcc_lo, s0, v56
	s_wait_alu 0xfffd
	v_add_co_ci_u32_e64 v57, null, s1, v57, vcc_lo
	s_mul_u64 s[0:1], s[14:15], s[34:35]
	v_add_co_u32 v56, vcc_lo, v56, v244
	s_wait_alu 0xfffd
	v_add_co_ci_u32_e64 v57, null, 0, v57, vcc_lo
	s_wait_alu 0xfffe
	s_lshl_b64 s[0:1], s[0:1], 2
	s_add_co_i32 s14, s14, 64
	s_wait_alu 0xfffe
	s_add_nc_u64 s[0:1], s[8:9], s[0:1]
	global_load_b128 v[56:59], v[56:57], off
	s_wait_loadcnt 0x1
	ds_store_b128 v233, v[60:63]
	s_wait_loadcnt 0x0
	ds_store_b128 v234, v[56:59]
	s_wait_storecnt_dscnt 0x0
	s_barrier_signal -1
	s_barrier_wait -1
	global_inv scope:SCOPE_SE
	ds_load_b128 v[67:70], v235
	ds_load_b128 v[71:74], v235 offset:32
	s_wait_dscnt 0x1
	v_wmma_f32_16x16x16_f16 v[59:66], v[67:70], v[52:55], 0
	s_wait_dscnt 0x0
	s_delay_alu instid0(VALU_DEP_1)
	v_wmma_f32_16x16x16_f16 v[59:66], v[71:74], v[48:51], v[59:66]
	ds_load_b128 v[67:70], v235 offset:64
	ds_load_b128 v[71:74], v235 offset:96
	s_wait_dscnt 0x1
	v_wmma_f32_16x16x16_f16 v[59:66], v[67:70], v[44:47], v[59:66]
	s_wait_dscnt 0x0
	s_delay_alu instid0(VALU_DEP_1)
	v_wmma_f32_16x16x16_f16 v[59:66], v[71:74], v[40:43], v[59:66]
	ds_load_b128 v[67:70], v235 offset:128
	;; [unrolled: 7-line block ×3, first 2 shown]
	ds_load_b128 v[73:76], v235 offset:3840
	ds_load_b128 v[77:80], v235 offset:3872
	;; [unrolled: 1-line block ×21, first 2 shown]
	s_wait_loadcnt_dscnt 0x0
	s_barrier_signal -1
	s_barrier_wait -1
	global_inv scope:SCOPE_SE
	v_wmma_f32_16x16x16_f16 v[59:66], v[67:70], v[28:31], v[59:66]
	v_add_nc_u32_e32 v56, 0x3c00, v236
	ds_load_2addr_b32 v[56:57], v56 offset1:1
	ds_load_2addr_b32 v[113:114], v245 offset1:1
	ds_load_b32 v58, v237 offset:15360
	ds_load_b32 v69, v236 offset:15368
	s_wait_dscnt 0x3
	v_cvt_f32_f16_e32 v67, v56
	v_lshrrev_b32_e32 v56, 16, v56
	v_cvt_f32_f16_e32 v68, v57
	v_lshrrev_b32_e32 v57, 16, v57
	s_wait_dscnt 0x0
	v_cvt_f32_f16_e32 v70, v69
	v_lshrrev_b32_e32 v69, 16, v69
	v_lshrrev_b32_e32 v71, 16, v58
	v_cvt_f32_f16_e32 v58, v58
	v_cvt_f32_f16_e32 v72, v56
	v_cvt_f32_f16_e64 v179, v57
	v_cvt_f32_f16_e32 v69, v69
	v_cvt_f32_f16_e32 v71, v71
	v_add_f32_e32 v57, v61, v68
	s_delay_alu instid0(VALU_DEP_4) | instskip(NEXT) | instid1(VALU_DEP_4)
	v_dual_add_f32 v60, v60, v72 :: v_dual_add_f32 v61, v62, v179
	v_dual_add_f32 v63, v63, v70 :: v_dual_add_f32 v62, v64, v69
	v_cvt_f32_f16_e32 v64, v113
	v_dual_add_f32 v56, v59, v67 :: v_dual_add_f32 v59, v65, v58
	v_add_f32_e32 v58, v66, v71
	v_wmma_f32_16x16x16_f16 v[65:72], v[73:76], v[52:55], 0
	s_delay_alu instid0(VALU_DEP_1) | instskip(SKIP_3) | instid1(VALU_DEP_4)
	v_wmma_f32_16x16x16_f16 v[65:72], v[77:80], v[48:51], v[65:72]
	v_lshrrev_b32_e32 v77, 16, v113
	v_lshrrev_b32_e32 v79, 16, v114
	v_cvt_f32_f16_e32 v78, v114
	v_wmma_f32_16x16x16_f16 v[65:72], v[81:84], v[44:47], v[65:72]
	s_delay_alu instid0(VALU_DEP_1) | instskip(NEXT) | instid1(VALU_DEP_1)
	v_wmma_f32_16x16x16_f16 v[65:72], v[85:88], v[40:43], v[65:72]
	v_wmma_f32_16x16x16_f16 v[65:72], v[89:92], v[36:39], v[65:72]
	s_delay_alu instid0(VALU_DEP_1)
	v_wmma_f32_16x16x16_f16 v[65:72], v[93:96], v[32:35], v[65:72]
	ds_load_2addr_b32 v[73:74], v246 offset1:1
	ds_load_2addr_b32 v[75:76], v247 offset1:1
	ds_load_2addr_b32 v[90:91], v248 offset1:1
	ds_load_2addr_b32 v[95:96], v249 offset1:1
	v_wmma_f32_16x16x16_f16 v[65:72], v[97:100], v[28:31], v[65:72]
	s_delay_alu instid0(VALU_DEP_1)
	v_add_f32_e32 v65, v65, v64
	s_wait_dscnt 0x3
	v_lshrrev_b32_e32 v81, 16, v74
	v_cvt_f32_f16_e32 v80, v73
	v_lshrrev_b32_e32 v73, 16, v73
	v_cvt_f32_f16_e32 v82, v74
	v_cvt_f32_f16_e32 v74, v77
	;; [unrolled: 1-line block ×5, first 2 shown]
	v_add_f32_e32 v73, v67, v78
	v_dual_add_f32 v66, v66, v74 :: v_dual_add_f32 v81, v69, v80
	v_add_f32_e32 v78, v71, v82
	s_wait_dscnt 0x2
	v_cvt_f32_f16_e32 v64, v75
	v_add_f32_e32 v74, v68, v77
	v_add_f32_e32 v77, v72, v83
	v_wmma_f32_16x16x16_f16 v[82:89], v[101:104], v[52:55], 0
	v_lshrrev_b32_e32 v69, 16, v76
	v_lshrrev_b32_e32 v67, 16, v75
	s_wait_dscnt 0x1
	v_lshrrev_b32_e32 v71, 16, v90
	v_wmma_f32_16x16x16_f16 v[82:89], v[105:108], v[48:51], v[82:89]
	v_lshrrev_b32_e32 v72, 16, v91
	v_cvt_f32_f16_e32 v69, v69
	v_cvt_f32_f16_e32 v68, v76
	;; [unrolled: 1-line block ×3, first 2 shown]
	v_wmma_f32_16x16x16_f16 v[82:89], v[109:112], v[44:47], v[82:89]
	v_cvt_f32_f16_e32 v67, v67
	v_cvt_f32_f16_e32 v71, v71
	;; [unrolled: 1-line block ×3, first 2 shown]
	s_delay_alu instid0(VALU_DEP_4) | instskip(NEXT) | instid1(VALU_DEP_1)
	v_wmma_f32_16x16x16_f16 v[82:89], v[175:178], v[40:43], v[82:89]
	v_wmma_f32_16x16x16_f16 v[82:89], v[196:199], v[36:39], v[82:89]
	s_delay_alu instid0(VALU_DEP_1) | instskip(NEXT) | instid1(VALU_DEP_1)
	v_wmma_f32_16x16x16_f16 v[82:89], v[251:254], v[32:35], v[82:89]
	v_wmma_f32_16x16x16_f16 v[82:89], v[200:203], v[28:31], v[82:89]
	v_add_f32_e32 v80, v70, v79
	v_cvt_f32_f16_e32 v70, v90
	s_delay_alu instid0(VALU_DEP_3)
	v_dual_add_f32 v98, v85, v69 :: v_dual_add_f32 v179, v87, v71
	s_wait_dscnt 0x0
	v_lshrrev_b32_e32 v69, 16, v95
	v_dual_add_f32 v93, v82, v64 :: v_dual_add_f32 v94, v83, v67
	v_dual_add_f32 v97, v84, v68 :: v_dual_add_f32 v180, v86, v70
	v_add_f32_e32 v177, v88, v75
	s_delay_alu instid0(VALU_DEP_4)
	v_cvt_f32_f16_e32 v69, v69
	v_add_f32_e32 v110, v89, v72
	v_wmma_f32_16x16x16_f16 v[82:89], v[204:207], v[52:55], 0
	ds_load_2addr_b32 v[67:68], v250 offset1:1
	v_cvt_f32_f16_e32 v64, v95
	v_lshrrev_b32_e32 v71, 16, v96
	v_wmma_f32_16x16x16_f16 v[82:89], v[209:212], v[48:51], v[82:89]
	v_cvt_f32_f16_e32 v70, v96
	s_delay_alu instid0(VALU_DEP_3) | instskip(NEXT) | instid1(VALU_DEP_3)
	v_cvt_f32_f16_e32 v71, v71
	v_wmma_f32_16x16x16_f16 v[82:89], v[187:190], v[44:47], v[82:89]
	s_delay_alu instid0(VALU_DEP_1) | instskip(NEXT) | instid1(VALU_DEP_1)
	v_wmma_f32_16x16x16_f16 v[82:89], v[221:224], v[40:43], v[82:89]
	v_wmma_f32_16x16x16_f16 v[82:89], v[216:219], v[36:39], v[82:89]
	s_wait_dscnt 0x0
	v_cvt_f32_f16_e32 v72, v67
	v_lshrrev_b32_e32 v67, 16, v67
	v_lshrrev_b32_e32 v75, 16, v68
	v_wmma_f32_16x16x16_f16 v[82:89], v[138:141], v[32:35], v[82:89]
	v_cvt_f32_f16_e32 v68, v68
	s_delay_alu instid0(VALU_DEP_4) | instskip(NEXT) | instid1(VALU_DEP_4)
	v_cvt_f32_f16_e32 v67, v67
	v_cvt_f32_f16_e32 v75, v75
	s_delay_alu instid0(VALU_DEP_4) | instskip(NEXT) | instid1(VALU_DEP_1)
	v_wmma_f32_16x16x16_f16 v[82:89], v[169:172], v[28:31], v[82:89]
	v_add_f32_e32 v172, v87, v67
	s_delay_alu instid0(VALU_DEP_2) | instskip(SKIP_1) | instid1(VALU_DEP_4)
	v_add_f32_e32 v178, v88, v68
	v_lshlrev_b64_e32 v[67:68], 2, v[119:120]
	v_dual_add_f32 v108, v82, v64 :: v_dual_add_f32 v253, v85, v71
	v_dual_add_f32 v251, v83, v69 :: v_dual_add_f32 v252, v84, v70
	v_add_f32_e32 v175, v86, v72
	s_wait_alu 0xfffe
	s_delay_alu instid0(VALU_DEP_4) | instskip(SKIP_4) | instid1(VALU_DEP_2)
	v_add_co_u32 v64, vcc_lo, s0, v67
	s_wait_alu 0xfffd
	v_add_co_ci_u32_e64 v67, null, s1, v68, vcc_lo
	v_lshlrev_b64_e32 v[68:69], 2, v[117:118]
	v_add_f32_e32 v254, v89, v75
	v_add_co_u32 v70, vcc_lo, s0, v68
	s_wait_alu 0xfffd
	s_delay_alu instid0(VALU_DEP_3)
	v_add_co_ci_u32_e64 v72, null, s1, v69, vcc_lo
	v_add_co_u32 v68, vcc_lo, v64, v242
	s_wait_alu 0xfffd
	v_add_co_ci_u32_e64 v69, null, 0, v67, vcc_lo
	v_add_co_u32 v71, vcc_lo, v70, v243
	s_wait_alu 0xfffd
	v_add_co_ci_u32_e64 v72, null, 0, v72, vcc_lo
	s_clause 0x1
	global_load_b128 v[67:70], v[68:69], off offset:192
	global_load_b128 v[82:85], v[71:72], off offset:128
	s_wait_loadcnt 0x1
	ds_store_b128 v228, v[67:70]
	v_lshlrev_b64_e32 v[67:68], 2, v[124:125]
	s_delay_alu instid0(VALU_DEP_1) | instskip(SKIP_1) | instid1(VALU_DEP_2)
	v_add_co_u32 v64, vcc_lo, s0, v67
	s_wait_alu 0xfffd
	v_add_co_ci_u32_e64 v69, null, s1, v68, vcc_lo
	v_lshlrev_b64_e32 v[67:68], 2, v[115:116]
	s_delay_alu instid0(VALU_DEP_1) | instskip(SKIP_1) | instid1(VALU_DEP_2)
	v_add_co_u32 v70, vcc_lo, s0, v67
	s_wait_alu 0xfffd
	v_add_co_ci_u32_e64 v72, null, s1, v68, vcc_lo
	v_add_co_u32 v67, vcc_lo, v64, v243
	s_wait_alu 0xfffd
	v_add_co_ci_u32_e64 v68, null, 0, v69, vcc_lo
	;; [unrolled: 3-line block ×3, first 2 shown]
	s_clause 0x1
	global_load_b128 v[67:70], v[67:68], off offset:128
	global_load_b128 v[86:89], v[71:72], off
	s_wait_loadcnt 0x2
	ds_store_b128 v229, v[82:85]
	s_wait_loadcnt 0x1
	ds_store_b128 v230, v[67:70]
	v_lshlrev_b64_e32 v[67:68], 2, v[121:122]
	s_delay_alu instid0(VALU_DEP_1) | instskip(SKIP_1) | instid1(VALU_DEP_2)
	v_add_co_u32 v64, vcc_lo, s0, v67
	s_wait_alu 0xfffd
	v_add_co_ci_u32_e64 v69, null, s1, v68, vcc_lo
	v_lshlrev_b64_e32 v[67:68], 2, v[126:127]
	s_delay_alu instid0(VALU_DEP_1) | instskip(SKIP_1) | instid1(VALU_DEP_2)
	v_add_co_u32 v70, vcc_lo, s0, v67
	s_wait_alu 0xfffd
	v_add_co_ci_u32_e64 v72, null, s1, v68, vcc_lo
	v_add_co_u32 v67, vcc_lo, v64, v244
	s_wait_alu 0xfffd
	v_add_co_ci_u32_e64 v68, null, 0, v69, vcc_lo
	;; [unrolled: 3-line block ×3, first 2 shown]
	s_clause 0x1
	global_load_b128 v[67:70], v[67:68], off
	global_load_b128 v[82:85], v[71:72], off
	s_wait_loadcnt 0x2
	ds_store_b128 v231, v[86:89]
	s_wait_loadcnt 0x1
	ds_store_b128 v232, v[67:70]
	v_lshlrev_b64_e32 v[67:68], 2, v[128:129]
	s_delay_alu instid0(VALU_DEP_1) | instskip(SKIP_1) | instid1(VALU_DEP_2)
	v_add_co_u32 v64, vcc_lo, s0, v67
	s_wait_alu 0xfffd
	v_add_co_ci_u32_e64 v68, null, s1, v68, vcc_lo
	s_delay_alu instid0(VALU_DEP_2) | instskip(SKIP_1) | instid1(VALU_DEP_2)
	v_add_co_u32 v67, vcc_lo, v64, v244
	s_wait_alu 0xfffd
	v_add_co_ci_u32_e64 v68, null, 0, v68, vcc_lo
	v_mov_b32_e32 v64, v192
	global_load_b128 v[67:70], v[67:68], off
	s_wait_loadcnt 0x1
	ds_store_b128 v233, v[82:85]
	s_wait_loadcnt 0x0
	ds_store_b128 v234, v[67:70]
	v_add_f32_e32 v67, 0x40051340, v56
	v_dual_add_f32 v68, 0x40051340, v60 :: v_dual_add_f32 v69, 0x40051340, v61
	s_wait_dscnt 0x0
	s_barrier_signal -1
	s_barrier_wait -1
	s_delay_alu instid0(VALU_DEP_1) | instskip(SKIP_4) | instid1(VALU_DEP_1)
	v_max3_num_f32 v67, v64, v67, v68
	v_add_f32_e32 v68, 0x40051340, v57
	global_inv scope:SCOPE_SE
	v_max3_num_f32 v67, v67, v68, v69
	v_dual_add_f32 v68, 0x40051340, v63 :: v_dual_add_f32 v69, 0x40051340, v62
	v_max3_num_f32 v67, v67, v68, v69
	v_dual_add_f32 v68, 0x40051340, v59 :: v_dual_add_f32 v69, 0x40051340, v58
	s_delay_alu instid0(VALU_DEP_1) | instskip(SKIP_1) | instid1(VALU_DEP_1)
	v_max3_num_f32 v67, v67, v68, v69
	v_dual_add_f32 v68, 0x40051340, v65 :: v_dual_add_f32 v69, 0x40051340, v66
	v_max3_num_f32 v67, v67, v68, v69
	v_dual_add_f32 v68, 0x40051340, v73 :: v_dual_add_f32 v69, 0x40051340, v74
	s_delay_alu instid0(VALU_DEP_1) | instskip(SKIP_1) | instid1(VALU_DEP_1)
	;; [unrolled: 5-line block ×6, first 2 shown]
	v_max3_num_f32 v67, v67, v68, v69
	v_dual_add_f32 v68, 0x40051340, v175 :: v_dual_add_f32 v69, 0x40051340, v172
	v_max3_num_f32 v67, v67, v68, v69
	v_add_f32_e32 v68, 0x40051340, v178
	v_add_f32_e32 v69, 0x40051340, v254
	s_delay_alu instid0(VALU_DEP_1) | instskip(SKIP_3) | instid1(VALU_DEP_1)
	v_max3_num_f32 v67, v67, v68, v69
	ds_bpermute_b32 v68, v238, v67
	s_wait_dscnt 0x0
	v_max_num_f32_e32 v68, v68, v68
	v_max_num_f32_e32 v192, v67, v68
	s_delay_alu instid0(VALU_DEP_1)
	v_sub_f32_e32 v63, v63, v192
	v_sub_f32_e32 v62, v62, v192
	;; [unrolled: 1-line block ×5, first 2 shown]
	v_mul_f32_e32 v67, 0x3fb8aa3b, v63
	v_cmp_ngt_f32_e32 vcc_lo, 0xc2ce8ed0, v62
	v_cmp_ngt_f32_e64 s0, 0xc2ce8ed0, v59
	v_cmp_ngt_f32_e64 s1, 0xc2ce8ed0, v58
	;; [unrolled: 1-line block ×3, first 2 shown]
	v_fma_f32 v68, 0x3fb8aa3b, v63, -v67
	v_rndne_f32_e32 v69, v67
	s_delay_alu instid0(VALU_DEP_1) | instskip(SKIP_1) | instid1(VALU_DEP_2)
	v_dual_fmac_f32 v68, 0x32a5705f, v63 :: v_dual_sub_f32 v67, v67, v69
	v_cvt_i32_f32_e32 v69, v69
	v_dual_add_f32 v67, v67, v68 :: v_dual_mul_f32 v68, 0x3fb8aa3b, v62
	s_delay_alu instid0(VALU_DEP_1) | instskip(NEXT) | instid1(VALU_DEP_1)
	v_exp_f32_e32 v67, v67
	v_fma_f32 v70, 0x3fb8aa3b, v62, -v68
	v_rndne_f32_e32 v71, v68
	s_delay_alu instid0(VALU_DEP_2) | instskip(NEXT) | instid1(VALU_DEP_2)
	v_fmac_f32_e32 v70, 0x32a5705f, v62
	v_sub_f32_e32 v68, v68, v71
	s_delay_alu instid0(TRANS32_DEP_1) | instskip(NEXT) | instid1(VALU_DEP_2)
	v_ldexp_f32 v67, v67, v69
	v_add_f32_e32 v68, v68, v70
	v_mul_f32_e32 v70, 0x3fb8aa3b, v59
	s_delay_alu instid0(VALU_DEP_2) | instskip(NEXT) | instid1(VALU_DEP_1)
	v_exp_f32_e32 v68, v68
	v_fma_f32 v72, 0x3fb8aa3b, v59, -v70
	v_rndne_f32_e32 v75, v70
	s_delay_alu instid0(VALU_DEP_2) | instskip(NEXT) | instid1(VALU_DEP_2)
	v_fmac_f32_e32 v72, 0x32a5705f, v59
	v_sub_f32_e32 v70, v70, v75
	v_cvt_i32_f32_e32 v69, v75
	s_delay_alu instid0(VALU_DEP_2) | instskip(SKIP_1) | instid1(VALU_DEP_2)
	v_add_f32_e32 v70, v70, v72
	v_mul_f32_e32 v72, 0x3fb8aa3b, v58
	v_exp_f32_e32 v70, v70
	s_delay_alu instid0(VALU_DEP_1) | instskip(SKIP_1) | instid1(VALU_DEP_2)
	v_fma_f32 v76, 0x3fb8aa3b, v58, -v72
	v_rndne_f32_e32 v79, v72
	v_fmac_f32_e32 v76, 0x32a5705f, v58
	s_delay_alu instid0(VALU_DEP_2) | instskip(NEXT) | instid1(TRANS32_DEP_1)
	v_sub_f32_e32 v72, v72, v79
	v_ldexp_f32 v69, v70, v69
	v_cvt_i32_f32_e32 v70, v71
	s_delay_alu instid0(VALU_DEP_3) | instskip(NEXT) | instid1(VALU_DEP_2)
	v_add_f32_e32 v72, v72, v76
	v_ldexp_f32 v68, v68, v70
	s_delay_alu instid0(VALU_DEP_2) | instskip(SKIP_2) | instid1(VALU_DEP_2)
	v_exp_f32_e32 v71, v72
	v_cvt_i32_f32_e32 v70, v79
	s_wait_alu 0xfffd
	v_cndmask_b32_e32 v68, 0, v68, vcc_lo
	v_cmp_nlt_f32_e32 vcc_lo, 0x42b17218, v62
	s_wait_alu 0xf1ff
	v_cndmask_b32_e64 v62, 0, v69, s0
	v_cmp_nlt_f32_e64 s0, 0x42b17218, v59
	s_delay_alu instid0(TRANS32_DEP_1)
	v_ldexp_f32 v70, v71, v70
	s_wait_alu 0xfffd
	v_cndmask_b32_e32 v176, 0x7f800000, v68, vcc_lo
	s_wait_alu 0xf1ff
	v_cndmask_b32_e64 v181, 0x7f800000, v62, s0
	v_cmp_ngt_f32_e32 vcc_lo, 0xc2ce8ed0, v61
	v_cndmask_b32_e64 v59, 0, v70, s1
	v_cmp_nlt_f32_e64 s1, 0x42b17218, v58
	v_cndmask_b32_e64 v58, 0, v67, s2
	v_cmp_nlt_f32_e64 s2, 0x42b17218, v63
	v_cvt_f16_f32_e64 v63, v176
	s_wait_alu 0xf1ff
	v_cndmask_b32_e64 v190, 0x7f800000, v59, s1
	v_cvt_f16_f32_e64 v59, v181
	v_cndmask_b32_e64 v191, 0x7f800000, v58, s2
	s_delay_alu instid0(VALU_DEP_3) | instskip(NEXT) | instid1(VALU_DEP_2)
	v_cvt_f16_f32_e64 v62, v190
	v_cvt_f16_f32_e64 v58, v191
	s_delay_alu instid0(VALU_DEP_2) | instskip(SKIP_1) | instid1(VALU_DEP_3)
	v_pack_b32_f16 v59, v59, v62
	v_mul_f32_e32 v62, 0x3fb8aa3b, v61
	v_pack_b32_f16 v58, v58, v63
	s_delay_alu instid0(VALU_DEP_2) | instskip(SKIP_1) | instid1(VALU_DEP_1)
	v_fma_f32 v63, 0x3fb8aa3b, v61, -v62
	v_rndne_f32_e32 v67, v62
	v_dual_fmac_f32 v63, 0x32a5705f, v61 :: v_dual_sub_f32 v62, v62, v67
	v_sub_f32_e32 v57, v57, v192
	v_cvt_i32_f32_e32 v67, v67
	v_sub_f32_e32 v60, v60, v192
	v_sub_f32_e32 v56, v56, v192
	s_delay_alu instid0(VALU_DEP_4) | instskip(SKIP_1) | instid1(VALU_DEP_2)
	v_dual_add_f32 v62, v62, v63 :: v_dual_mul_f32 v63, 0x3fb8aa3b, v57
	v_cmp_ngt_f32_e64 s0, 0xc2ce8ed0, v57
	v_exp_f32_e32 v62, v62
	s_delay_alu instid0(VALU_DEP_2) | instskip(SKIP_1) | instid1(VALU_DEP_2)
	v_fma_f32 v68, 0x3fb8aa3b, v57, -v63
	v_rndne_f32_e32 v69, v63
	v_fmac_f32_e32 v68, 0x32a5705f, v57
	s_delay_alu instid0(VALU_DEP_2) | instskip(NEXT) | instid1(TRANS32_DEP_1)
	v_sub_f32_e32 v63, v63, v69
	v_ldexp_f32 v62, v62, v67
	v_cvt_i32_f32_e32 v67, v69
	s_wait_alu 0xfffd
	s_delay_alu instid0(VALU_DEP_2) | instskip(SKIP_1) | instid1(VALU_DEP_2)
	v_dual_add_f32 v63, v63, v68 :: v_dual_cndmask_b32 v62, 0, v62
	v_cmp_nlt_f32_e32 vcc_lo, 0x42b17218, v61
	v_exp_f32_e32 v63, v63
	s_wait_alu 0xfffd
	s_delay_alu instid0(VALU_DEP_2) | instskip(SKIP_1) | instid1(TRANS32_DEP_1)
	v_cndmask_b32_e32 v197, 0x7f800000, v62, vcc_lo
	v_cmp_ngt_f32_e32 vcc_lo, 0xc2ce8ed0, v60
	v_ldexp_f32 v63, v63, v67
	s_wait_alu 0xf1ff
	s_delay_alu instid0(VALU_DEP_1) | instskip(SKIP_2) | instid1(VALU_DEP_1)
	v_cndmask_b32_e64 v61, 0, v63, s0
	v_cmp_nlt_f32_e64 s0, 0x42b17218, v57
	s_wait_alu 0xf1ff
	v_cndmask_b32_e64 v196, 0x7f800000, v61, s0
	v_cvt_f16_f32_e64 v61, v197
	v_cmp_ngt_f32_e64 s0, 0xc2ce8ed0, v56
	s_delay_alu instid0(VALU_DEP_3) | instskip(NEXT) | instid1(VALU_DEP_1)
	v_cvt_f16_f32_e64 v57, v196
	v_pack_b32_f16 v57, v57, v61
	v_mul_f32_e32 v61, 0x3fb8aa3b, v60
	s_delay_alu instid0(VALU_DEP_1) | instskip(SKIP_1) | instid1(VALU_DEP_1)
	v_fma_f32 v62, 0x3fb8aa3b, v60, -v61
	v_rndne_f32_e32 v63, v61
	v_dual_fmac_f32 v62, 0x32a5705f, v60 :: v_dual_sub_f32 v61, v61, v63
	v_cvt_i32_f32_e32 v63, v63
	s_delay_alu instid0(VALU_DEP_2) | instskip(NEXT) | instid1(VALU_DEP_1)
	v_dual_add_f32 v61, v61, v62 :: v_dual_mul_f32 v62, 0x3fb8aa3b, v56
	v_exp_f32_e32 v61, v61
	s_delay_alu instid0(VALU_DEP_1) | instskip(SKIP_1) | instid1(VALU_DEP_2)
	v_fma_f32 v67, 0x3fb8aa3b, v56, -v62
	v_rndne_f32_e32 v68, v62
	v_fmac_f32_e32 v67, 0x32a5705f, v56
	s_delay_alu instid0(VALU_DEP_2) | instskip(NEXT) | instid1(TRANS32_DEP_1)
	v_sub_f32_e32 v62, v62, v68
	v_ldexp_f32 v61, v61, v63
	v_cvt_i32_f32_e32 v63, v68
	s_wait_alu 0xfffd
	s_delay_alu instid0(VALU_DEP_2) | instskip(SKIP_1) | instid1(VALU_DEP_2)
	v_dual_add_f32 v62, v62, v67 :: v_dual_cndmask_b32 v61, 0, v61
	v_cmp_nlt_f32_e32 vcc_lo, 0x42b17218, v60
	v_exp_f32_e32 v62, v62
	s_wait_alu 0xfffd
	s_delay_alu instid0(VALU_DEP_2) | instskip(NEXT) | instid1(TRANS32_DEP_1)
	v_cndmask_b32_e32 v200, 0x7f800000, v61, vcc_lo
	v_ldexp_f32 v62, v62, v63
	s_wait_alu 0xf1ff
	s_delay_alu instid0(VALU_DEP_1) | instskip(SKIP_2) | instid1(VALU_DEP_1)
	v_cndmask_b32_e64 v60, 0, v62, s0
	v_cmp_nlt_f32_e64 s0, 0x42b17218, v56
	s_wait_alu 0xf1ff
	v_cndmask_b32_e64 v199, 0x7f800000, v60, s0
	v_cvt_f16_f32_e64 v60, v200
	s_delay_alu instid0(VALU_DEP_2) | instskip(NEXT) | instid1(VALU_DEP_1)
	v_cvt_f16_f32_e64 v56, v199
	v_pack_b32_f16 v56, v56, v60
	v_sub_f32_e32 v60, v64, v192
	s_delay_alu instid0(VALU_DEP_1) | instskip(SKIP_1) | instid1(VALU_DEP_2)
	v_mul_f32_e32 v61, 0x3fb8aa3b, v60
	v_cmp_ngt_f32_e32 vcc_lo, 0xc2ce8ed0, v60
	v_fma_f32 v62, 0x3fb8aa3b, v60, -v61
	v_rndne_f32_e32 v63, v61
	s_delay_alu instid0(VALU_DEP_1) | instskip(NEXT) | instid1(VALU_DEP_1)
	v_dual_fmac_f32 v62, 0x32a5705f, v60 :: v_dual_sub_f32 v61, v61, v63
	v_add_f32_e32 v61, v61, v62
	v_cvt_i32_f32_e32 v62, v63
	s_delay_alu instid0(VALU_DEP_2) | instskip(NEXT) | instid1(TRANS32_DEP_1)
	v_exp_f32_e32 v61, v61
	v_ldexp_f32 v61, v61, v62
	s_wait_alu 0xfffd
	s_delay_alu instid0(VALU_DEP_1) | instskip(SKIP_2) | instid1(VALU_DEP_2)
	v_cndmask_b32_e32 v61, 0, v61, vcc_lo
	v_cmp_nlt_f32_e32 vcc_lo, 0x42b17218, v60
	s_wait_alu 0xfffd
	v_cndmask_b32_e32 v61, 0x7f800000, v61, vcc_lo
	v_cmp_le_f32_e32 vcc_lo, 0xc1a00000, v60
	s_wait_alu 0xfffd
	s_delay_alu instid0(VALU_DEP_2)
	v_cndmask_b32_e32 v198, 0, v61, vcc_lo
	ds_load_u16 v68, v239 offset:128
	ds_load_u16 v71, v240 offset:128
	;; [unrolled: 1-line block ×19, first 2 shown]
	s_wait_dscnt 0x12
	ds_load_u16_d16_hi v68, v239 offset:368
	s_wait_dscnt 0x10
	ds_load_u16_d16_hi v100, v239 offset:400
	;; [unrolled: 2-line block ×3, first 2 shown]
	ds_load_u16 v139, v239 offset:512
	s_wait_dscnt 0x8
	ds_load_u16_d16_hi v84, v239 offset:336
	ds_load_u16_d16_hi v71, v241 offset:128
	;; [unrolled: 1-line block ×4, first 2 shown]
	s_wait_dscnt 0xb
	ds_load_u16_d16_hi v67, v241 offset:3840
	ds_load_u16 v83, v240 offset:4032
	ds_load_u16 v79, v240 offset:3872
	;; [unrolled: 1-line block ×6, first 2 shown]
	s_wait_dscnt 0x4
	ds_load_u16_d16_hi v79, v241 offset:3872
	s_wait_dscnt 0x4
	ds_load_u16_d16_hi v91, v241 offset:3904
	;; [unrolled: 2-line block ×3, first 2 shown]
	ds_load_u16_d16_hi v61, v239 offset:720
	ds_load_u16_d16_hi v139, v239 offset:752
	;; [unrolled: 1-line block ×3, first 2 shown]
	ds_load_u16 v85, v239 offset:576
	ds_load_u16_d16_hi v69, v239 offset:848
	ds_load_u16_d16_hi v101, v239 offset:880
	;; [unrolled: 1-line block ×3, first 2 shown]
	ds_load_u16 v140, v239 offset:992
	ds_load_u16 v86, v239 offset:1056
	ds_load_u16 v211, v239 offset:1024
	v_cvt_f16_f32_e64 v60, v198
	s_wait_dscnt 0x2
	ds_load_u16_d16_hi v140, v239 offset:1232
	s_wait_dscnt 0x1
	ds_load_u16_d16_hi v211, v239 offset:1264
	ds_load_u16_d16_hi v86, v239 offset:1296
	ds_load_u16 v64, v239 offset:3840
	ds_load_u16_d16_hi v70, v239 offset:1328
	ds_load_u16_d16_hi v102, v239 offset:1360
	;; [unrolled: 1-line block ×4, first 2 shown]
	ds_load_u16 v76, v239 offset:3872
	ds_load_u16 v88, v239 offset:3904
	;; [unrolled: 1-line block ×3, first 2 shown]
	v_and_b32_e32 v60, 0xffff, v60
	s_delay_alu instid0(VALU_DEP_1) | instskip(NEXT) | instid1(VALU_DEP_1)
	v_mul_u32_u24_e32 v82, 0x10001, v60
	v_pk_mul_f16 v8, v8, v82
	v_pk_mul_f16 v9, v9, v82
	;; [unrolled: 1-line block ×12, first 2 shown]
	s_wait_dscnt 0x6
	v_wmma_f16_16x16x16_f16 v[8:11], v[68:71], v[56:59], v[8:11]
	s_wait_dscnt 0x5
	v_wmma_f16_16x16x16_f16 v[4:7], v[100:103], v[56:59], v[4:7]
	v_pk_mul_f16 v24, v24, v82
	v_pk_mul_f16 v25, v25, v82
	s_wait_dscnt 0x3
	v_wmma_f16_16x16x16_f16 v[0:3], v[104:107], v[56:59], v[0:3]
	ds_load_u16 v60, v239
	ds_load_u16 v138, v239 offset:32
	ds_load_u16 v209, v239 offset:64
	ds_load_u16 v141, v240 offset:32
	ds_load_u16 v212, v240 offset:64
	ds_load_u16 v63, v240
	ds_load_u16 v70, v239 offset:12512
	ds_load_u16 v69, v239 offset:12032
	ds_load_u16 v100, v239 offset:12064
	ds_load_u16 v101, v239 offset:12544
	ds_load_u16 v109, v239 offset:12640
	ds_load_u16 v104, v239 offset:12096
	ds_load_u16 v105, v239 offset:12576
	s_wait_dscnt 0xc
	ds_load_u16_d16_hi v60, v239 offset:240
	s_wait_dscnt 0xc
	ds_load_u16_d16_hi v138, v239 offset:272
	;; [unrolled: 2-line block ×4, first 2 shown]
	ds_load_u16_d16_hi v63, v241
	ds_load_u16 v68, v239 offset:11552
	s_wait_dscnt 0x0
	ds_load_u16_d16_hi v68, v239 offset:11792
	ds_load_u16 v111, v239 offset:11712
	s_wait_dscnt 0x0
	ds_load_u16_d16_hi v111, v239 offset:11952
	ds_load_u16_d16_hi v69, v239 offset:12272
	ds_load_u16_d16_hi v100, v239 offset:12304
	ds_load_u16_d16_hi v104, v239 offset:12336
	ds_load_u16 v112, v239 offset:12192
	s_wait_dscnt 0x0
	ds_load_u16_d16_hi v112, v239 offset:12432
	ds_load_u16_d16_hi v70, v239 offset:12752
	ds_load_u16_d16_hi v101, v239 offset:12784
	;; [unrolled: 6-line block ×3, first 2 shown]
	ds_load_u16_d16_hi v87, v241 offset:96
	ds_load_u16 v114, v240 offset:11712
	ds_load_u16 v210, v239 offset:544
	v_pk_mul_f16 v26, v26, v82
	v_pk_mul_f16 v27, v27, v82
	v_pk_mul_f16 v20, v20, v82
	v_pk_mul_f16 v21, v21, v82
	v_pk_mul_f16 v22, v22, v82
	v_pk_mul_f16 v23, v23, v82
	v_pk_mul_f16 v16, v16, v82
	v_pk_mul_f16 v17, v17, v82
	v_pk_mul_f16 v18, v18, v82
	v_pk_mul_f16 v19, v19, v82
	v_pk_mul_f16 v12, v12, v82
	v_pk_mul_f16 v13, v13, v82
	v_pk_mul_f16 v14, v14, v82
	v_pk_mul_f16 v15, v15, v82
	v_wmma_f16_16x16x16_f16 v[24:27], v[60:63], v[56:59], v[24:27]
	s_wait_dscnt 0x4
	v_wmma_f16_16x16x16_f16 v[20:23], v[138:141], v[56:59], v[20:23]
	s_wait_dscnt 0x2
	;; [unrolled: 2-line block ×3, first 2 shown]
	ds_load_u16_d16_hi v210, v239 offset:784
	s_wait_dscnt 0x0
	v_wmma_f16_16x16x16_f16 v[16:19], v[209:212], v[56:59], v[16:19]
	v_sub_f32_e32 v56, v81, v192
	s_delay_alu instid0(VALU_DEP_1) | instskip(SKIP_1) | instid1(VALU_DEP_2)
	v_mul_f32_e32 v57, 0x3fb8aa3b, v56
	v_cmp_ngt_f32_e64 s2, 0xc2ce8ed0, v56
	v_fma_f32 v58, 0x3fb8aa3b, v56, -v57
	v_rndne_f32_e32 v59, v57
	s_delay_alu instid0(VALU_DEP_1) | instskip(SKIP_1) | instid1(VALU_DEP_2)
	v_dual_fmac_f32 v58, 0x32a5705f, v56 :: v_dual_sub_f32 v57, v57, v59
	v_cvt_i32_f32_e32 v59, v59
	v_dual_add_f32 v57, v57, v58 :: v_dual_sub_f32 v58, v80, v192
	s_delay_alu instid0(VALU_DEP_1) | instskip(NEXT) | instid1(VALU_DEP_1)
	v_exp_f32_e32 v57, v57
	v_mul_f32_e32 v60, 0x3fb8aa3b, v58
	v_cmp_ngt_f32_e32 vcc_lo, 0xc2ce8ed0, v58
	s_delay_alu instid0(VALU_DEP_2) | instskip(SKIP_1) | instid1(TRANS32_DEP_1)
	v_fma_f32 v61, 0x3fb8aa3b, v58, -v60
	v_rndne_f32_e32 v62, v60
	v_ldexp_f32 v57, v57, v59
	s_delay_alu instid0(VALU_DEP_3) | instskip(NEXT) | instid1(VALU_DEP_3)
	v_fmac_f32_e32 v61, 0x32a5705f, v58
	v_sub_f32_e32 v60, v60, v62
	v_cvt_i32_f32_e32 v62, v62
	s_wait_alu 0xf1ff
	v_cndmask_b32_e64 v57, 0, v57, s2
	v_cmp_nlt_f32_e64 s2, 0x42b17218, v56
	v_dual_add_f32 v60, v60, v61 :: v_dual_sub_f32 v61, v78, v192
	s_wait_alu 0xf1ff
	s_delay_alu instid0(VALU_DEP_2) | instskip(NEXT) | instid1(VALU_DEP_2)
	v_cndmask_b32_e64 v169, 0x7f800000, v57, s2
	v_exp_f32_e32 v60, v60
	s_delay_alu instid0(VALU_DEP_2) | instskip(SKIP_1) | instid1(VALU_DEP_3)
	v_mul_f32_e32 v63, 0x3fb8aa3b, v61
	v_cmp_ngt_f32_e64 s0, 0xc2ce8ed0, v61
	v_cvt_f16_f32_e64 v56, v169
	s_delay_alu instid0(VALU_DEP_3) | instskip(SKIP_1) | instid1(TRANS32_DEP_1)
	v_fma_f32 v71, 0x3fb8aa3b, v61, -v63
	v_rndne_f32_e32 v78, v63
	v_ldexp_f32 v60, v60, v62
	s_delay_alu instid0(VALU_DEP_3) | instskip(NEXT) | instid1(VALU_DEP_3)
	v_fmac_f32_e32 v71, 0x32a5705f, v61
	v_sub_f32_e32 v63, v63, v78
	v_cvt_i32_f32_e32 v59, v78
	s_wait_alu 0xfffd
	v_cndmask_b32_e32 v60, 0, v60, vcc_lo
	v_cmp_nlt_f32_e32 vcc_lo, 0x42b17218, v58
	v_add_f32_e32 v63, v63, v71
	v_sub_f32_e32 v71, v77, v192
	s_wait_alu 0xfffd
	v_cndmask_b32_e32 v187, 0x7f800000, v60, vcc_lo
	s_delay_alu instid0(VALU_DEP_3) | instskip(NEXT) | instid1(VALU_DEP_2)
	v_exp_f32_e32 v63, v63
	v_mul_f32_e32 v77, 0x3fb8aa3b, v71
	v_cmp_ngt_f32_e64 s1, 0xc2ce8ed0, v71
	s_delay_alu instid0(VALU_DEP_3) | instskip(NEXT) | instid1(VALU_DEP_3)
	v_cvt_f16_f32_e64 v60, v187
	v_fma_f32 v80, 0x3fb8aa3b, v71, -v77
	v_rndne_f32_e32 v81, v77
	s_delay_alu instid0(TRANS32_DEP_1) | instskip(NEXT) | instid1(VALU_DEP_2)
	v_ldexp_f32 v59, v63, v59
	v_dual_fmac_f32 v80, 0x32a5705f, v71 :: v_dual_sub_f32 v77, v77, v81
	v_cvt_i32_f32_e32 v62, v81
	s_wait_alu 0xf1ff
	s_delay_alu instid0(VALU_DEP_3) | instskip(SKIP_3) | instid1(VALU_DEP_2)
	v_cndmask_b32_e64 v58, 0, v59, s0
	v_cmp_nlt_f32_e64 s0, 0x42b17218, v61
	v_add_f32_e32 v77, v77, v80
	s_wait_alu 0xf1ff
	v_cndmask_b32_e64 v170, 0x7f800000, v58, s0
	s_delay_alu instid0(VALU_DEP_2) | instskip(NEXT) | instid1(VALU_DEP_1)
	v_exp_f32_e32 v63, v77
	v_cvt_f16_f32_e64 v57, v170
	s_delay_alu instid0(TRANS32_DEP_1) | instskip(NEXT) | instid1(VALU_DEP_1)
	v_ldexp_f32 v62, v63, v62
	v_cndmask_b32_e64 v59, 0, v62, s1
	v_cmp_nlt_f32_e64 s1, 0x42b17218, v71
	s_wait_alu 0xf1ff
	s_delay_alu instid0(VALU_DEP_1) | instskip(NEXT) | instid1(VALU_DEP_1)
	v_cndmask_b32_e64 v171, 0x7f800000, v59, s1
	v_cvt_f16_f32_e64 v58, v171
	s_delay_alu instid0(VALU_DEP_1) | instskip(SKIP_2) | instid1(VALU_DEP_1)
	v_pack_b32_f16 v59, v57, v58
	v_pack_b32_f16 v58, v56, v60
	v_sub_f32_e32 v56, v74, v192
	v_mul_f32_e32 v57, 0x3fb8aa3b, v56
	v_cmp_ngt_f32_e32 vcc_lo, 0xc2ce8ed0, v56
	s_delay_alu instid0(VALU_DEP_2) | instskip(SKIP_1) | instid1(VALU_DEP_1)
	v_fma_f32 v60, 0x3fb8aa3b, v56, -v57
	v_rndne_f32_e32 v61, v57
	v_dual_fmac_f32 v60, 0x32a5705f, v56 :: v_dual_sub_f32 v57, v57, v61
	v_cvt_i32_f32_e32 v61, v61
	s_delay_alu instid0(VALU_DEP_2) | instskip(SKIP_1) | instid1(VALU_DEP_2)
	v_add_f32_e32 v57, v57, v60
	v_sub_f32_e32 v60, v73, v192
	v_exp_f32_e32 v57, v57
	s_delay_alu instid0(VALU_DEP_1) | instskip(SKIP_1) | instid1(VALU_DEP_2)
	v_mul_f32_e32 v62, 0x3fb8aa3b, v60
	v_cmp_ngt_f32_e64 s0, 0xc2ce8ed0, v60
	v_fma_f32 v63, 0x3fb8aa3b, v60, -v62
	v_rndne_f32_e32 v71, v62
	s_delay_alu instid0(TRANS32_DEP_1) | instskip(NEXT) | instid1(VALU_DEP_2)
	v_ldexp_f32 v57, v57, v61
	v_dual_fmac_f32 v63, 0x32a5705f, v60 :: v_dual_sub_f32 v62, v62, v71
	v_cvt_i32_f32_e32 v61, v71
	s_wait_alu 0xfffd
	s_delay_alu instid0(VALU_DEP_3) | instskip(SKIP_2) | instid1(VALU_DEP_2)
	v_cndmask_b32_e32 v57, 0, v57, vcc_lo
	v_cmp_nlt_f32_e32 vcc_lo, 0x42b17218, v56
	s_wait_alu 0xfffd
	v_dual_add_f32 v62, v62, v63 :: v_dual_cndmask_b32 v189, 0x7f800000, v57
	s_delay_alu instid0(VALU_DEP_1) | instskip(NEXT) | instid1(VALU_DEP_1)
	v_exp_f32_e32 v62, v62
	v_cvt_f16_f32_e64 v57, v189
	s_delay_alu instid0(TRANS32_DEP_1) | instskip(SKIP_1) | instid1(VALU_DEP_1)
	v_ldexp_f32 v61, v62, v61
	s_wait_alu 0xf1ff
	v_cndmask_b32_e64 v56, 0, v61, s0
	v_cmp_nlt_f32_e64 s0, 0x42b17218, v60
	s_wait_alu 0xf1ff
	s_delay_alu instid0(VALU_DEP_1) | instskip(NEXT) | instid1(VALU_DEP_1)
	v_cndmask_b32_e64 v188, 0x7f800000, v56, s0
	v_cvt_f16_f32_e64 v56, v188
	s_delay_alu instid0(VALU_DEP_1) | instskip(SKIP_1) | instid1(VALU_DEP_1)
	v_pack_b32_f16 v57, v56, v57
	v_sub_f32_e32 v56, v66, v192
	v_mul_f32_e32 v60, 0x3fb8aa3b, v56
	v_cmp_ngt_f32_e32 vcc_lo, 0xc2ce8ed0, v56
	s_delay_alu instid0(VALU_DEP_2) | instskip(SKIP_1) | instid1(VALU_DEP_1)
	v_fma_f32 v61, 0x3fb8aa3b, v56, -v60
	v_rndne_f32_e32 v62, v60
	v_dual_fmac_f32 v61, 0x32a5705f, v56 :: v_dual_sub_f32 v60, v60, v62
	v_cvt_i32_f32_e32 v62, v62
	s_delay_alu instid0(VALU_DEP_2) | instskip(NEXT) | instid1(VALU_DEP_1)
	v_dual_add_f32 v60, v60, v61 :: v_dual_sub_f32 v61, v65, v192
	v_exp_f32_e32 v60, v60
	s_delay_alu instid0(VALU_DEP_1) | instskip(SKIP_1) | instid1(VALU_DEP_2)
	v_mul_f32_e32 v63, 0x3fb8aa3b, v61
	v_cmp_ngt_f32_e64 s0, 0xc2ce8ed0, v61
	v_fma_f32 v65, 0x3fb8aa3b, v61, -v63
	v_rndne_f32_e32 v66, v63
	s_delay_alu instid0(TRANS32_DEP_1) | instskip(NEXT) | instid1(VALU_DEP_3)
	v_ldexp_f32 v60, v60, v62
	v_fmac_f32_e32 v65, 0x32a5705f, v61
	s_delay_alu instid0(VALU_DEP_3)
	v_sub_f32_e32 v63, v63, v66
	v_cvt_i32_f32_e32 v62, v66
	s_wait_alu 0xfffd
	v_cndmask_b32_e32 v60, 0, v60, vcc_lo
	v_cmp_nlt_f32_e32 vcc_lo, 0x42b17218, v56
	v_add_f32_e32 v63, v63, v65
	s_wait_alu 0xfffd
	s_delay_alu instid0(VALU_DEP_3) | instskip(NEXT) | instid1(VALU_DEP_2)
	v_cndmask_b32_e32 v207, 0x7f800000, v60, vcc_lo
	v_exp_f32_e32 v63, v63
	s_delay_alu instid0(VALU_DEP_1) | instskip(NEXT) | instid1(TRANS32_DEP_1)
	v_cvt_f16_f32_e64 v60, v207
	v_ldexp_f32 v62, v63, v62
	s_wait_alu 0xf1ff
	s_delay_alu instid0(VALU_DEP_1) | instskip(SKIP_2) | instid1(VALU_DEP_1)
	v_cndmask_b32_e64 v56, 0, v62, s0
	v_cmp_nlt_f32_e64 s0, 0x42b17218, v61
	s_wait_alu 0xf1ff
	v_cndmask_b32_e64 v206, 0x7f800000, v56, s0
	s_delay_alu instid0(VALU_DEP_1) | instskip(NEXT) | instid1(VALU_DEP_1)
	v_cvt_f16_f32_e64 v56, v206
	v_pack_b32_f16 v56, v56, v60
	ds_load_u16 v63, v240 offset:3968
	ds_load_u16 v60, v239 offset:3968
	;; [unrolled: 1-line block ×8, first 2 shown]
	s_wait_dscnt 0x7
	ds_load_u16_d16_hi v63, v241 offset:3968
	ds_load_u16 v65, v239 offset:4320
	s_wait_dscnt 0x8
	ds_load_u16_d16_hi v60, v239 offset:4208
	ds_load_u16_d16_hi v72, v239 offset:4240
	ds_load_u16 v66, v239 offset:4800
	ds_load_u16 v78, v239 offset:4832
	s_wait_dscnt 0x4
	ds_load_u16_d16_hi v65, v239 offset:4560
	ds_load_u16 v202, v239 offset:4416
	ds_load_u16_d16_hi v61, v239 offset:4688
	ds_load_u16_d16_hi v73, v239 offset:4720
	;; [unrolled: 1-line block ×4, first 2 shown]
	s_wait_dscnt 0x7
	ds_load_u16_d16_hi v66, v239 offset:5040
	s_wait_dscnt 0x7
	ds_load_u16_d16_hi v78, v239 offset:5072
	ds_load_u16 v96, v239 offset:7680
	ds_load_u16 v203, v239 offset:4896
	ds_load_u16_d16_hi v62, v239 offset:5168
	s_wait_dscnt 0x9
	ds_load_u16_d16_hi v202, v239 offset:4656
	ds_load_u16_d16_hi v74, v239 offset:5200
	;; [unrolled: 1-line block ×3, first 2 shown]
	ds_load_u16 v92, v239 offset:7712
	ds_load_u16 v84, v239 offset:7744
	;; [unrolled: 1-line block ×3, first 2 shown]
	s_wait_dscnt 0x7
	ds_load_u16_d16_hi v203, v239 offset:5136
	s_wait_dscnt 0x7
	v_wmma_f16_16x16x16_f16 v[8:11], v[60:63], v[56:59], v[8:11]
	ds_load_u16 v87, v240 offset:7744
	ds_load_u16 v71, v240 offset:11552
	;; [unrolled: 1-line block ×7, first 2 shown]
	ds_load_u16_d16_hi v75, v241 offset:4000
	ds_load_u16_d16_hi v83, v241 offset:4032
	s_wait_dscnt 0x5
	ds_load_u16_d16_hi v60, v241 offset:7840
	ds_load_u16_d16_hi v99, v241 offset:7680
	;; [unrolled: 1-line block ×4, first 2 shown]
	s_wait_dscnt 0x6
	ds_load_u16_d16_hi v141, v241 offset:7776
	ds_load_u16 v80, v239 offset:4032
	ds_load_u16_d16_hi v64, v239 offset:4080
	ds_load_u16_d16_hi v76, v239 offset:4112
	;; [unrolled: 1-line block ×3, first 2 shown]
	s_wait_dscnt 0x3
	ds_load_u16_d16_hi v80, v239 offset:4272
	ds_load_u16 v77, v239 offset:4352
	ds_load_u16 v89, v239 offset:4384
	s_wait_dscnt 0x1
	ds_load_u16_d16_hi v77, v239 offset:4592
	s_wait_dscnt 0x1
	ds_load_u16_d16_hi v89, v239 offset:4624
	ds_load_u16 v90, v239 offset:4864
	v_wmma_f16_16x16x16_f16 v[4:7], v[72:75], v[56:59], v[4:7]
	v_wmma_f16_16x16x16_f16 v[0:3], v[80:83], v[56:59], v[0:3]
	;; [unrolled: 1-line block ×4, first 2 shown]
	s_wait_dscnt 0x2
	v_wmma_f16_16x16x16_f16 v[20:23], v[76:79], v[56:59], v[20:23]
	s_wait_dscnt 0x0
	ds_load_u16_d16_hi v90, v239 offset:5104
	s_wait_dscnt 0x0
	v_wmma_f16_16x16x16_f16 v[16:19], v[88:91], v[56:59], v[16:19]
	v_sub_f32_e32 v56, v180, v192
	s_delay_alu instid0(VALU_DEP_1) | instskip(SKIP_1) | instid1(VALU_DEP_2)
	v_mul_f32_e32 v57, 0x3fb8aa3b, v56
	v_cmp_ngt_f32_e64 s2, 0xc2ce8ed0, v56
	v_fma_f32 v58, 0x3fb8aa3b, v56, -v57
	v_rndne_f32_e32 v59, v57
	s_delay_alu instid0(VALU_DEP_1) | instskip(SKIP_1) | instid1(VALU_DEP_2)
	v_dual_fmac_f32 v58, 0x32a5705f, v56 :: v_dual_sub_f32 v57, v57, v59
	v_cvt_i32_f32_e32 v59, v59
	v_dual_add_f32 v57, v57, v58 :: v_dual_sub_f32 v58, v179, v192
	s_delay_alu instid0(VALU_DEP_1) | instskip(NEXT) | instid1(VALU_DEP_1)
	v_exp_f32_e32 v57, v57
	v_mul_f32_e32 v61, 0x3fb8aa3b, v58
	v_cmp_ngt_f32_e32 vcc_lo, 0xc2ce8ed0, v58
	s_delay_alu instid0(VALU_DEP_2) | instskip(SKIP_1) | instid1(TRANS32_DEP_1)
	v_fma_f32 v62, 0x3fb8aa3b, v58, -v61
	v_rndne_f32_e32 v63, v61
	v_ldexp_f32 v57, v57, v59
	s_delay_alu instid0(VALU_DEP_2) | instskip(SKIP_2) | instid1(VALU_DEP_3)
	v_dual_fmac_f32 v62, 0x32a5705f, v58 :: v_dual_sub_f32 v61, v61, v63
	v_cvt_i32_f32_e32 v63, v63
	s_wait_alu 0xf1ff
	v_cndmask_b32_e64 v57, 0, v57, s2
	v_cmp_nlt_f32_e64 s2, 0x42b17218, v56
	v_add_f32_e32 v61, v61, v62
	v_sub_f32_e32 v62, v177, v192
	s_delay_alu instid0(VALU_DEP_2) | instskip(NEXT) | instid1(VALU_DEP_1)
	v_exp_f32_e32 v61, v61
	v_mul_f32_e32 v64, 0x3fb8aa3b, v62
	v_cmp_ngt_f32_e64 s0, 0xc2ce8ed0, v62
	s_delay_alu instid0(VALU_DEP_2) | instskip(SKIP_1) | instid1(TRANS32_DEP_1)
	v_fma_f32 v65, 0x3fb8aa3b, v62, -v64
	v_rndne_f32_e32 v66, v64
	v_ldexp_f32 v61, v61, v63
	s_delay_alu instid0(VALU_DEP_3) | instskip(NEXT) | instid1(VALU_DEP_3)
	v_fmac_f32_e32 v65, 0x32a5705f, v62
	v_sub_f32_e32 v64, v64, v66
	v_cvt_i32_f32_e32 v59, v66
	s_wait_alu 0xfffd
	v_cndmask_b32_e32 v61, 0, v61, vcc_lo
	v_cmp_nlt_f32_e32 vcc_lo, 0x42b17218, v58
	v_dual_add_f32 v64, v64, v65 :: v_dual_sub_f32 v65, v110, v192
	s_delay_alu instid0(VALU_DEP_1) | instskip(NEXT) | instid1(VALU_DEP_1)
	v_exp_f32_e32 v64, v64
	v_mul_f32_e32 v67, 0x3fb8aa3b, v65
	v_cmp_ngt_f32_e64 s1, 0xc2ce8ed0, v65
	s_delay_alu instid0(VALU_DEP_2) | instskip(SKIP_1) | instid1(TRANS32_DEP_1)
	v_fma_f32 v72, 0x3fb8aa3b, v65, -v67
	v_rndne_f32_e32 v73, v67
	v_ldexp_f32 v59, v64, v59
	s_delay_alu instid0(VALU_DEP_3) | instskip(NEXT) | instid1(VALU_DEP_3)
	v_fmac_f32_e32 v72, 0x32a5705f, v65
	v_sub_f32_e32 v67, v67, v73
	v_cvt_i32_f32_e32 v63, v73
	s_wait_alu 0xf1ff
	v_cndmask_b32_e64 v58, 0, v59, s0
	v_cmp_nlt_f32_e64 s0, 0x42b17218, v62
	s_wait_alu 0xfffd
	v_dual_add_f32 v67, v67, v72 :: v_dual_cndmask_b32 v72, 0x7f800000, v61
	s_wait_alu 0xf1ff
	s_delay_alu instid0(VALU_DEP_2) | instskip(NEXT) | instid1(VALU_DEP_2)
	v_cndmask_b32_e64 v66, 0x7f800000, v58, s0
	v_exp_f32_e32 v64, v67
	s_delay_alu instid0(TRANS32_DEP_1) | instskip(NEXT) | instid1(VALU_DEP_1)
	v_ldexp_f32 v63, v64, v63
	v_cndmask_b32_e64 v59, 0, v63, s1
	v_cmp_nlt_f32_e64 s1, 0x42b17218, v65
	v_cndmask_b32_e64 v65, 0x7f800000, v57, s2
	v_cvt_f16_f32_e32 v57, v66
	s_wait_alu 0xf1ff
	s_delay_alu instid0(VALU_DEP_3) | instskip(NEXT) | instid1(VALU_DEP_3)
	v_cndmask_b32_e64 v67, 0x7f800000, v59, s1
	v_cvt_f16_f32_e32 v56, v65
	v_cvt_f16_f32_e32 v59, v72
	s_delay_alu instid0(VALU_DEP_3) | instskip(NEXT) | instid1(VALU_DEP_2)
	v_cvt_f16_f32_e32 v58, v67
	v_pack_b32_f16 v63, v56, v59
	v_sub_f32_e32 v56, v98, v192
	s_delay_alu instid0(VALU_DEP_3) | instskip(NEXT) | instid1(VALU_DEP_2)
	v_pack_b32_f16 v64, v57, v58
	v_mul_f32_e32 v57, 0x3fb8aa3b, v56
	v_cmp_ngt_f32_e32 vcc_lo, 0xc2ce8ed0, v56
	s_delay_alu instid0(VALU_DEP_2) | instskip(SKIP_1) | instid1(VALU_DEP_1)
	v_fma_f32 v58, 0x3fb8aa3b, v56, -v57
	v_rndne_f32_e32 v59, v57
	v_dual_fmac_f32 v58, 0x32a5705f, v56 :: v_dual_sub_f32 v57, v57, v59
	v_cvt_i32_f32_e32 v59, v59
	s_delay_alu instid0(VALU_DEP_2) | instskip(SKIP_1) | instid1(VALU_DEP_2)
	v_add_f32_e32 v57, v57, v58
	v_sub_f32_e32 v58, v97, v192
	v_exp_f32_e32 v57, v57
	s_delay_alu instid0(VALU_DEP_1) | instskip(SKIP_1) | instid1(VALU_DEP_2)
	v_mul_f32_e32 v61, 0x3fb8aa3b, v58
	v_cmp_ngt_f32_e64 s0, 0xc2ce8ed0, v58
	v_fma_f32 v62, 0x3fb8aa3b, v58, -v61
	v_rndne_f32_e32 v73, v61
	s_delay_alu instid0(TRANS32_DEP_1) | instskip(NEXT) | instid1(VALU_DEP_2)
	v_ldexp_f32 v57, v57, v59
	v_dual_fmac_f32 v62, 0x32a5705f, v58 :: v_dual_sub_f32 v61, v61, v73
	v_cvt_i32_f32_e32 v59, v73
	s_wait_alu 0xfffd
	s_delay_alu instid0(VALU_DEP_3) | instskip(SKIP_2) | instid1(VALU_DEP_2)
	v_cndmask_b32_e32 v57, 0, v57, vcc_lo
	v_cmp_nlt_f32_e32 vcc_lo, 0x42b17218, v56
	s_wait_alu 0xfffd
	v_dual_add_f32 v61, v61, v62 :: v_dual_cndmask_b32 v74, 0x7f800000, v57
	s_delay_alu instid0(VALU_DEP_1) | instskip(NEXT) | instid1(VALU_DEP_1)
	v_exp_f32_e32 v61, v61
	v_cvt_f16_f32_e32 v57, v74
	s_delay_alu instid0(TRANS32_DEP_1) | instskip(SKIP_1) | instid1(VALU_DEP_1)
	v_ldexp_f32 v59, v61, v59
	s_wait_alu 0xf1ff
	v_cndmask_b32_e64 v56, 0, v59, s0
	v_cmp_nlt_f32_e64 s0, 0x42b17218, v58
	s_wait_alu 0xf1ff
	s_delay_alu instid0(VALU_DEP_1) | instskip(NEXT) | instid1(VALU_DEP_1)
	v_cndmask_b32_e64 v73, 0x7f800000, v56, s0
	v_cvt_f16_f32_e32 v56, v73
	s_delay_alu instid0(VALU_DEP_1) | instskip(SKIP_1) | instid1(VALU_DEP_1)
	v_pack_b32_f16 v62, v56, v57
	v_sub_f32_e32 v56, v94, v192
	v_mul_f32_e32 v57, 0x3fb8aa3b, v56
	s_delay_alu instid0(VALU_DEP_1) | instskip(SKIP_1) | instid1(VALU_DEP_1)
	v_fma_f32 v58, 0x3fb8aa3b, v56, -v57
	v_rndne_f32_e32 v59, v57
	v_dual_fmac_f32 v58, 0x32a5705f, v56 :: v_dual_sub_f32 v57, v57, v59
	v_cvt_i32_f32_e32 v59, v59
	s_delay_alu instid0(VALU_DEP_2) | instskip(SKIP_1) | instid1(VALU_DEP_2)
	v_add_f32_e32 v57, v57, v58
	v_sub_f32_e32 v58, v93, v192
	v_exp_f32_e32 v57, v57
	s_delay_alu instid0(VALU_DEP_1) | instskip(SKIP_2) | instid1(VALU_DEP_3)
	v_mul_f32_e32 v61, 0x3fb8aa3b, v58
	v_cmp_ngt_f32_e32 vcc_lo, 0xc2ce8ed0, v56
	v_cmp_ngt_f32_e64 s0, 0xc2ce8ed0, v58
	v_fma_f32 v75, 0x3fb8aa3b, v58, -v61
	v_rndne_f32_e32 v76, v61
	s_delay_alu instid0(TRANS32_DEP_1) | instskip(NEXT) | instid1(VALU_DEP_3)
	v_ldexp_f32 v57, v57, v59
	v_fmac_f32_e32 v75, 0x32a5705f, v58
	s_delay_alu instid0(VALU_DEP_3)
	v_sub_f32_e32 v61, v61, v76
	v_cvt_i32_f32_e32 v59, v76
	s_wait_alu 0xfffd
	v_cndmask_b32_e32 v57, 0, v57, vcc_lo
	v_cmp_nlt_f32_e32 vcc_lo, 0x42b17218, v56
	s_wait_alu 0xfffd
	s_delay_alu instid0(VALU_DEP_2) | instskip(NEXT) | instid1(VALU_DEP_1)
	v_dual_add_f32 v61, v61, v75 :: v_dual_cndmask_b32 v76, 0x7f800000, v57
	v_exp_f32_e32 v61, v61
	s_delay_alu instid0(VALU_DEP_1) | instskip(NEXT) | instid1(TRANS32_DEP_1)
	v_cvt_f16_f32_e32 v57, v76
	v_ldexp_f32 v59, v61, v59
	s_wait_alu 0xf1ff
	s_delay_alu instid0(VALU_DEP_1) | instskip(SKIP_2) | instid1(VALU_DEP_1)
	v_cndmask_b32_e64 v56, 0, v59, s0
	v_cmp_nlt_f32_e64 s0, 0x42b17218, v58
	s_wait_alu 0xf1ff
	v_cndmask_b32_e64 v75, 0x7f800000, v56, s0
	s_delay_alu instid0(VALU_DEP_1) | instskip(NEXT) | instid1(VALU_DEP_1)
	v_cvt_f16_f32_e32 v56, v75
	v_pack_b32_f16 v61, v56, v57
	ds_load_u16 v58, v239 offset:8320
	ds_load_u16 v57, v239 offset:7840
	;; [unrolled: 1-line block ×5, first 2 shown]
	s_wait_dscnt 0x4
	ds_load_u16_d16_hi v58, v239 offset:8560
	ds_load_u16 v98, v239 offset:8640
	ds_load_u16 v204, v239 offset:8832
	s_wait_dscnt 0x5
	ds_load_u16_d16_hi v59, v239 offset:9040
	s_wait_dscnt 0x1
	ds_load_u16_d16_hi v204, v239 offset:9072
	ds_load_u16 v209, v239 offset:11520
	ds_load_u16_d16_hi v92, v239 offset:7952
	ds_load_u16_d16_hi v84, v239 offset:7984
	;; [unrolled: 1-line block ×3, first 2 shown]
	ds_load_u16 v202, v239 offset:7872
	ds_load_u16_d16_hi v57, v239 offset:8080
	s_wait_dscnt 0x1
	ds_load_u16_d16_hi v202, v239 offset:8112
	ds_load_u16 v97, v239 offset:8160
	ds_load_u16 v93, v239 offset:8192
	ds_load_u16_d16_hi v98, v239 offset:8880
	ds_load_u16_d16_hi v96, v239 offset:7920
	s_wait_dscnt 0x5
	v_wmma_f16_16x16x16_f16 v[4:7], v[57:60], v[61:64], v[4:7]
	s_wait_dscnt 0x3
	ds_load_u16_d16_hi v97, v239 offset:8400
	s_wait_dscnt 0x3
	ds_load_u16_d16_hi v93, v239 offset:8432
	ds_load_u16_d16_hi v85, v239 offset:8464
	;; [unrolled: 1-line block ×3, first 2 shown]
	ds_load_u16 v203, v239 offset:8352
	ds_load_u16 v57, v239 offset:8288
	;; [unrolled: 1-line block ×5, first 2 shown]
	s_wait_dscnt 0x3
	ds_load_u16_d16_hi v57, v239 offset:8528
	s_wait_dscnt 0x3
	ds_load_u16_d16_hi v59, v241 offset:7808
	ds_load_u16 v140, v239 offset:8736
	s_wait_dscnt 0x4
	ds_load_u16_d16_hi v58, v239 offset:9008
	s_wait_dscnt 0x4
	ds_load_u16_d16_hi v56, v239 offset:8048
	v_wmma_f16_16x16x16_f16 v[24:27], v[96:99], v[61:64], v[24:27]
	s_wait_dscnt 0x2
	ds_load_u16_d16_hi v140, v239 offset:8976
	ds_load_u16 v94, v239 offset:8672
	ds_load_u16 v86, v239 offset:8704
	ds_load_u16_d16_hi v203, v239 offset:8592
	s_wait_dscnt 0x4
	v_wmma_f16_16x16x16_f16 v[8:11], v[56:59], v[61:64], v[8:11]
	v_sub_f32_e32 v56, v175, v192
	s_wait_dscnt 0x2
	ds_load_u16_d16_hi v94, v239 offset:8912
	s_wait_dscnt 0x2
	ds_load_u16_d16_hi v86, v239 offset:8944
	v_mul_f32_e32 v57, 0x3fb8aa3b, v56
	ds_load_u16 v110, v240 offset:11680
	ds_load_u16_d16_hi v205, v241 offset:7872
	ds_load_u16_d16_hi v212, v241 offset:11520
	;; [unrolled: 1-line block ×4, first 2 shown]
	ds_load_u16 v106, v240 offset:11616
	v_wmma_f16_16x16x16_f16 v[12:15], v[138:141], v[61:64], v[12:15]
	v_cmp_ngt_f32_e64 s2, 0xc2ce8ed0, v56
	s_wait_dscnt 0x5
	ds_load_u16_d16_hi v110, v241 offset:11680
	ds_load_u16_d16_hi v114, v241 offset:11712
	s_wait_dscnt 0x2
	ds_load_u16_d16_hi v106, v241 offset:11616
	v_fma_f32 v58, 0x3fb8aa3b, v56, -v57
	v_rndne_f32_e32 v59, v57
	v_wmma_f16_16x16x16_f16 v[20:23], v[92:95], v[61:64], v[20:23]
	v_wmma_f16_16x16x16_f16 v[16:19], v[84:87], v[61:64], v[16:19]
	;; [unrolled: 1-line block ×3, first 2 shown]
	s_delay_alu instid0(VALU_DEP_4)
	v_dual_fmac_f32 v58, 0x32a5705f, v56 :: v_dual_sub_f32 v57, v57, v59
	v_cvt_i32_f32_e32 v59, v59
	ds_load_u16 v210, v239 offset:12000
	ds_load_u16 v211, v239 offset:12480
	ds_load_u16_d16_hi v209, v239 offset:11760
	s_wait_dscnt 0x2
	ds_load_u16_d16_hi v210, v239 offset:12240
	s_wait_dscnt 0x2
	ds_load_u16_d16_hi v211, v239 offset:12720
	v_dual_add_f32 v57, v57, v58 :: v_dual_sub_f32 v58, v172, v192
	s_delay_alu instid0(VALU_DEP_1) | instskip(NEXT) | instid1(VALU_DEP_1)
	v_exp_f32_e32 v57, v57
	v_mul_f32_e32 v60, 0x3fb8aa3b, v58
	v_cmp_ngt_f32_e32 vcc_lo, 0xc2ce8ed0, v58
	s_delay_alu instid0(VALU_DEP_2) | instskip(SKIP_1) | instid1(TRANS32_DEP_1)
	v_fma_f32 v61, 0x3fb8aa3b, v58, -v60
	v_rndne_f32_e32 v62, v60
	v_ldexp_f32 v57, v57, v59
	s_delay_alu instid0(VALU_DEP_3) | instskip(NEXT) | instid1(VALU_DEP_3)
	v_fmac_f32_e32 v61, 0x32a5705f, v58
	v_sub_f32_e32 v60, v60, v62
	v_cvt_i32_f32_e32 v62, v62
	s_wait_alu 0xf1ff
	v_cndmask_b32_e64 v57, 0, v57, s2
	v_cmp_nlt_f32_e64 s2, 0x42b17218, v56
	v_dual_add_f32 v60, v60, v61 :: v_dual_sub_f32 v61, v178, v192
	s_delay_alu instid0(VALU_DEP_1) | instskip(NEXT) | instid1(VALU_DEP_1)
	v_exp_f32_e32 v60, v60
	v_mul_f32_e32 v63, 0x3fb8aa3b, v61
	v_cmp_ngt_f32_e64 s0, 0xc2ce8ed0, v61
	s_delay_alu instid0(VALU_DEP_2) | instskip(SKIP_1) | instid1(TRANS32_DEP_1)
	v_fma_f32 v64, 0x3fb8aa3b, v61, -v63
	v_rndne_f32_e32 v77, v63
	v_ldexp_f32 v60, v60, v62
	s_delay_alu instid0(VALU_DEP_3) | instskip(NEXT) | instid1(VALU_DEP_3)
	v_fmac_f32_e32 v64, 0x32a5705f, v61
	v_sub_f32_e32 v63, v63, v77
	v_cvt_i32_f32_e32 v59, v77
	s_wait_alu 0xfffd
	v_cndmask_b32_e32 v60, 0, v60, vcc_lo
	v_cmp_nlt_f32_e32 vcc_lo, 0x42b17218, v58
	v_add_f32_e32 v63, v63, v64
	v_sub_f32_e32 v64, v254, v192
	s_delay_alu instid0(VALU_DEP_1) | instskip(SKIP_1) | instid1(VALU_DEP_2)
	v_mul_f32_e32 v78, 0x3fb8aa3b, v64
	v_cmp_ngt_f32_e64 s1, 0xc2ce8ed0, v64
	v_fma_f32 v79, 0x3fb8aa3b, v64, -v78
	v_rndne_f32_e32 v80, v78
	s_delay_alu instid0(VALU_DEP_2) | instskip(NEXT) | instid1(VALU_DEP_2)
	v_fmac_f32_e32 v79, 0x32a5705f, v64
	v_sub_f32_e32 v78, v78, v80
	v_cvt_i32_f32_e32 v62, v80
	s_delay_alu instid0(VALU_DEP_2) | instskip(SKIP_3) | instid1(VALU_DEP_1)
	v_add_f32_e32 v78, v78, v79
	v_exp_f32_e32 v63, v63
	s_wait_alu 0xfffd
	v_cndmask_b32_e32 v79, 0x7f800000, v60, vcc_lo
	v_cvt_f16_f32_e32 v60, v79
	s_delay_alu instid0(TRANS32_DEP_1) | instskip(SKIP_2) | instid1(VALU_DEP_1)
	v_ldexp_f32 v59, v63, v59
	v_exp_f32_e32 v63, v78
	s_wait_alu 0xf1ff
	v_cndmask_b32_e64 v58, 0, v59, s0
	v_cmp_nlt_f32_e64 s0, 0x42b17218, v61
	s_delay_alu instid0(TRANS32_DEP_1) | instskip(SKIP_1) | instid1(VALU_DEP_2)
	v_ldexp_f32 v62, v63, v62
	s_wait_alu 0xf1ff
	v_cndmask_b32_e64 v77, 0x7f800000, v58, s0
	s_delay_alu instid0(VALU_DEP_2) | instskip(SKIP_2) | instid1(VALU_DEP_4)
	v_cndmask_b32_e64 v59, 0, v62, s1
	v_cmp_nlt_f32_e64 s1, 0x42b17218, v64
	v_cndmask_b32_e64 v64, 0x7f800000, v57, s2
	v_cvt_f16_f32_e32 v57, v77
	s_wait_alu 0xf1ff
	s_delay_alu instid0(VALU_DEP_3) | instskip(NEXT) | instid1(VALU_DEP_3)
	v_cndmask_b32_e64 v78, 0x7f800000, v59, s1
	v_cvt_f16_f32_e32 v56, v64
	s_delay_alu instid0(VALU_DEP_2) | instskip(NEXT) | instid1(VALU_DEP_1)
	v_cvt_f16_f32_e32 v58, v78
	v_pack_b32_f16 v59, v57, v58
	s_delay_alu instid0(VALU_DEP_3) | instskip(SKIP_1) | instid1(VALU_DEP_1)
	v_pack_b32_f16 v58, v56, v60
	v_sub_f32_e32 v56, v253, v192
	v_mul_f32_e32 v57, 0x3fb8aa3b, v56
	v_cmp_ngt_f32_e32 vcc_lo, 0xc2ce8ed0, v56
	s_delay_alu instid0(VALU_DEP_2) | instskip(SKIP_1) | instid1(VALU_DEP_1)
	v_fma_f32 v60, 0x3fb8aa3b, v56, -v57
	v_rndne_f32_e32 v61, v57
	v_dual_fmac_f32 v60, 0x32a5705f, v56 :: v_dual_sub_f32 v57, v57, v61
	v_cvt_i32_f32_e32 v61, v61
	s_delay_alu instid0(VALU_DEP_2) | instskip(SKIP_1) | instid1(VALU_DEP_2)
	v_add_f32_e32 v57, v57, v60
	v_sub_f32_e32 v60, v252, v192
	v_exp_f32_e32 v57, v57
	s_delay_alu instid0(VALU_DEP_1) | instskip(SKIP_1) | instid1(VALU_DEP_2)
	v_mul_f32_e32 v62, 0x3fb8aa3b, v60
	v_cmp_ngt_f32_e64 s0, 0xc2ce8ed0, v60
	v_fma_f32 v63, 0x3fb8aa3b, v60, -v62
	v_rndne_f32_e32 v80, v62
	s_delay_alu instid0(TRANS32_DEP_1) | instskip(NEXT) | instid1(VALU_DEP_3)
	v_ldexp_f32 v57, v57, v61
	v_fmac_f32_e32 v63, 0x32a5705f, v60
	s_delay_alu instid0(VALU_DEP_3)
	v_sub_f32_e32 v62, v62, v80
	v_cvt_i32_f32_e32 v61, v80
	s_wait_alu 0xfffd
	v_cndmask_b32_e32 v57, 0, v57, vcc_lo
	v_cmp_nlt_f32_e32 vcc_lo, 0x42b17218, v56
	s_wait_alu 0xfffd
	s_delay_alu instid0(VALU_DEP_2) | instskip(NEXT) | instid1(VALU_DEP_1)
	v_dual_add_f32 v62, v62, v63 :: v_dual_cndmask_b32 v81, 0x7f800000, v57
	v_exp_f32_e32 v62, v62
	s_delay_alu instid0(VALU_DEP_1) | instskip(NEXT) | instid1(TRANS32_DEP_1)
	v_cvt_f16_f32_e32 v57, v81
	v_ldexp_f32 v61, v62, v61
	s_wait_alu 0xf1ff
	s_delay_alu instid0(VALU_DEP_1) | instskip(SKIP_2) | instid1(VALU_DEP_1)
	v_cndmask_b32_e64 v56, 0, v61, s0
	v_cmp_nlt_f32_e64 s0, 0x42b17218, v60
	s_wait_alu 0xf1ff
	v_cndmask_b32_e64 v80, 0x7f800000, v56, s0
	s_delay_alu instid0(VALU_DEP_1) | instskip(NEXT) | instid1(VALU_DEP_1)
	v_cvt_f16_f32_e32 v56, v80
	v_pack_b32_f16 v57, v56, v57
	v_sub_f32_e32 v56, v251, v192
	s_delay_alu instid0(VALU_DEP_1) | instskip(SKIP_1) | instid1(VALU_DEP_2)
	v_mul_f32_e32 v60, 0x3fb8aa3b, v56
	v_cmp_ngt_f32_e32 vcc_lo, 0xc2ce8ed0, v56
	v_fma_f32 v61, 0x3fb8aa3b, v56, -v60
	v_rndne_f32_e32 v62, v60
	s_delay_alu instid0(VALU_DEP_1) | instskip(SKIP_1) | instid1(VALU_DEP_2)
	v_dual_fmac_f32 v61, 0x32a5705f, v56 :: v_dual_sub_f32 v60, v60, v62
	v_cvt_i32_f32_e32 v62, v62
	v_add_f32_e32 v60, v60, v61
	v_sub_f32_e32 v61, v108, v192
	ds_load_u16 v107, v239 offset:11680
	ds_load_u16 v108, v239 offset:12160
	s_wait_dscnt 0x1
	ds_load_u16_d16_hi v107, v239 offset:11920
	s_wait_dscnt 0x1
	ds_load_u16_d16_hi v108, v239 offset:12400
	v_mul_f32_e32 v63, 0x3fb8aa3b, v61
	v_exp_f32_e32 v60, v60
	v_cmp_ngt_f32_e64 s0, 0xc2ce8ed0, v61
	s_delay_alu instid0(VALU_DEP_2) | instskip(SKIP_1) | instid1(VALU_DEP_1)
	v_fma_f32 v82, 0x3fb8aa3b, v61, -v63
	v_rndne_f32_e32 v83, v63
	v_dual_fmac_f32 v82, 0x32a5705f, v61 :: v_dual_sub_f32 v63, v63, v83
	s_delay_alu instid0(TRANS32_DEP_1) | instskip(SKIP_2) | instid1(VALU_DEP_2)
	v_ldexp_f32 v60, v60, v62
	v_cvt_i32_f32_e32 v62, v83
	s_wait_alu 0xfffd
	v_dual_add_f32 v63, v63, v82 :: v_dual_cndmask_b32 v60, 0, v60
	v_cmp_nlt_f32_e32 vcc_lo, 0x42b17218, v56
	s_delay_alu instid0(VALU_DEP_2) | instskip(SKIP_1) | instid1(VALU_DEP_2)
	v_exp_f32_e32 v63, v63
	s_wait_alu 0xfffd
	v_cndmask_b32_e32 v83, 0x7f800000, v60, vcc_lo
	v_cmp_lt_i32_e32 vcc_lo, s94, v226
	s_delay_alu instid0(VALU_DEP_2) | instskip(SKIP_1) | instid1(TRANS32_DEP_1)
	v_cvt_f16_f32_e32 v60, v83
	s_and_b32 vcc_lo, exec_lo, vcc_lo
	v_ldexp_f32 v62, v63, v62
	s_wait_alu 0xf1ff
	s_delay_alu instid0(VALU_DEP_1) | instskip(SKIP_2) | instid1(VALU_DEP_1)
	v_cndmask_b32_e64 v56, 0, v62, s0
	v_cmp_nlt_f32_e64 s0, 0x42b17218, v61
	s_wait_alu 0xf1ff
	v_cndmask_b32_e64 v82, 0x7f800000, v56, s0
	s_delay_alu instid0(VALU_DEP_1) | instskip(NEXT) | instid1(VALU_DEP_1)
	v_cvt_f16_f32_e32 v56, v82
	v_pack_b32_f16 v56, v56, v60
	ds_load_u16 v62, v239 offset:12608
	ds_load_u16 v63, v240 offset:11648
	;; [unrolled: 1-line block ×4, first 2 shown]
	s_wait_dscnt 0x3
	ds_load_u16_d16_hi v62, v239 offset:12848
	ds_load_u16 v103, v239 offset:11616
	s_wait_dscnt 0x3
	ds_load_u16_d16_hi v60, v239 offset:11888
	s_wait_dscnt 0x3
	ds_load_u16_d16_hi v61, v239 offset:12368
	;; [unrolled: 2-line block ×3, first 2 shown]
	ds_load_u16_d16_hi v63, v241 offset:11648
	ds_load_u16 v99, v239 offset:11584
	v_wmma_f16_16x16x16_f16 v[24:27], v[209:212], v[56:59], v[24:27]
	v_wmma_f16_16x16x16_f16 v[4:7], v[107:110], v[56:59], v[4:7]
	v_wmma_f16_16x16x16_f16 v[20:23], v[68:71], v[56:59], v[20:23]
	v_wmma_f16_16x16x16_f16 v[0:3], v[111:114], v[56:59], v[0:3]
	s_wait_dscnt 0x2
	v_wmma_f16_16x16x16_f16 v[12:15], v[103:106], v[56:59], v[12:15]
	s_wait_dscnt 0x1
	v_wmma_f16_16x16x16_f16 v[8:11], v[60:63], v[56:59], v[8:11]
	s_wait_dscnt 0x0
	ds_load_u16_d16_hi v99, v239 offset:11824
	s_wait_loadcnt_dscnt 0x0
	s_barrier_signal -1
	s_barrier_wait -1
	global_inv scope:SCOPE_SE
	v_wmma_f16_16x16x16_f16 v[16:19], v[99:102], v[56:59], v[16:19]
	v_dual_add_f32 v56, v199, v200 :: v_dual_mov_b32 v57, v185
	s_delay_alu instid0(VALU_DEP_1) | instskip(NEXT) | instid1(VALU_DEP_1)
	v_add_f32_e32 v56, v196, v56
	v_add_f32_e32 v56, v197, v56
	s_delay_alu instid0(VALU_DEP_1) | instskip(NEXT) | instid1(VALU_DEP_1)
	v_add_f32_e32 v56, v191, v56
	v_add_f32_e32 v56, v176, v56
	;; [unrolled: 3-line block ×15, first 2 shown]
	s_delay_alu instid0(VALU_DEP_1)
	v_fmac_f32_e32 v185, v57, v198
	s_wait_alu 0xfffe
	s_cbranch_vccnz .LBB19_653
; %bb.654:
	s_clause 0x1f
	scratch_load_b32 v140, off, off offset:264
	scratch_load_b64 v[58:59], off, off offset:268
	scratch_load_b32 v181, off, off offset:276
	scratch_load_b32 v176, off, off
	scratch_load_b32 v180, off, off offset:8
	scratch_load_b32 v123, off, off offset:16
	;; [unrolled: 1-line block ×28, first 2 shown]
	s_clause 0x2
	scratch_load_b32 v89, off, off offset:124
	scratch_load_b32 v90, off, off offset:128
	;; [unrolled: 1-line block ×3, first 2 shown]
	v_dual_mov_b32 v57, s35 :: v_dual_mov_b32 v56, s34
	v_dual_mov_b32 v67, s27 :: v_dual_mov_b32 v66, s26
	v_lshl_add_u32 v169, v186, 2, 0
	v_dual_mov_b32 v113, 32 :: v_dual_add_nc_u32 v170, 16, v168
	v_add_nc_u32_e32 v171, 32, v168
	v_lshl_add_u32 v172, v174, 2, 0
	v_add_nc_u32_e32 v175, 48, v168
	v_add_nc_u32_e32 v177, 48, v173
	;; [unrolled: 1-line block ×4, first 2 shown]
	v_lshlrev_b32_e32 v189, 1, v186
	v_mul_u32_u24_e32 v82, 0xf0, v186
	v_mul_u32_u24_e32 v87, 0xf0, v173
	s_wait_loadcnt 0x21
	v_dual_mov_b32 v141, v58 :: v_dual_add_nc_u32 v138, 48, v140
	v_add_nc_u32_e32 v139, 32, v140
	s_branch .LBB19_656
.LBB19_655:
	v_dual_mov_b32 v3, 0 :: v_dual_mov_b32 v192, 0xfeffffff
	s_delay_alu instid0(VALU_DEP_1)
	v_dual_mov_b32 v2, v3 :: v_dual_mov_b32 v1, v3
	v_dual_mov_b32 v0, v3 :: v_dual_mov_b32 v27, v3
	;; [unrolled: 1-line block ×13, first 2 shown]
	v_mov_b32_e32 v4, v3
.LBB19_656:
	s_lshl_b32 s0, s94, 6
	v_lshlrev_b64_e32 v[58:59], 1, v[152:153]
	s_wait_alu 0xfffe
	s_ashr_i32 s1, s0, 31
	v_lshlrev_b64_e32 v[60:61], 1, v[154:155]
	s_wait_alu 0xfffe
	s_lshl_b64 s[2:3], s[0:1], 1
	v_lshlrev_b64_e32 v[62:63], 1, v[156:157]
	s_wait_alu 0xfffe
	s_add_nc_u64 s[2:3], s[12:13], s[2:3]
	v_lshlrev_b64_e32 v[64:65], 1, v[160:161]
	s_wait_alu 0xfffe
	v_add_co_u32 v76, s2, s2, v225
	s_wait_alu 0xf1ff
	v_add_co_ci_u32_e64 v77, null, s3, 0, s2
	v_lshlrev_b64_e32 v[68:69], 1, v[162:163]
	s_delay_alu instid0(VALU_DEP_3) | instskip(SKIP_1) | instid1(VALU_DEP_3)
	v_add_co_u32 v74, vcc_lo, v76, v58
	s_wait_alu 0xfffd
	v_add_co_ci_u32_e64 v75, null, v77, v59, vcc_lo
	v_lshlrev_b64_e32 v[58:59], 1, v[150:151]
	v_lshlrev_b64_e32 v[70:71], 1, v[158:159]
	;; [unrolled: 1-line block ×3, first 2 shown]
	v_mul_lo_u32 v67, s0, v67
	s_delay_alu instid0(VALU_DEP_4)
	v_add_co_u32 v58, vcc_lo, v76, v58
	s_wait_alu 0xfffd
	v_add_co_ci_u32_e64 v59, null, v77, v59, vcc_lo
	v_add_co_u32 v60, vcc_lo, v76, v60
	s_wait_alu 0xfffd
	v_add_co_ci_u32_e64 v61, null, v77, v61, vcc_lo
	;; [unrolled: 3-line block ×7, first 2 shown]
	s_clause 0x7
	global_load_b32 v74, v[74:75], off
	global_load_b32 v58, v[58:59], off
	;; [unrolled: 1-line block ×8, first 2 shown]
	v_add_nc_u32_e32 v65, 0, v225
	v_mul_lo_u32 v76, s1, v66
	s_delay_alu instid0(VALU_DEP_2) | instskip(NEXT) | instid1(VALU_DEP_2)
	v_add_nc_u32_e32 v68, v65, v193
	v_add_nc_u32_e32 v67, v67, v76
	v_mul_hi_u32 v76, s0, v66
	v_mul_lo_u32 v66, s0, v66
	s_delay_alu instid0(VALU_DEP_2)
	v_add_nc_u32_e32 v67, v67, v76
	s_wait_loadcnt 0x7
	ds_store_b32 v68, v74 offset:15360
	v_add_nc_u32_e32 v68, v65, v78
	s_wait_loadcnt 0x6
	ds_store_b32 v68, v58 offset:15360
	;; [unrolled: 3-line block ×4, first 2 shown]
	v_add_nc_u32_e32 v58, v65, v81
	v_lshlrev_b32_e32 v81, 2, v183
	s_wait_loadcnt 0x3
	ds_store_b32 v58, v61 offset:15360
	v_add_nc_u32_e32 v58, v65, v215
	s_wait_loadcnt 0x2
	ds_store_b32 v58, v62 offset:15360
	v_add_nc_u32_e32 v58, v65, v83
	s_wait_loadcnt 0x1
	ds_store_b32 v58, v63 offset:15360
	v_add_nc_u32_e32 v58, v65, v84
	v_lshlrev_b64_e32 v[62:63], 2, v[130:131]
	s_wait_loadcnt 0x0
	ds_store_b32 v58, v64 offset:15360
	v_lshlrev_b32_e32 v58, 2, v130
	s_delay_alu instid0(VALU_DEP_1) | instskip(SKIP_1) | instid1(VALU_DEP_1)
	v_add3_u32 v68, 0, v86, v58
	v_lshlrev_b64_e32 v[58:59], 2, v[66:67]
	v_add_co_u32 v79, vcc_lo, s10, v58
	s_wait_alu 0xfffd
	s_delay_alu instid0(VALU_DEP_2) | instskip(SKIP_1) | instid1(VALU_DEP_1)
	v_add_co_ci_u32_e64 v80, null, s11, v59, vcc_lo
	v_lshlrev_b64_e32 v[58:59], 2, v[132:133]
	v_add_co_u32 v60, vcc_lo, v79, v58
	s_wait_alu 0xfffd
	s_delay_alu instid0(VALU_DEP_2) | instskip(SKIP_1) | instid1(VALU_DEP_1)
	v_add_co_ci_u32_e64 v61, null, v80, v59, vcc_lo
	v_lshlrev_b64_e32 v[58:59], 2, v[134:135]
	v_add_co_u32 v64, vcc_lo, v79, v58
	s_wait_alu 0xfffd
	s_delay_alu instid0(VALU_DEP_2) | instskip(SKIP_4) | instid1(VALU_DEP_1)
	v_add_co_ci_u32_e64 v65, null, v80, v59, vcc_lo
	v_add_co_u32 v58, vcc_lo, v60, v62
	s_wait_alu 0xfffd
	v_add_co_ci_u32_e64 v59, null, v61, v63, vcc_lo
	v_lshlrev_b64_e32 v[60:61], 2, v[213:214]
	v_add_co_u32 v69, vcc_lo, v64, v60
	s_wait_alu 0xfffd
	s_delay_alu instid0(VALU_DEP_2)
	v_add_co_ci_u32_e64 v70, null, v65, v61, vcc_lo
	s_clause 0x1
	global_load_b128 v[64:67], v[58:59], off
	global_load_b128 v[69:72], v[69:70], off
	v_lshlrev_b32_e32 v58, 2, v213
	s_wait_loadcnt 0x1
	ds_store_b128 v68, v[64:67]
	v_add3_u32 v67, 0, v85, v58
	v_add3_u32 v66, 0, v88, v58
	v_lshlrev_b64_e32 v[58:59], 2, v[136:137]
	s_wait_loadcnt 0x0
	ds_store_b128 v67, v[69:72]
	v_add_co_u32 v64, vcc_lo, v79, v58
	s_wait_alu 0xfffd
	v_add_co_ci_u32_e64 v65, null, v80, v59, vcc_lo
	v_lshlrev_b64_e32 v[58:59], 2, v[142:143]
	s_delay_alu instid0(VALU_DEP_1) | instskip(SKIP_1) | instid1(VALU_DEP_2)
	v_add_co_u32 v69, vcc_lo, v79, v58
	s_wait_alu 0xfffd
	v_add_co_ci_u32_e64 v70, null, v80, v59, vcc_lo
	v_lshlrev_b64_e32 v[58:59], 2, v[183:184]
	v_add_co_u32 v64, vcc_lo, v64, v60
	s_wait_alu 0xfffd
	v_add_co_ci_u32_e64 v65, null, v65, v61, vcc_lo
	s_delay_alu instid0(VALU_DEP_3)
	v_add_co_u32 v73, vcc_lo, v69, v58
	s_wait_alu 0xfffd
	v_add_co_ci_u32_e64 v74, null, v70, v59, vcc_lo
	s_clause 0x1
	global_load_b128 v[69:72], v[64:65], off
	global_load_b128 v[73:76], v[73:74], off
	v_lshlrev_b64_e32 v[64:65], 2, v[144:145]
	s_wait_loadcnt 0x1
	ds_store_b128 v66, v[69:72]
	v_add_co_u32 v70, vcc_lo, v79, v64
	s_wait_alu 0xfffd
	v_add_co_ci_u32_e64 v71, null, v80, v65, vcc_lo
	v_lshlrev_b64_e32 v[64:65], 2, v[146:147]
	v_add3_u32 v69, 0, v87, v81
	s_delay_alu instid0(VALU_DEP_2)
	v_add_co_u32 v72, vcc_lo, v79, v64
	s_wait_loadcnt 0x0
	ds_store_b128 v69, v[73:76]
	s_wait_alu 0xfffd
	v_add_co_ci_u32_e64 v73, null, v80, v65, vcc_lo
	v_add_co_u32 v64, vcc_lo, v70, v58
	s_wait_alu 0xfffd
	v_add_co_ci_u32_e64 v65, null, v71, v59, vcc_lo
	v_add_co_u32 v75, vcc_lo, v72, v58
	s_wait_alu 0xfffd
	v_add_co_ci_u32_e64 v76, null, v73, v59, vcc_lo
	s_clause 0x1
	global_load_b128 v[71:74], v[64:65], off
	global_load_b128 v[75:78], v[75:76], off
	v_lshlrev_b64_e32 v[64:65], 2, v[148:149]
	v_add3_u32 v70, 0, v89, v81
	s_delay_alu instid0(VALU_DEP_2) | instskip(SKIP_1) | instid1(VALU_DEP_3)
	v_add_co_u32 v64, vcc_lo, v79, v64
	s_wait_alu 0xfffd
	v_add_co_ci_u32_e64 v65, null, v80, v65, vcc_lo
	s_delay_alu instid0(VALU_DEP_2) | instskip(SKIP_1) | instid1(VALU_DEP_2)
	v_add_co_u32 v64, vcc_lo, v64, v58
	s_wait_alu 0xfffd
	v_add_co_ci_u32_e64 v65, null, v65, v59, vcc_lo
	v_cmp_lt_i32_e32 vcc_lo, v195, v113
	s_wait_loadcnt 0x1
	ds_store_b128 v70, v[71:74]
	v_add3_u32 v71, 0, v90, v81
	v_add3_u32 v72, 0, v91, v81
	s_wait_loadcnt 0x0
	ds_store_b128 v71, v[75:78]
	global_load_b128 v[73:76], v[64:65], off
	v_add3_u32 v64, 0, v82, v180
	s_wait_loadcnt 0x0
	ds_store_b128 v72, v[73:76]
	s_wait_dscnt 0x0
	s_barrier_signal -1
	s_barrier_wait -1
	global_inv scope:SCOPE_SE
	ds_load_b128 v[81:84], v64
	ds_load_b128 v[85:88], v64 offset:32
	ds_load_b128 v[89:92], v64 offset:3840
	;; [unrolled: 1-line block ×4, first 2 shown]
	s_wait_dscnt 0x4
	v_wmma_f32_16x16x16_f16 v[73:80], v[81:84], v[52:55], 0
	s_wait_dscnt 0x3
	s_delay_alu instid0(VALU_DEP_1)
	v_wmma_f32_16x16x16_f16 v[73:80], v[85:88], v[48:51], v[73:80]
	s_wait_dscnt 0x2
	v_wmma_f32_16x16x16_f16 v[81:88], v[89:92], v[52:55], 0
	ds_load_b128 v[89:92], v64 offset:3904
	s_wait_dscnt 0x2
	v_wmma_f32_16x16x16_f16 v[81:88], v[93:96], v[48:51], v[81:88]
	ds_load_b128 v[93:96], v64 offset:7680
	ds_load_b128 v[109:112], v64 offset:7712
	s_wait_dscnt 0x2
	v_wmma_f32_16x16x16_f16 v[81:88], v[89:92], v[44:47], v[81:88]
	s_wait_dscnt 0x1
	v_wmma_f32_16x16x16_f16 v[97:104], v[93:96], v[52:55], 0
	s_wait_dscnt 0x0
	s_delay_alu instid0(VALU_DEP_1)
	v_wmma_f32_16x16x16_f16 v[97:104], v[109:112], v[48:51], v[97:104]
	ds_load_b128 v[93:96], v64 offset:11520
	ds_load_b128 v[109:112], v64 offset:7872
	s_wait_dscnt 0x1
	v_wmma_f32_16x16x16_f16 v[130:137], v[93:96], v[52:55], 0
	ds_load_b128 v[52:55], v64 offset:11552
	ds_load_b128 v[93:96], v64 offset:11584
	s_wait_dscnt 0x1
	;; [unrolled: 4-line block ×3, first 2 shown]
	v_wmma_f32_16x16x16_f16 v[130:137], v[93:96], v[44:47], v[130:137]
	s_wait_dscnt 0x1
	v_wmma_f32_16x16x16_f16 v[73:80], v[48:51], v[44:47], v[73:80]
	ds_load_b128 v[48:51], v64 offset:7744
	ds_load_b128 v[89:92], v64 offset:7776
	s_wait_dscnt 0x2
	v_wmma_f32_16x16x16_f16 v[73:80], v[52:55], v[40:43], v[73:80]
	s_wait_dscnt 0x1
	v_wmma_f32_16x16x16_f16 v[97:104], v[48:51], v[44:47], v[97:104]
	ds_load_b128 v[44:47], v64 offset:3936
	ds_load_b128 v[48:51], v64 offset:3968
	s_wait_dscnt 0x2
	;; [unrolled: 6-line block ×5, first 2 shown]
	v_wmma_f32_16x16x16_f16 v[73:80], v[44:47], v[32:35], v[73:80]
	s_delay_alu instid0(VALU_DEP_1)
	v_wmma_f32_16x16x16_f16 v[73:80], v[105:108], v[28:31], v[73:80]
	s_wait_dscnt 0x1
	v_wmma_f32_16x16x16_f16 v[97:104], v[40:43], v[36:39], v[97:104]
	ds_load_b128 v[36:39], v64 offset:4000
	ds_load_b128 v[40:43], v64 offset:4032
	s_wait_dscnt 0x2
	v_wmma_f32_16x16x16_f16 v[97:104], v[48:51], v[32:35], v[97:104]
	s_delay_alu instid0(VALU_DEP_1)
	v_wmma_f32_16x16x16_f16 v[97:104], v[109:112], v[28:31], v[97:104]
	s_wait_dscnt 0x1
	v_wmma_f32_16x16x16_f16 v[81:88], v[36:39], v[32:35], v[81:88]
	ds_load_b128 v[36:39], v64 offset:11680
	ds_load_b128 v[44:47], v64 offset:11712
	s_wait_loadcnt_dscnt 0x0
	s_barrier_signal -1
	s_barrier_wait -1
	v_wmma_f32_16x16x16_f16 v[81:88], v[40:43], v[28:31], v[81:88]
	global_inv scope:SCOPE_SE
	v_wmma_f32_16x16x16_f16 v[130:137], v[36:39], v[32:35], v[130:137]
	s_delay_alu instid0(VALU_DEP_1) | instskip(SKIP_1) | instid1(VALU_DEP_1)
	v_wmma_f32_16x16x16_f16 v[130:137], v[44:47], v[28:31], v[130:137]
	v_add_nc_u32_e32 v36, 0, v210
	v_lshl_add_u32 v28, v211, 2, v36
	v_lshl_add_u32 v29, v206, 2, v36
	;; [unrolled: 1-line block ×7, first 2 shown]
	ds_load_b32 v35, v29 offset:15360
	ds_load_b32 v37, v30 offset:15360
	;; [unrolled: 1-line block ×6, first 2 shown]
	v_add_nc_u32_e32 v29, 0x3c00, v28
	ds_load_b32 v30, v28 offset:15368
	ds_load_2addr_b32 v[28:29], v29 offset1:1
	s_wait_dscnt 0x7
	v_lshrrev_b32_e32 v32, 16, v35
	v_cvt_f32_f16_e32 v42, v35
	s_wait_dscnt 0x3
	v_lshrrev_b32_e32 v45, 16, v40
	s_delay_alu instid0(VALU_DEP_3)
	v_cvt_f32_f16_e32 v44, v32
	v_cvt_f32_f16_e32 v40, v40
	s_wait_dscnt 0x1
	v_cvt_f32_f16_e32 v34, v30
	s_wait_dscnt 0x0
	v_cvt_f32_f16_e32 v31, v28
	v_lshrrev_b32_e32 v28, 16, v28
	v_lshrrev_b32_e32 v30, 16, v30
	v_cvt_f32_f16_e32 v33, v29
	v_lshrrev_b32_e32 v29, 16, v29
	v_cvt_f32_f16_e32 v45, v45
	v_cvt_f32_f16_e32 v35, v28
	;; [unrolled: 1-line block ×3, first 2 shown]
	v_add_f32_e32 v28, v73, v31
	v_cvt_f32_f16_e32 v43, v29
	s_delay_alu instid0(VALU_DEP_4)
	v_dual_add_f32 v31, v79, v42 :: v_dual_add_f32 v32, v74, v35
	v_add_f32_e32 v35, v77, v34
	v_add_f32_e32 v34, v78, v30
	;; [unrolled: 1-line block ×3, first 2 shown]
	v_cvt_f32_f16_e32 v42, v37
	v_lshrrev_b32_e32 v37, 16, v37
	v_cvt_f32_f16_e32 v44, v39
	v_lshrrev_b32_e32 v39, 16, v39
	v_add_f32_e32 v29, v75, v33
	v_add_f32_e32 v33, v76, v43
	v_cvt_f32_f16_e32 v43, v38
	v_lshrrev_b32_e32 v38, 16, v38
	v_cvt_f32_f16_e32 v46, v37
	v_cvt_f32_f16_e32 v39, v39
	v_add_f32_e32 v54, v87, v40
	v_lshl_add_u32 v40, v200, 2, v36
	v_cvt_f32_f16_e32 v47, v38
	v_add_f32_e32 v38, v82, v46
	v_cvt_f32_f16_e32 v46, v41
	v_add_f32_e32 v64, v86, v39
	v_lshl_add_u32 v39, v199, 2, v36
	v_dual_add_f32 v37, v81, v42 :: v_dual_add_f32 v50, v84, v47
	v_lshl_add_u32 v42, v201, 2, v36
	v_add_f32_e32 v49, v83, v43
	v_lshl_add_u32 v43, v114, 2, v36
	v_add_f32_e32 v65, v85, v44
	v_add_f32_e32 v53, v88, v45
	v_lshl_add_u32 v44, v198, 2, v36
	v_lshl_add_u32 v45, v203, 2, v36
	;; [unrolled: 1-line block ×3, first 2 shown]
	ds_load_b32 v39, v39 offset:15360
	ds_load_b32 v40, v40 offset:15360
	;; [unrolled: 1-line block ×7, first 2 shown]
	v_lshrrev_b32_e32 v41, 16, v41
	v_add_f32_e32 v91, v97, v46
	s_delay_alu instid0(VALU_DEP_2) | instskip(NEXT) | instid1(VALU_DEP_1)
	v_cvt_f32_f16_e32 v41, v41
	v_add_f32_e32 v96, v98, v41
	s_wait_dscnt 0x6
	v_cvt_f32_f16_e32 v47, v39
	v_lshrrev_b32_e32 v39, 16, v39
	s_wait_dscnt 0x5
	v_cvt_f32_f16_e32 v48, v40
	v_lshrrev_b32_e32 v40, 16, v40
	s_wait_dscnt 0x4
	v_lshrrev_b32_e32 v51, 16, v42
	v_cvt_f32_f16_e32 v42, v42
	v_cvt_f32_f16_e32 v39, v39
	s_wait_dscnt 0x2
	v_cvt_f32_f16_e32 v41, v44
	v_cvt_f32_f16_e32 v40, v40
	v_add_f32_e32 v110, v101, v48
	v_add_f32_e32 v108, v103, v42
	;; [unrolled: 1-line block ×3, first 2 shown]
	v_cvt_f32_f16_e32 v39, v43
	v_add_f32_e32 v109, v102, v40
	v_lshrrev_b32_e32 v40, 16, v43
	v_lshrrev_b32_e32 v42, 16, v44
	s_wait_dscnt 0x1
	v_cvt_f32_f16_e32 v43, v45
	v_lshrrev_b32_e32 v44, 16, v45
	s_wait_dscnt 0x0
	v_lshrrev_b32_e32 v45, 16, v36
	v_cvt_f32_f16_e32 v36, v36
	v_cvt_f32_f16_e32 v40, v40
	v_dual_add_f32 v84, v130, v39 :: v_dual_add_f32 v39, 0x40051340, v32
	v_add_f32_e32 v107, v134, v43
	s_delay_alu instid0(VALU_DEP_4)
	v_add_f32_e32 v105, v136, v36
	v_add_f32_e32 v36, 0x40051340, v28
	v_add_f32_e32 v88, v131, v40
	v_add_f32_e32 v40, 0x40051340, v33
	v_cvt_f32_f16_e32 v42, v42
	v_add_f32_e32 v97, v99, v47
	v_max3_num_f32 v36, v192, v36, v39
	v_add_f32_e32 v39, 0x40051340, v29
	v_cvt_f32_f16_e32 v44, v44
	v_add_f32_e32 v92, v133, v42
	v_cvt_f32_f16_e32 v45, v45
	v_add_f32_e32 v89, v132, v41
	v_max3_num_f32 v36, v36, v39, v40
	v_dual_add_f32 v39, 0x40051340, v35 :: v_dual_add_f32 v40, 0x40051340, v34
	v_add_f32_e32 v106, v135, v44
	v_cvt_f32_f16_e32 v51, v51
	v_add_f32_e32 v93, v137, v45
	s_delay_alu instid0(VALU_DEP_4) | instskip(SKIP_1) | instid1(VALU_DEP_4)
	v_max3_num_f32 v36, v36, v39, v40
	v_dual_add_f32 v39, 0x40051340, v31 :: v_dual_add_f32 v40, 0x40051340, v30
	v_add_f32_e32 v101, v104, v51
	s_delay_alu instid0(VALU_DEP_2) | instskip(SKIP_1) | instid1(VALU_DEP_1)
	v_max3_num_f32 v36, v36, v39, v40
	v_dual_add_f32 v39, 0x40051340, v37 :: v_dual_add_f32 v40, 0x40051340, v38
	v_max3_num_f32 v36, v36, v39, v40
	v_dual_add_f32 v39, 0x40051340, v49 :: v_dual_add_f32 v40, 0x40051340, v50
	s_delay_alu instid0(VALU_DEP_1) | instskip(SKIP_1) | instid1(VALU_DEP_1)
	v_max3_num_f32 v36, v36, v39, v40
	v_dual_add_f32 v39, 0x40051340, v65 :: v_dual_add_f32 v40, 0x40051340, v64
	v_max3_num_f32 v36, v36, v39, v40
	v_dual_add_f32 v39, 0x40051340, v54 :: v_dual_add_f32 v40, 0x40051340, v53
	s_delay_alu instid0(VALU_DEP_1) | instskip(SKIP_1) | instid1(VALU_DEP_1)
	;; [unrolled: 5-line block ×3, first 2 shown]
	v_max3_num_f32 v36, v36, v39, v40
	v_dual_add_f32 v39, 0x40051340, v110 :: v_dual_add_f32 v40, 0x40051340, v109
	v_max3_num_f32 v36, v36, v39, v40
	v_dual_add_f32 v39, 0x40051340, v108 :: v_dual_add_f32 v40, 0x40051340, v101
	s_delay_alu instid0(VALU_DEP_1) | instskip(SKIP_2) | instid1(VALU_DEP_1)
	v_max3_num_f32 v36, v36, v39, v40
	v_add_f32_e32 v39, 0x40051340, v84
	v_add_f32_e32 v40, 0x40051340, v88
	v_max3_num_f32 v36, v36, v39, v40
	v_dual_add_f32 v39, 0x40051340, v89 :: v_dual_add_f32 v40, 0x40051340, v92
	s_delay_alu instid0(VALU_DEP_1) | instskip(SKIP_1) | instid1(VALU_DEP_1)
	v_max3_num_f32 v36, v36, v39, v40
	v_dual_add_f32 v39, 0x40051340, v107 :: v_dual_add_f32 v40, 0x40051340, v106
	v_max3_num_f32 v36, v36, v39, v40
	v_add_f32_e32 v39, 0x40051340, v105
	v_add_f32_e32 v40, 0x40051340, v93
	s_delay_alu instid0(VALU_DEP_1) | instskip(SKIP_2) | instid1(VALU_DEP_1)
	v_max3_num_f32 v36, v36, v39, v40
	s_wait_alu 0xfffd
	v_cndmask_b32_e32 v39, v194, v195, vcc_lo
	v_lshlrev_b32_e32 v104, 2, v39
	ds_bpermute_b32 v39, v104, v36
	s_wait_dscnt 0x0
	v_max_num_f32_e32 v39, v39, v39
	s_delay_alu instid0(VALU_DEP_1) | instskip(NEXT) | instid1(VALU_DEP_1)
	v_max_num_f32_e32 v103, v36, v39
	v_sub_f32_e32 v36, v192, v103
	v_sub_f32_e32 v35, v35, v103
	;; [unrolled: 1-line block ×5, first 2 shown]
	v_dual_mul_f32 v39, 0x3fb8aa3b, v36 :: v_dual_sub_f32 v30, v30, v103
	v_sub_f32_e32 v32, v32, v103
	v_cmp_ngt_f32_e64 s2, 0xc2ce8ed0, v35
	v_sub_f32_e32 v29, v29, v103
	s_delay_alu instid0(VALU_DEP_4) | instskip(SKIP_2) | instid1(VALU_DEP_2)
	v_fma_f32 v40, 0x3fb8aa3b, v36, -v39
	v_rndne_f32_e32 v41, v39
	v_sub_f32_e32 v28, v28, v103
	v_dual_fmac_f32 v40, 0x32a5705f, v36 :: v_dual_sub_f32 v39, v39, v41
	s_delay_alu instid0(VALU_DEP_1)
	v_add_f32_e32 v39, v39, v40
	v_cvt_i32_f32_e32 v40, v41
	v_cmp_ngt_f32_e32 vcc_lo, 0xc2ce8ed0, v36
	v_lshlrev_b64_e32 v[41:42], 2, v[117:118]
	v_add3_u32 v118, 0, v123, v189
	v_exp_f32_e32 v39, v39
	s_delay_alu instid0(TRANS32_DEP_1) | instskip(SKIP_2) | instid1(VALU_DEP_2)
	v_ldexp_f32 v39, v39, v40
	v_mul_hi_u32 v40, s0, v56
	s_wait_alu 0xfffd
	v_cndmask_b32_e32 v39, 0, v39, vcc_lo
	v_cmp_nlt_f32_e32 vcc_lo, 0x42b17218, v36
	s_wait_alu 0xfffd
	s_delay_alu instid0(VALU_DEP_2) | instskip(SKIP_2) | instid1(VALU_DEP_2)
	v_cndmask_b32_e32 v39, 0x7f800000, v39, vcc_lo
	v_cmp_le_f32_e32 vcc_lo, 0xc1a00000, v36
	s_wait_alu 0xfffd
	v_cndmask_b32_e32 v111, 0, v39, vcc_lo
	v_mul_lo_u32 v39, s1, v56
	s_delay_alu instid0(VALU_DEP_2) | instskip(NEXT) | instid1(VALU_DEP_1)
	v_cvt_f16_f32_e32 v36, v111
	v_and_b32_e32 v36, 0xffff, v36
	s_delay_alu instid0(VALU_DEP_1) | instskip(NEXT) | instid1(VALU_DEP_1)
	v_mul_u32_u24_e32 v36, 0x10001, v36
	v_pk_mul_f16 v24, v24, v36
	v_pk_mul_f16 v25, v25, v36
	;; [unrolled: 1-line block ×28, first 2 shown]
	v_mul_lo_u32 v36, s0, v57
	s_delay_alu instid0(VALU_DEP_1) | instskip(SKIP_2) | instid1(VALU_DEP_3)
	v_add_nc_u32_e32 v36, v36, v39
	v_mul_lo_u32 v39, s0, v56
	v_cmp_ngt_f32_e64 s0, 0xc2ce8ed0, v31
	v_add_nc_u32_e32 v40, v36, v40
	s_delay_alu instid0(VALU_DEP_1) | instskip(NEXT) | instid1(VALU_DEP_1)
	v_lshlrev_b64_e32 v[39:40], 2, v[39:40]
	v_add_co_u32 v36, vcc_lo, s8, v39
	s_wait_alu 0xfffd
	s_delay_alu instid0(VALU_DEP_2) | instskip(SKIP_1) | instid1(VALU_DEP_1)
	v_add_co_ci_u32_e64 v47, null, s9, v40, vcc_lo
	v_lshlrev_b64_e32 v[39:40], 2, v[119:120]
	v_add_co_u32 v39, vcc_lo, v36, v39
	s_wait_alu 0xfffd
	s_delay_alu instid0(VALU_DEP_2) | instskip(NEXT) | instid1(VALU_DEP_2)
	v_add_co_ci_u32_e64 v40, null, v47, v40, vcc_lo
	v_add_co_u32 v39, vcc_lo, v39, v62
	s_wait_alu 0xfffd
	s_delay_alu instid0(VALU_DEP_2) | instskip(SKIP_3) | instid1(VALU_DEP_2)
	v_add_co_ci_u32_e64 v40, null, v40, v63, vcc_lo
	v_add_co_u32 v41, vcc_lo, v36, v41
	s_wait_alu 0xfffd
	v_add_co_ci_u32_e64 v42, null, v47, v42, vcc_lo
	v_add_co_u32 v43, vcc_lo, v41, v60
	s_wait_alu 0xfffd
	s_delay_alu instid0(VALU_DEP_2)
	v_add_co_ci_u32_e64 v44, null, v42, v61, vcc_lo
	s_clause 0x1
	global_load_b128 v[39:42], v[39:40], off
	global_load_b128 v[43:46], v[43:44], off
	s_wait_loadcnt 0x1
	ds_store_b128 v68, v[39:42]
	s_wait_loadcnt 0x0
	ds_store_b128 v67, v[43:46]
	v_lshlrev_b64_e32 v[39:40], 2, v[124:125]
	v_lshlrev_b64_e32 v[41:42], 2, v[115:116]
	s_delay_alu instid0(VALU_DEP_2) | instskip(SKIP_1) | instid1(VALU_DEP_3)
	v_add_co_u32 v39, vcc_lo, v36, v39
	s_wait_alu 0xfffd
	v_add_co_ci_u32_e64 v40, null, v47, v40, vcc_lo
	s_delay_alu instid0(VALU_DEP_2) | instskip(SKIP_1) | instid1(VALU_DEP_2)
	v_add_co_u32 v39, vcc_lo, v39, v60
	s_wait_alu 0xfffd
	v_add_co_ci_u32_e64 v40, null, v40, v61, vcc_lo
	v_add_co_u32 v41, vcc_lo, v36, v41
	s_wait_alu 0xfffd
	v_add_co_ci_u32_e64 v42, null, v47, v42, vcc_lo
	s_delay_alu instid0(VALU_DEP_2) | instskip(SKIP_1) | instid1(VALU_DEP_2)
	v_add_co_u32 v43, vcc_lo, v41, v58
	s_wait_alu 0xfffd
	v_add_co_ci_u32_e64 v44, null, v42, v59, vcc_lo
	s_clause 0x1
	global_load_b128 v[39:42], v[39:40], off
	global_load_b128 v[43:46], v[43:44], off
	s_wait_loadcnt 0x1
	ds_store_b128 v66, v[39:42]
	s_wait_loadcnt 0x0
	ds_store_b128 v69, v[43:46]
	v_lshlrev_b64_e32 v[39:40], 2, v[121:122]
	v_add3_u32 v122, 0, v190, v189
	v_add3_u32 v121, 0, v196, v189
	s_delay_alu instid0(VALU_DEP_3) | instskip(SKIP_1) | instid1(VALU_DEP_4)
	v_add_co_u32 v41, vcc_lo, v36, v39
	s_wait_alu 0xfffd
	v_add_co_ci_u32_e64 v42, null, v47, v40, vcc_lo
	v_lshlrev_b64_e32 v[39:40], 2, v[126:127]
	s_delay_alu instid0(VALU_DEP_1) | instskip(SKIP_1) | instid1(VALU_DEP_2)
	v_add_co_u32 v43, vcc_lo, v36, v39
	s_wait_alu 0xfffd
	v_add_co_ci_u32_e64 v44, null, v47, v40, vcc_lo
	v_add_co_u32 v39, vcc_lo, v41, v58
	s_wait_alu 0xfffd
	v_add_co_ci_u32_e64 v40, null, v42, v59, vcc_lo
	;; [unrolled: 3-line block ×3, first 2 shown]
	s_clause 0x1
	global_load_b128 v[39:42], v[39:40], off
	global_load_b128 v[43:46], v[43:44], off
	s_wait_loadcnt 0x1
	ds_store_b128 v70, v[39:42]
	s_wait_loadcnt 0x0
	ds_store_b128 v71, v[43:46]
	v_lshlrev_b64_e32 v[39:40], 2, v[128:129]
	s_delay_alu instid0(VALU_DEP_1) | instskip(SKIP_1) | instid1(VALU_DEP_2)
	v_add_co_u32 v36, vcc_lo, v36, v39
	s_wait_alu 0xfffd
	v_add_co_ci_u32_e64 v40, null, v47, v40, vcc_lo
	s_delay_alu instid0(VALU_DEP_2) | instskip(SKIP_1) | instid1(VALU_DEP_2)
	v_add_co_u32 v39, vcc_lo, v36, v58
	s_wait_alu 0xfffd
	v_add_co_ci_u32_e64 v40, null, v40, v59, vcc_lo
	v_mul_f32_e32 v36, 0x3fb8aa3b, v35
	global_load_b128 v[39:42], v[39:40], off
	s_wait_loadcnt 0x0
	ds_store_b128 v72, v[39:42]
	v_fma_f32 v39, 0x3fb8aa3b, v35, -v36
	v_rndne_f32_e32 v40, v36
	s_wait_dscnt 0x0
	s_barrier_signal -1
	s_barrier_wait -1
	s_delay_alu instid0(VALU_DEP_1) | instskip(SKIP_4) | instid1(VALU_DEP_1)
	v_dual_fmac_f32 v39, 0x32a5705f, v35 :: v_dual_sub_f32 v36, v36, v40
	v_cvt_i32_f32_e32 v40, v40
	global_inv scope:SCOPE_SE
	ds_load_u16 v72, v118 offset:192
	v_dual_add_f32 v36, v36, v39 :: v_dual_mul_f32 v39, 0x3fb8aa3b, v34
	v_fma_f32 v41, 0x3fb8aa3b, v34, -v39
	v_rndne_f32_e32 v42, v39
	s_delay_alu instid0(VALU_DEP_2) | instskip(NEXT) | instid1(VALU_DEP_2)
	v_fmac_f32_e32 v41, 0x32a5705f, v34
	v_sub_f32_e32 v39, v39, v42
	v_exp_f32_e32 v36, v36
	s_delay_alu instid0(VALU_DEP_1) | instskip(SKIP_1) | instid1(VALU_DEP_2)
	v_add_f32_e32 v39, v39, v41
	v_mul_f32_e32 v41, 0x3fb8aa3b, v31
	v_exp_f32_e32 v39, v39
	s_delay_alu instid0(VALU_DEP_1) | instskip(NEXT) | instid1(TRANS32_DEP_2)
	v_rndne_f32_e32 v44, v41
	v_ldexp_f32 v36, v36, v40
	v_cvt_i32_f32_e32 v40, v42
	v_fma_f32 v43, 0x3fb8aa3b, v31, -v41
	s_delay_alu instid0(VALU_DEP_4)
	v_sub_f32_e32 v41, v41, v44
	v_cmp_ngt_f32_e32 vcc_lo, 0xc2ce8ed0, v34
	s_delay_alu instid0(TRANS32_DEP_1) | instid1(VALU_DEP_4)
	v_ldexp_f32 v39, v39, v40
	s_wait_alu 0xfffd
	s_delay_alu instid0(VALU_DEP_1) | instskip(SKIP_2) | instid1(VALU_DEP_2)
	v_cndmask_b32_e32 v39, 0, v39, vcc_lo
	v_cmp_nlt_f32_e32 vcc_lo, 0x42b17218, v34
	s_wait_alu 0xfffd
	v_cndmask_b32_e32 v115, 0x7f800000, v39, vcc_lo
	v_cmp_ngt_f32_e32 vcc_lo, 0xc2ce8ed0, v33
	v_fmac_f32_e32 v43, 0x32a5705f, v31
	s_delay_alu instid0(VALU_DEP_1) | instskip(SKIP_1) | instid1(VALU_DEP_2)
	v_add_f32_e32 v41, v41, v43
	v_mul_f32_e32 v43, 0x3fb8aa3b, v30
	v_exp_f32_e32 v40, v41
	s_delay_alu instid0(VALU_DEP_1) | instskip(SKIP_2) | instid1(VALU_DEP_2)
	v_fma_f32 v45, 0x3fb8aa3b, v30, -v43
	v_rndne_f32_e32 v46, v43
	v_cvt_i32_f32_e32 v41, v44
	v_sub_f32_e32 v43, v43, v46
	s_delay_alu instid0(VALU_DEP_4)
	v_fmac_f32_e32 v45, 0x32a5705f, v30
	v_cvt_i32_f32_e32 v42, v46
	s_delay_alu instid0(TRANS32_DEP_1) | instid1(VALU_DEP_4)
	v_ldexp_f32 v40, v40, v41
	v_cmp_ngt_f32_e64 s1, 0xc2ce8ed0, v30
	s_delay_alu instid0(VALU_DEP_4) | instskip(SKIP_1) | instid1(VALU_DEP_3)
	v_add_f32_e32 v43, v43, v45
	s_wait_alu 0xf1ff
	v_cndmask_b32_e64 v34, 0, v40, s0
	v_cmp_nlt_f32_e64 s0, 0x42b17218, v31
	s_delay_alu instid0(VALU_DEP_3) | instskip(SKIP_1) | instid1(VALU_DEP_1)
	v_exp_f32_e32 v41, v43
	s_wait_alu 0xf1ff
	v_cndmask_b32_e64 v112, 0x7f800000, v34, s0
	v_cmp_ngt_f32_e64 s0, 0xc2ce8ed0, v29
	s_delay_alu instid0(TRANS32_DEP_1) | instskip(NEXT) | instid1(VALU_DEP_1)
	v_ldexp_f32 v41, v41, v42
	v_cndmask_b32_e64 v31, 0, v41, s1
	v_cmp_nlt_f32_e64 s1, 0x42b17218, v30
	v_cndmask_b32_e64 v30, 0, v36, s2
	v_cmp_nlt_f32_e64 s2, 0x42b17218, v35
	v_cvt_f16_f32_e32 v35, v115
	s_wait_alu 0xf1ff
	v_cndmask_b32_e64 v113, 0x7f800000, v31, s1
	v_cvt_f16_f32_e32 v31, v112
	v_cndmask_b32_e64 v114, 0x7f800000, v30, s2
	s_delay_alu instid0(VALU_DEP_3) | instskip(NEXT) | instid1(VALU_DEP_2)
	v_cvt_f16_f32_e32 v34, v113
	v_cvt_f16_f32_e32 v30, v114
	s_delay_alu instid0(VALU_DEP_2) | instskip(SKIP_1) | instid1(VALU_DEP_3)
	v_pack_b32_f16 v31, v31, v34
	v_mul_f32_e32 v34, 0x3fb8aa3b, v33
	v_pack_b32_f16 v30, v30, v35
	s_delay_alu instid0(VALU_DEP_2) | instskip(SKIP_1) | instid1(VALU_DEP_1)
	v_fma_f32 v35, 0x3fb8aa3b, v33, -v34
	v_rndne_f32_e32 v36, v34
	v_dual_fmac_f32 v35, 0x32a5705f, v33 :: v_dual_sub_f32 v34, v34, v36
	v_cvt_i32_f32_e32 v36, v36
	s_delay_alu instid0(VALU_DEP_2) | instskip(NEXT) | instid1(VALU_DEP_1)
	v_dual_add_f32 v34, v34, v35 :: v_dual_mul_f32 v35, 0x3fb8aa3b, v29
	v_exp_f32_e32 v34, v34
	s_delay_alu instid0(VALU_DEP_1) | instskip(SKIP_1) | instid1(VALU_DEP_2)
	v_fma_f32 v39, 0x3fb8aa3b, v29, -v35
	v_rndne_f32_e32 v40, v35
	v_fmac_f32_e32 v39, 0x32a5705f, v29
	s_delay_alu instid0(VALU_DEP_2) | instskip(NEXT) | instid1(TRANS32_DEP_1)
	v_sub_f32_e32 v35, v35, v40
	v_ldexp_f32 v34, v34, v36
	v_cvt_i32_f32_e32 v36, v40
	s_wait_alu 0xfffd
	s_delay_alu instid0(VALU_DEP_2) | instskip(SKIP_1) | instid1(VALU_DEP_2)
	v_dual_add_f32 v35, v35, v39 :: v_dual_cndmask_b32 v34, 0, v34
	v_cmp_nlt_f32_e32 vcc_lo, 0x42b17218, v33
	v_exp_f32_e32 v35, v35
	s_wait_alu 0xfffd
	s_delay_alu instid0(VALU_DEP_2) | instskip(NEXT) | instid1(TRANS32_DEP_1)
	v_cndmask_b32_e32 v117, 0x7f800000, v34, vcc_lo
	v_ldexp_f32 v35, v35, v36
	s_delay_alu instid0(VALU_DEP_1) | instskip(SKIP_2) | instid1(VALU_DEP_1)
	v_cndmask_b32_e64 v33, 0, v35, s0
	v_cmp_nlt_f32_e64 s0, 0x42b17218, v29
	s_wait_alu 0xf1ff
	v_cndmask_b32_e64 v116, 0x7f800000, v33, s0
	v_cvt_f16_f32_e32 v33, v117
	v_cmp_ngt_f32_e64 s0, 0xc2ce8ed0, v28
	s_delay_alu instid0(VALU_DEP_3) | instskip(NEXT) | instid1(VALU_DEP_1)
	v_cvt_f16_f32_e32 v29, v116
	v_pack_b32_f16 v29, v29, v33
	v_mul_f32_e32 v33, 0x3fb8aa3b, v32
	s_delay_alu instid0(VALU_DEP_1) | instskip(SKIP_1) | instid1(VALU_DEP_1)
	v_fma_f32 v34, 0x3fb8aa3b, v32, -v33
	v_rndne_f32_e32 v35, v33
	v_dual_fmac_f32 v34, 0x32a5705f, v32 :: v_dual_sub_f32 v33, v33, v35
	v_cvt_i32_f32_e32 v35, v35
	s_delay_alu instid0(VALU_DEP_2) | instskip(SKIP_1) | instid1(VALU_DEP_2)
	v_dual_add_f32 v33, v33, v34 :: v_dual_mul_f32 v34, 0x3fb8aa3b, v28
	v_cmp_ngt_f32_e32 vcc_lo, 0xc2ce8ed0, v32
	v_exp_f32_e32 v33, v33
	s_delay_alu instid0(VALU_DEP_2) | instskip(SKIP_1) | instid1(VALU_DEP_2)
	v_fma_f32 v36, 0x3fb8aa3b, v28, -v34
	v_rndne_f32_e32 v39, v34
	v_fmac_f32_e32 v36, 0x32a5705f, v28
	s_delay_alu instid0(VALU_DEP_2) | instskip(NEXT) | instid1(TRANS32_DEP_1)
	v_sub_f32_e32 v34, v34, v39
	v_ldexp_f32 v33, v33, v35
	v_cvt_i32_f32_e32 v35, v39
	s_wait_alu 0xfffd
	s_delay_alu instid0(VALU_DEP_2) | instskip(SKIP_1) | instid1(VALU_DEP_2)
	v_dual_add_f32 v34, v34, v36 :: v_dual_cndmask_b32 v33, 0, v33
	v_cmp_nlt_f32_e32 vcc_lo, 0x42b17218, v32
	v_exp_f32_e32 v34, v34
	s_wait_alu 0xfffd
	s_delay_alu instid0(VALU_DEP_2)
	v_cndmask_b32_e32 v120, 0x7f800000, v33, vcc_lo
	s_wait_dscnt 0x0
	ds_load_u16_d16_hi v72, v118 offset:432
	ds_load_u16 v33, v118 offset:512
	v_ldexp_f32 v34, v34, v35
	s_wait_alu 0xf1ff
	s_delay_alu instid0(VALU_DEP_1)
	v_cndmask_b32_e64 v32, 0, v34, s0
	s_wait_dscnt 0x0
	ds_load_u16_d16_hi v33, v118 offset:752
	ds_load_u16 v73, v118 offset:672
	ds_load_u16 v77, v118 offset:608
	;; [unrolled: 1-line block ×8, first 2 shown]
	s_wait_dscnt 0x7
	ds_load_u16_d16_hi v73, v118 offset:912
	ds_load_u16 v78, v118 offset:1088
	ds_load_u16 v82, v118 offset:1120
	s_wait_dscnt 0x5
	ds_load_u16_d16_hi v34, v118 offset:1232
	s_wait_dscnt 0x5
	ds_load_u16_d16_hi v46, v118 offset:1264
	;; [unrolled: 2-line block ×3, first 2 shown]
	ds_load_u16 v79, v122 offset:128
	ds_load_u16 v83, v122 offset:160
	;; [unrolled: 1-line block ×6, first 2 shown]
	ds_load_u16_d16_hi v76, v118 offset:368
	ds_load_u16_d16_hi v80, v118 offset:400
	ds_load_u16_d16_hi v77, v118 offset:848
	ds_load_u16_d16_hi v81, v118 offset:880
	v_cmp_nlt_f32_e64 s0, 0x42b17218, v28
	s_wait_dscnt 0x9
	ds_load_u16_d16_hi v79, v121 offset:128
	s_wait_dscnt 0x9
	ds_load_u16_d16_hi v83, v121 offset:160
	;; [unrolled: 2-line block ×4, first 2 shown]
	ds_load_u16_d16_hi v78, v118 offset:1328
	ds_load_u16_d16_hi v82, v118 offset:1360
	s_wait_dscnt 0xa
	ds_load_u16_d16_hi v74, v118 offset:1392
	ds_load_u16 v55, v122 offset:3872
	ds_load_u16 v51, v122 offset:3904
	;; [unrolled: 1-line block ×8, first 2 shown]
	s_wait_alu 0xf1ff
	v_cndmask_b32_e64 v119, 0x7f800000, v32, s0
	v_cvt_f16_f32_e32 v32, v120
	s_wait_dscnt 0x7
	ds_load_u16_d16_hi v55, v121 offset:3872
	s_wait_dscnt 0x7
	ds_load_u16_d16_hi v51, v121 offset:3904
	;; [unrolled: 2-line block ×4, first 2 shown]
	ds_load_u16 v52, v118 offset:3872
	ds_load_u16 v48, v118 offset:3904
	ds_load_u16 v60, v118 offset:3936
	ds_load_u16 v68, v118 offset:3968
	ds_load_u16 v56, v118 offset:4000
	v_cvt_f16_f32_e32 v28, v119
	s_delay_alu instid0(VALU_DEP_1) | instskip(NEXT) | instid1(VALU_DEP_1)
	v_pack_b32_f16 v28, v28, v32
	v_wmma_f16_16x16x16_f16 v[0:3], v[72:75], v[28:31], v[0:3]
	ds_load_u16 v124, v118 offset:480
	ds_load_u16 v125, v118 offset:960
	ds_load_u16 v72, v118 offset:11552
	ds_load_u16 v73, v118 offset:12032
	v_wmma_f16_16x16x16_f16 v[8:11], v[76:79], v[28:31], v[8:11]
	v_wmma_f16_16x16x16_f16 v[4:7], v[80:83], v[28:31], v[4:7]
	s_wait_dscnt 0x1
	ds_load_u16_d16_hi v72, v118 offset:11792
	ds_load_u16 v76, v118 offset:11712
	ds_load_u16 v85, v118 offset:12064
	;; [unrolled: 1-line block ×3, first 2 shown]
	s_wait_dscnt 0x2
	ds_load_u16_d16_hi v76, v118 offset:11952
	ds_load_u16_d16_hi v73, v118 offset:12272
	s_wait_dscnt 0x3
	ds_load_u16_d16_hi v85, v118 offset:12304
	s_wait_dscnt 0x3
	ds_load_u16_d16_hi v81, v118 offset:12336
	ds_load_u16 v77, v118 offset:12192
	ds_load_u16 v74, v118 offset:12512
	ds_load_u16 v86, v118 offset:12544
	ds_load_u16 v82, v118 offset:12576
	ds_load_u16 v94, v118 offset:12608
	ds_load_u16 v90, v118 offset:12640
	s_wait_dscnt 0x5
	ds_load_u16_d16_hi v77, v118 offset:12432
	s_wait_dscnt 0x5
	ds_load_u16_d16_hi v74, v118 offset:12752
	;; [unrolled: 2-line block ×6, first 2 shown]
	ds_load_u16 v78, v118 offset:12672
	ds_load_u16 v126, v122
	ds_load_u16 v35, v122 offset:32
	ds_load_u16 v123, v118
	ds_load_u16 v32, v118 offset:32
	ds_load_u16_d16_hi v124, v118 offset:720
	ds_load_u16_d16_hi v125, v118 offset:1200
	ds_load_u16 v44, v118 offset:64
	ds_load_u16 v40, v118 offset:96
	;; [unrolled: 1-line block ×4, first 2 shown]
	s_wait_dscnt 0xa
	ds_load_u16_d16_hi v78, v118 offset:12912
	s_wait_dscnt 0xa
	ds_load_u16_d16_hi v126, v121
	s_wait_dscnt 0xa
	ds_load_u16_d16_hi v35, v121 offset:32
	s_wait_dscnt 0xa
	ds_load_u16_d16_hi v123, v118 offset:240
	;; [unrolled: 2-line block ×7, first 2 shown]
	ds_load_u16 v79, v122 offset:11712
	ds_load_u16 v45, v118 offset:544
	;; [unrolled: 1-line block ×3, first 2 shown]
	s_wait_dscnt 0x1
	ds_load_u16_d16_hi v45, v118 offset:784
	s_wait_dscnt 0x1
	ds_load_u16_d16_hi v41, v118 offset:816
	v_wmma_f16_16x16x16_f16 v[24:27], v[123:126], v[28:31], v[24:27]
	v_wmma_f16_16x16x16_f16 v[20:23], v[32:35], v[28:31], v[20:23]
	s_wait_dscnt 0x1
	v_wmma_f16_16x16x16_f16 v[16:19], v[44:47], v[28:31], v[16:19]
	s_wait_dscnt 0x0
	v_wmma_f16_16x16x16_f16 v[12:15], v[40:43], v[28:31], v[12:15]
	v_sub_f32_e32 v28, v65, v103
	s_delay_alu instid0(VALU_DEP_1) | instskip(SKIP_1) | instid1(VALU_DEP_2)
	v_mul_f32_e32 v29, 0x3fb8aa3b, v28
	v_cmp_ngt_f32_e64 s2, 0xc2ce8ed0, v28
	v_fma_f32 v30, 0x3fb8aa3b, v28, -v29
	v_rndne_f32_e32 v31, v29
	s_delay_alu instid0(VALU_DEP_1) | instskip(SKIP_1) | instid1(VALU_DEP_2)
	v_dual_fmac_f32 v30, 0x32a5705f, v28 :: v_dual_sub_f32 v29, v29, v31
	v_cvt_i32_f32_e32 v31, v31
	v_dual_add_f32 v29, v29, v30 :: v_dual_sub_f32 v30, v64, v103
	s_delay_alu instid0(VALU_DEP_1) | instskip(NEXT) | instid1(VALU_DEP_1)
	v_exp_f32_e32 v29, v29
	v_mul_f32_e32 v32, 0x3fb8aa3b, v30
	v_cmp_ngt_f32_e32 vcc_lo, 0xc2ce8ed0, v30
	s_delay_alu instid0(VALU_DEP_2) | instskip(SKIP_1) | instid1(TRANS32_DEP_1)
	v_fma_f32 v33, 0x3fb8aa3b, v30, -v32
	v_rndne_f32_e32 v34, v32
	v_ldexp_f32 v29, v29, v31
	s_delay_alu instid0(VALU_DEP_3) | instskip(NEXT) | instid1(VALU_DEP_3)
	v_fmac_f32_e32 v33, 0x32a5705f, v30
	v_sub_f32_e32 v32, v32, v34
	s_wait_alu 0xf1ff
	s_delay_alu instid0(VALU_DEP_3) | instskip(SKIP_1) | instid1(VALU_DEP_3)
	v_cndmask_b32_e64 v29, 0, v29, s2
	v_cmp_nlt_f32_e64 s2, 0x42b17218, v28
	v_dual_add_f32 v32, v32, v33 :: v_dual_sub_f32 v33, v54, v103
	s_wait_alu 0xf1ff
	s_delay_alu instid0(VALU_DEP_2) | instskip(NEXT) | instid1(VALU_DEP_2)
	v_cndmask_b32_e64 v80, 0x7f800000, v29, s2
	v_exp_f32_e32 v31, v32
	s_delay_alu instid0(VALU_DEP_2) | instskip(SKIP_3) | instid1(VALU_DEP_4)
	v_mul_f32_e32 v35, 0x3fb8aa3b, v33
	v_cvt_i32_f32_e32 v32, v34
	v_cmp_ngt_f32_e64 s0, 0xc2ce8ed0, v33
	v_cvt_f16_f32_e32 v28, v80
	v_fma_f32 v40, 0x3fb8aa3b, v33, -v35
	v_rndne_f32_e32 v41, v35
	s_delay_alu instid0(TRANS32_DEP_1) | instskip(NEXT) | instid1(VALU_DEP_3)
	v_ldexp_f32 v31, v31, v32
	v_fmac_f32_e32 v40, 0x32a5705f, v33
	s_delay_alu instid0(VALU_DEP_3)
	v_sub_f32_e32 v35, v35, v41
	v_cvt_i32_f32_e32 v34, v41
	s_wait_alu 0xfffd
	v_cndmask_b32_e32 v31, 0, v31, vcc_lo
	v_cmp_nlt_f32_e32 vcc_lo, 0x42b17218, v30
	v_dual_add_f32 v35, v35, v40 :: v_dual_sub_f32 v40, v53, v103
	s_wait_alu 0xfffd
	s_delay_alu instid0(VALU_DEP_3) | instskip(NEXT) | instid1(VALU_DEP_2)
	v_cndmask_b32_e32 v125, 0x7f800000, v31, vcc_lo
	v_exp_f32_e32 v32, v35
	s_delay_alu instid0(VALU_DEP_2) | instskip(SKIP_1) | instid1(VALU_DEP_2)
	v_mul_f32_e32 v42, 0x3fb8aa3b, v40
	v_cmp_ngt_f32_e64 s1, 0xc2ce8ed0, v40
	v_fma_f32 v43, 0x3fb8aa3b, v40, -v42
	v_rndne_f32_e32 v44, v42
	s_delay_alu instid0(TRANS32_DEP_1) | instskip(NEXT) | instid1(VALU_DEP_3)
	v_ldexp_f32 v32, v32, v34
	v_fmac_f32_e32 v43, 0x32a5705f, v40
	s_delay_alu instid0(VALU_DEP_3)
	v_sub_f32_e32 v42, v42, v44
	v_cvt_i32_f32_e32 v35, v44
	s_wait_alu 0xf1ff
	v_cndmask_b32_e64 v30, 0, v32, s0
	v_cmp_nlt_f32_e64 s0, 0x42b17218, v33
	v_add_f32_e32 v42, v42, v43
	s_wait_alu 0xf1ff
	s_delay_alu instid0(VALU_DEP_2) | instskip(NEXT) | instid1(VALU_DEP_2)
	v_cndmask_b32_e64 v123, 0x7f800000, v30, s0
	v_exp_f32_e32 v34, v42
	s_delay_alu instid0(VALU_DEP_1) | instskip(NEXT) | instid1(TRANS32_DEP_1)
	v_cvt_f16_f32_e32 v29, v123
	v_ldexp_f32 v34, v34, v35
	s_delay_alu instid0(VALU_DEP_1) | instskip(SKIP_2) | instid1(VALU_DEP_1)
	v_cndmask_b32_e64 v32, 0, v34, s1
	v_cmp_nlt_f32_e64 s1, 0x42b17218, v40
	s_wait_alu 0xf1ff
	v_cndmask_b32_e64 v124, 0x7f800000, v32, s1
	v_cvt_f16_f32_e32 v32, v125
	s_delay_alu instid0(VALU_DEP_2) | instskip(NEXT) | instid1(VALU_DEP_1)
	v_cvt_f16_f32_e32 v30, v124
	v_pack_b32_f16 v31, v29, v30
	s_delay_alu instid0(VALU_DEP_3) | instskip(SKIP_1) | instid1(VALU_DEP_1)
	v_pack_b32_f16 v30, v28, v32
	v_sub_f32_e32 v28, v50, v103
	v_mul_f32_e32 v29, 0x3fb8aa3b, v28
	v_cmp_ngt_f32_e32 vcc_lo, 0xc2ce8ed0, v28
	s_delay_alu instid0(VALU_DEP_2) | instskip(SKIP_1) | instid1(VALU_DEP_1)
	v_fma_f32 v32, 0x3fb8aa3b, v28, -v29
	v_rndne_f32_e32 v33, v29
	v_dual_fmac_f32 v32, 0x32a5705f, v28 :: v_dual_sub_f32 v29, v29, v33
	v_cvt_i32_f32_e32 v33, v33
	s_delay_alu instid0(VALU_DEP_2) | instskip(SKIP_1) | instid1(VALU_DEP_2)
	v_add_f32_e32 v29, v29, v32
	v_sub_f32_e32 v32, v49, v103
	v_exp_f32_e32 v29, v29
	s_delay_alu instid0(VALU_DEP_1) | instskip(SKIP_1) | instid1(VALU_DEP_2)
	v_mul_f32_e32 v34, 0x3fb8aa3b, v32
	v_cmp_ngt_f32_e64 s0, 0xc2ce8ed0, v32
	v_fma_f32 v35, 0x3fb8aa3b, v32, -v34
	v_rndne_f32_e32 v40, v34
	s_delay_alu instid0(TRANS32_DEP_1) | instskip(NEXT) | instid1(VALU_DEP_3)
	v_ldexp_f32 v29, v29, v33
	v_fmac_f32_e32 v35, 0x32a5705f, v32
	s_wait_alu 0xfffd
	s_delay_alu instid0(VALU_DEP_2) | instskip(SKIP_2) | instid1(VALU_DEP_2)
	v_dual_sub_f32 v34, v34, v40 :: v_dual_cndmask_b32 v29, 0, v29
	v_cmp_nlt_f32_e32 vcc_lo, 0x42b17218, v28
	s_wait_alu 0xfffd
	v_dual_add_f32 v34, v34, v35 :: v_dual_cndmask_b32 v127, 0x7f800000, v29
	s_delay_alu instid0(VALU_DEP_1) | instskip(SKIP_1) | instid1(VALU_DEP_2)
	v_exp_f32_e32 v33, v34
	v_cvt_i32_f32_e32 v34, v40
	v_cvt_f16_f32_e32 v29, v127
	s_delay_alu instid0(TRANS32_DEP_1) | instid1(VALU_DEP_2)
	v_ldexp_f32 v33, v33, v34
	s_wait_alu 0xf1ff
	s_delay_alu instid0(VALU_DEP_1) | instskip(SKIP_2) | instid1(VALU_DEP_1)
	v_cndmask_b32_e64 v28, 0, v33, s0
	v_cmp_nlt_f32_e64 s0, 0x42b17218, v32
	s_wait_alu 0xf1ff
	v_cndmask_b32_e64 v126, 0x7f800000, v28, s0
	s_delay_alu instid0(VALU_DEP_1) | instskip(NEXT) | instid1(VALU_DEP_1)
	v_cvt_f16_f32_e32 v28, v126
	v_pack_b32_f16 v29, v28, v29
	v_sub_f32_e32 v28, v38, v103
	s_delay_alu instid0(VALU_DEP_1) | instskip(SKIP_1) | instid1(VALU_DEP_2)
	v_mul_f32_e32 v32, 0x3fb8aa3b, v28
	v_cmp_ngt_f32_e32 vcc_lo, 0xc2ce8ed0, v28
	v_fma_f32 v33, 0x3fb8aa3b, v28, -v32
	v_rndne_f32_e32 v34, v32
	s_delay_alu instid0(VALU_DEP_1) | instskip(SKIP_1) | instid1(VALU_DEP_2)
	v_dual_fmac_f32 v33, 0x32a5705f, v28 :: v_dual_sub_f32 v32, v32, v34
	v_cvt_i32_f32_e32 v34, v34
	v_dual_add_f32 v32, v32, v33 :: v_dual_sub_f32 v33, v37, v103
	s_delay_alu instid0(VALU_DEP_1) | instskip(NEXT) | instid1(VALU_DEP_1)
	v_exp_f32_e32 v32, v32
	v_mul_f32_e32 v35, 0x3fb8aa3b, v33
	v_cmp_ngt_f32_e64 s0, 0xc2ce8ed0, v33
	s_delay_alu instid0(VALU_DEP_2) | instskip(SKIP_1) | instid1(TRANS32_DEP_1)
	v_fma_f32 v37, 0x3fb8aa3b, v33, -v35
	v_rndne_f32_e32 v38, v35
	v_ldexp_f32 v32, v32, v34
	s_delay_alu instid0(VALU_DEP_3) | instskip(SKIP_1) | instid1(VALU_DEP_2)
	v_fmac_f32_e32 v37, 0x32a5705f, v33
	s_wait_alu 0xfffd
	v_dual_sub_f32 v35, v35, v38 :: v_dual_cndmask_b32 v32, 0, v32
	v_cmp_nlt_f32_e32 vcc_lo, 0x42b17218, v28
	s_delay_alu instid0(VALU_DEP_2) | instskip(SKIP_1) | instid1(VALU_DEP_3)
	v_add_f32_e32 v35, v35, v37
	s_wait_alu 0xfffd
	v_cndmask_b32_e32 v129, 0x7f800000, v32, vcc_lo
	s_delay_alu instid0(VALU_DEP_2)
	v_exp_f32_e32 v34, v35
	v_cvt_i32_f32_e32 v35, v38
	ds_load_u16 v37, v118 offset:4320
	ds_load_u16 v65, v118 offset:4512
	;; [unrolled: 1-line block ×3, first 2 shown]
	ds_load_u16_d16_hi v56, v118 offset:4240
	s_wait_dscnt 0x3
	ds_load_u16_d16_hi v37, v118 offset:4560
	ds_load_u16 v54, v118 offset:4832
	s_wait_dscnt 0x4
	ds_load_u16_d16_hi v65, v118 offset:4752
	s_wait_dscnt 0x4
	ds_load_u16_d16_hi v38, v118 offset:5040
	ds_load_u16_d16_hi v36, v118 offset:4080
	;; [unrolled: 1-line block ×6, first 2 shown]
	ds_load_u16 v64, v118 offset:4032
	s_wait_dscnt 0x8
	ds_load_u16_d16_hi v54, v118 offset:5072
	ds_load_u16 v95, v118 offset:7680
	ds_load_u16 v66, v118 offset:4992
	;; [unrolled: 1-line block ×7, first 2 shown]
	s_wait_dscnt 0x8
	ds_load_u16_d16_hi v64, v118 offset:4272
	v_ldexp_f32 v34, v34, v35
	s_wait_dscnt 0x5
	ds_load_u16_d16_hi v53, v118 offset:4592
	s_wait_dscnt 0x5
	ds_load_u16_d16_hi v49, v118 offset:4624
	;; [unrolled: 2-line block ×5, first 2 shown]
	s_wait_alu 0xf1ff
	v_cndmask_b32_e64 v28, 0, v34, s0
	v_cmp_nlt_f32_e64 s0, 0x42b17218, v33
	ds_load_u16 v50, v118 offset:4864
	ds_load_u16 v62, v118 offset:4896
	;; [unrolled: 1-line block ×4, first 2 shown]
	v_cvt_f16_f32_e64 v32, v129
	s_wait_alu 0xf1ff
	v_cndmask_b32_e64 v128, 0x7f800000, v28, s0
	s_delay_alu instid0(VALU_DEP_1) | instskip(NEXT) | instid1(VALU_DEP_1)
	v_cvt_f16_f32_e64 v28, v128
	v_pack_b32_f16 v28, v28, v32
	s_delay_alu instid0(VALU_DEP_1)
	v_wmma_f16_16x16x16_f16 v[24:27], v[36:39], v[28:31], v[24:27]
	s_wait_dscnt 0x3
	ds_load_u16_d16_hi v50, v118 offset:5104
	s_wait_dscnt 0x3
	ds_load_u16_d16_hi v62, v118 offset:5136
	;; [unrolled: 2-line block ×4, first 2 shown]
	ds_load_u16_d16_hi v66, v118 offset:5232
	ds_load_u16 v99, v118 offset:7712
	ds_load_u16 v32, v118 offset:7744
	;; [unrolled: 1-line block ×3, first 2 shown]
	v_wmma_f16_16x16x16_f16 v[20:23], v[52:55], v[28:31], v[20:23]
	s_wait_dscnt 0x7
	v_wmma_f16_16x16x16_f16 v[16:19], v[48:51], v[28:31], v[16:19]
	ds_load_u16_d16_hi v59, v121 offset:4000
	ds_load_u16_d16_hi v67, v121 offset:4032
	;; [unrolled: 1-line block ×4, first 2 shown]
	ds_load_u16 v35, v122 offset:7744
	ds_load_u16 v39, v122 offset:7776
	;; [unrolled: 1-line block ×8, first 2 shown]
	s_wait_dscnt 0x12
	v_wmma_f16_16x16x16_f16 v[12:15], v[60:63], v[28:31], v[12:15]
	s_wait_dscnt 0x11
	v_wmma_f16_16x16x16_f16 v[8:11], v[68:71], v[28:31], v[8:11]
	s_wait_dscnt 0x7
	ds_load_u16_d16_hi v35, v121 offset:7744
	s_wait_dscnt 0x7
	ds_load_u16_d16_hi v39, v121 offset:7776
	;; [unrolled: 2-line block ×4, first 2 shown]
	v_wmma_f16_16x16x16_f16 v[4:7], v[56:59], v[28:31], v[4:7]
	v_wmma_f16_16x16x16_f16 v[0:3], v[64:67], v[28:31], v[0:3]
	v_sub_f32_e32 v28, v110, v103
	s_delay_alu instid0(VALU_DEP_1) | instskip(SKIP_1) | instid1(VALU_DEP_2)
	v_mul_f32_e32 v29, 0x3fb8aa3b, v28
	v_cmp_ngt_f32_e64 s2, 0xc2ce8ed0, v28
	v_fma_f32 v30, 0x3fb8aa3b, v28, -v29
	v_rndne_f32_e32 v31, v29
	s_delay_alu instid0(VALU_DEP_1) | instskip(NEXT) | instid1(VALU_DEP_1)
	v_dual_fmac_f32 v30, 0x32a5705f, v28 :: v_dual_sub_f32 v29, v29, v31
	v_add_f32_e32 v29, v29, v30
	v_cvt_i32_f32_e32 v30, v31
	s_delay_alu instid0(VALU_DEP_2) | instskip(NEXT) | instid1(TRANS32_DEP_1)
	v_exp_f32_e32 v29, v29
	v_ldexp_f32 v29, v29, v30
	v_sub_f32_e32 v30, v109, v103
	s_wait_alu 0xf1ff
	s_delay_alu instid0(VALU_DEP_2) | instskip(NEXT) | instid1(VALU_DEP_2)
	v_cndmask_b32_e64 v29, 0, v29, s2
	v_mul_f32_e32 v31, 0x3fb8aa3b, v30
	v_cmp_ngt_f32_e32 vcc_lo, 0xc2ce8ed0, v30
	v_cmp_nlt_f32_e64 s2, 0x42b17218, v28
	s_delay_alu instid0(VALU_DEP_3) | instskip(SKIP_2) | instid1(VALU_DEP_3)
	v_fma_f32 v33, 0x3fb8aa3b, v30, -v31
	v_rndne_f32_e32 v34, v31
	s_wait_alu 0xf1ff
	v_cndmask_b32_e64 v52, 0x7f800000, v29, s2
	s_delay_alu instid0(VALU_DEP_3) | instskip(NEXT) | instid1(VALU_DEP_3)
	v_fmac_f32_e32 v33, 0x32a5705f, v30
	v_sub_f32_e32 v31, v31, v34
	v_cvt_i32_f32_e32 v34, v34
	s_delay_alu instid0(VALU_DEP_4) | instskip(NEXT) | instid1(VALU_DEP_3)
	v_cvt_f16_f32_e32 v28, v52
	v_add_f32_e32 v31, v31, v33
	v_sub_f32_e32 v33, v108, v103
	s_delay_alu instid0(VALU_DEP_2) | instskip(NEXT) | instid1(VALU_DEP_1)
	v_exp_f32_e32 v31, v31
	v_mul_f32_e32 v37, 0x3fb8aa3b, v33
	v_cmp_ngt_f32_e64 s0, 0xc2ce8ed0, v33
	s_delay_alu instid0(VALU_DEP_2) | instskip(SKIP_1) | instid1(TRANS32_DEP_1)
	v_fma_f32 v38, 0x3fb8aa3b, v33, -v37
	v_rndne_f32_e32 v40, v37
	v_ldexp_f32 v31, v31, v34
	s_delay_alu instid0(VALU_DEP_2) | instskip(SKIP_2) | instid1(VALU_DEP_3)
	v_dual_fmac_f32 v38, 0x32a5705f, v33 :: v_dual_sub_f32 v37, v37, v40
	v_sub_f32_e32 v34, v101, v103
	s_wait_alu 0xfffd
	v_cndmask_b32_e32 v31, 0, v31, vcc_lo
	v_cmp_nlt_f32_e32 vcc_lo, 0x42b17218, v30
	v_add_f32_e32 v37, v37, v38
	v_mul_f32_e32 v38, 0x3fb8aa3b, v34
	v_cmp_ngt_f32_e64 s1, 0xc2ce8ed0, v34
	s_wait_alu 0xfffd
	v_cndmask_b32_e32 v55, 0x7f800000, v31, vcc_lo
	v_exp_f32_e32 v30, v37
	v_fma_f32 v41, 0x3fb8aa3b, v34, -v38
	v_rndne_f32_e32 v43, v38
	v_cvt_i32_f32_e32 v37, v40
	s_delay_alu instid0(VALU_DEP_2)
	v_dual_fmac_f32 v41, 0x32a5705f, v34 :: v_dual_sub_f32 v38, v38, v43
	s_delay_alu instid0(TRANS32_DEP_1) | instid1(VALU_DEP_2)
	v_ldexp_f32 v30, v30, v37
	s_delay_alu instid0(VALU_DEP_2) | instskip(SKIP_1) | instid1(VALU_DEP_2)
	v_add_f32_e32 v38, v38, v41
	s_wait_alu 0xf1ff
	v_cndmask_b32_e64 v30, 0, v30, s0
	v_cmp_nlt_f32_e64 s0, 0x42b17218, v33
	s_delay_alu instid0(VALU_DEP_3) | instskip(SKIP_2) | instid1(VALU_DEP_2)
	v_exp_f32_e32 v37, v38
	v_cvt_i32_f32_e32 v38, v43
	s_wait_alu 0xf1ff
	v_cndmask_b32_e64 v53, 0x7f800000, v30, s0
	s_delay_alu instid0(VALU_DEP_1)
	v_cvt_f16_f32_e32 v29, v53
	s_delay_alu instid0(TRANS32_DEP_1) | instid1(VALU_DEP_3)
	v_ldexp_f32 v37, v37, v38
	s_delay_alu instid0(VALU_DEP_1) | instskip(SKIP_2) | instid1(VALU_DEP_1)
	v_cndmask_b32_e64 v33, 0, v37, s1
	v_cmp_nlt_f32_e64 s1, 0x42b17218, v34
	s_wait_alu 0xf1ff
	v_cndmask_b32_e64 v54, 0x7f800000, v33, s1
	v_cvt_f16_f32_e32 v33, v55
	s_delay_alu instid0(VALU_DEP_2) | instskip(NEXT) | instid1(VALU_DEP_1)
	v_cvt_f16_f32_e32 v30, v54
	v_pack_b32_f16 v31, v29, v30
	s_delay_alu instid0(VALU_DEP_3) | instskip(SKIP_1) | instid1(VALU_DEP_1)
	v_pack_b32_f16 v30, v28, v33
	v_sub_f32_e32 v28, v100, v103
	v_mul_f32_e32 v29, 0x3fb8aa3b, v28
	v_cmp_ngt_f32_e32 vcc_lo, 0xc2ce8ed0, v28
	s_delay_alu instid0(VALU_DEP_2) | instskip(SKIP_1) | instid1(VALU_DEP_2)
	v_fma_f32 v33, 0x3fb8aa3b, v28, -v29
	v_rndne_f32_e32 v34, v29
	v_fmac_f32_e32 v33, 0x32a5705f, v28
	s_delay_alu instid0(VALU_DEP_2) | instskip(SKIP_1) | instid1(VALU_DEP_2)
	v_sub_f32_e32 v29, v29, v34
	v_cvt_i32_f32_e32 v34, v34
	v_add_f32_e32 v29, v29, v33
	v_sub_f32_e32 v33, v97, v103
	s_delay_alu instid0(VALU_DEP_2) | instskip(NEXT) | instid1(VALU_DEP_1)
	v_exp_f32_e32 v29, v29
	v_mul_f32_e32 v37, 0x3fb8aa3b, v33
	v_cmp_ngt_f32_e64 s0, 0xc2ce8ed0, v33
	s_delay_alu instid0(VALU_DEP_2) | instskip(SKIP_1) | instid1(TRANS32_DEP_1)
	v_fma_f32 v38, 0x3fb8aa3b, v33, -v37
	v_rndne_f32_e32 v40, v37
	v_ldexp_f32 v29, v29, v34
	s_delay_alu instid0(VALU_DEP_2) | instskip(SKIP_1) | instid1(VALU_DEP_2)
	v_dual_fmac_f32 v38, 0x32a5705f, v33 :: v_dual_sub_f32 v37, v37, v40
	s_wait_alu 0xfffd
	v_cndmask_b32_e32 v29, 0, v29, vcc_lo
	v_cmp_nlt_f32_e32 vcc_lo, 0x42b17218, v28
	s_delay_alu instid0(VALU_DEP_3) | instskip(SKIP_1) | instid1(VALU_DEP_3)
	v_add_f32_e32 v37, v37, v38
	s_wait_alu 0xfffd
	v_cndmask_b32_e32 v57, 0x7f800000, v29, vcc_lo
	s_delay_alu instid0(VALU_DEP_2) | instskip(SKIP_1) | instid1(VALU_DEP_2)
	v_exp_f32_e32 v34, v37
	v_cvt_i32_f32_e32 v37, v40
	v_cvt_f16_f32_e32 v29, v57
	s_delay_alu instid0(TRANS32_DEP_1) | instid1(VALU_DEP_2)
	v_ldexp_f32 v34, v34, v37
	s_wait_alu 0xf1ff
	s_delay_alu instid0(VALU_DEP_1) | instskip(SKIP_2) | instid1(VALU_DEP_1)
	v_cndmask_b32_e64 v28, 0, v34, s0
	v_cmp_nlt_f32_e64 s0, 0x42b17218, v33
	s_wait_alu 0xf1ff
	v_cndmask_b32_e64 v56, 0x7f800000, v28, s0
	s_delay_alu instid0(VALU_DEP_1) | instskip(NEXT) | instid1(VALU_DEP_1)
	v_cvt_f16_f32_e32 v28, v56
	v_pack_b32_f16 v29, v28, v29
	v_sub_f32_e32 v28, v96, v103
	s_delay_alu instid0(VALU_DEP_1) | instskip(SKIP_1) | instid1(VALU_DEP_2)
	v_mul_f32_e32 v33, 0x3fb8aa3b, v28
	v_cmp_ngt_f32_e32 vcc_lo, 0xc2ce8ed0, v28
	v_fma_f32 v34, 0x3fb8aa3b, v28, -v33
	v_rndne_f32_e32 v37, v33
	s_delay_alu instid0(VALU_DEP_1) | instskip(SKIP_1) | instid1(VALU_DEP_2)
	v_dual_fmac_f32 v34, 0x32a5705f, v28 :: v_dual_sub_f32 v33, v33, v37
	v_cvt_i32_f32_e32 v37, v37
	v_dual_add_f32 v33, v33, v34 :: v_dual_sub_f32 v34, v91, v103
	s_delay_alu instid0(VALU_DEP_1) | instskip(NEXT) | instid1(VALU_DEP_1)
	v_exp_f32_e32 v33, v33
	v_mul_f32_e32 v38, 0x3fb8aa3b, v34
	v_cmp_ngt_f32_e64 s0, 0xc2ce8ed0, v34
	s_delay_alu instid0(VALU_DEP_2) | instskip(SKIP_1) | instid1(TRANS32_DEP_1)
	v_fma_f32 v40, 0x3fb8aa3b, v34, -v38
	v_rndne_f32_e32 v41, v38
	v_ldexp_f32 v33, v33, v37
	s_delay_alu instid0(VALU_DEP_3) | instskip(NEXT) | instid1(VALU_DEP_3)
	v_fmac_f32_e32 v40, 0x32a5705f, v34
	v_sub_f32_e32 v38, v38, v41
	s_wait_alu 0xfffd
	s_delay_alu instid0(VALU_DEP_3) | instskip(SKIP_2) | instid1(VALU_DEP_2)
	v_cndmask_b32_e32 v33, 0, v33, vcc_lo
	v_cmp_nlt_f32_e32 vcc_lo, 0x42b17218, v28
	s_wait_alu 0xfffd
	v_dual_add_f32 v38, v38, v40 :: v_dual_cndmask_b32 v59, 0x7f800000, v33
	s_delay_alu instid0(VALU_DEP_1) | instskip(SKIP_1) | instid1(VALU_DEP_2)
	v_exp_f32_e32 v37, v38
	v_cvt_i32_f32_e32 v38, v41
	v_cvt_f16_f32_e32 v33, v59
	s_delay_alu instid0(TRANS32_DEP_1) | instid1(VALU_DEP_2)
	v_ldexp_f32 v37, v37, v38
	s_wait_alu 0xf1ff
	s_delay_alu instid0(VALU_DEP_1) | instskip(SKIP_2) | instid1(VALU_DEP_1)
	v_cndmask_b32_e64 v28, 0, v37, s0
	v_cmp_nlt_f32_e64 s0, 0x42b17218, v34
	s_wait_alu 0xf1ff
	v_cndmask_b32_e64 v58, 0x7f800000, v28, s0
	s_delay_alu instid0(VALU_DEP_1) | instskip(NEXT) | instid1(VALU_DEP_1)
	v_cvt_f16_f32_e32 v28, v58
	v_pack_b32_f16 v28, v28, v33
	ds_load_u16 v96, v118 offset:8160
	ds_load_u16 v44, v118 offset:8320
	;; [unrolled: 1-line block ×3, first 2 shown]
	ds_load_u16_d16_hi v95, v118 offset:7920
	ds_load_u16_d16_hi v99, v118 offset:7952
	;; [unrolled: 1-line block ×4, first 2 shown]
	ds_load_u16 v47, v118 offset:7872
	ds_load_u16 v100, v118 offset:8192
	;; [unrolled: 1-line block ×5, first 2 shown]
	s_wait_dscnt 0xb
	ds_load_u16_d16_hi v96, v118 offset:8400
	s_wait_dscnt 0xb
	ds_load_u16_d16_hi v44, v118 offset:8560
	;; [unrolled: 2-line block ×8, first 2 shown]
	ds_load_u16 v48, v118 offset:8352
	ds_load_u16 v49, v118 offset:8832
	;; [unrolled: 1-line block ×7, first 2 shown]
	s_wait_dscnt 0x6
	ds_load_u16_d16_hi v48, v118 offset:8592
	s_wait_dscnt 0x5
	ds_load_u16_d16_hi v101, v118 offset:8912
	;; [unrolled: 2-line block ×6, first 2 shown]
	ds_load_u16_d16_hi v49, v118 offset:9072
	v_wmma_f16_16x16x16_f16 v[24:27], v[95:98], v[28:31], v[24:27]
	s_wait_dscnt 0x5
	v_wmma_f16_16x16x16_f16 v[20:23], v[99:102], v[28:31], v[20:23]
	s_wait_dscnt 0x4
	;; [unrolled: 2-line block ×3, first 2 shown]
	v_wmma_f16_16x16x16_f16 v[12:15], v[36:39], v[28:31], v[12:15]
	ds_load_u16 v39, v118 offset:7808
	ds_load_u16 v43, v118 offset:7840
	s_wait_dscnt 0x1
	ds_load_u16_d16_hi v39, v118 offset:8048
	s_wait_dscnt 0x1
	ds_load_u16_d16_hi v43, v118 offset:8080
	ds_load_u16 v83, v122 offset:11616
	ds_load_u16 v95, v122 offset:11648
	;; [unrolled: 1-line block ×3, first 2 shown]
	ds_load_u16_d16_hi v50, v121 offset:7872
	ds_load_u16_d16_hi v51, v121 offset:11520
	;; [unrolled: 1-line block ×4, first 2 shown]
	s_wait_dscnt 0x6
	ds_load_u16_d16_hi v83, v121 offset:11616
	s_wait_dscnt 0x6
	ds_load_u16_d16_hi v95, v121 offset:11648
	;; [unrolled: 2-line block ×3, first 2 shown]
	ds_load_u16_d16_hi v79, v121 offset:11712
	s_wait_dscnt 0x7
	v_wmma_f16_16x16x16_f16 v[0:3], v[47:50], v[28:31], v[0:3]
	v_wmma_f16_16x16x16_f16 v[8:11], v[39:42], v[28:31], v[8:11]
	v_wmma_f16_16x16x16_f16 v[4:7], v[43:46], v[28:31], v[4:7]
	v_sub_f32_e32 v28, v107, v103
	s_delay_alu instid0(VALU_DEP_1) | instskip(SKIP_1) | instid1(VALU_DEP_2)
	v_mul_f32_e32 v29, 0x3fb8aa3b, v28
	v_cmp_ngt_f32_e64 s2, 0xc2ce8ed0, v28
	v_fma_f32 v30, 0x3fb8aa3b, v28, -v29
	v_rndne_f32_e32 v31, v29
	s_delay_alu instid0(VALU_DEP_1) | instskip(SKIP_1) | instid1(VALU_DEP_2)
	v_dual_fmac_f32 v30, 0x32a5705f, v28 :: v_dual_sub_f32 v29, v29, v31
	v_cvt_i32_f32_e32 v31, v31
	v_dual_add_f32 v29, v29, v30 :: v_dual_sub_f32 v30, v106, v103
	s_delay_alu instid0(VALU_DEP_1) | instskip(NEXT) | instid1(VALU_DEP_1)
	v_exp_f32_e32 v29, v29
	v_mul_f32_e32 v32, 0x3fb8aa3b, v30
	v_cmp_ngt_f32_e32 vcc_lo, 0xc2ce8ed0, v30
	s_delay_alu instid0(VALU_DEP_2) | instskip(SKIP_1) | instid1(TRANS32_DEP_1)
	v_fma_f32 v33, 0x3fb8aa3b, v30, -v32
	v_rndne_f32_e32 v34, v32
	v_ldexp_f32 v29, v29, v31
	s_delay_alu instid0(VALU_DEP_3) | instskip(NEXT) | instid1(VALU_DEP_3)
	v_fmac_f32_e32 v33, 0x32a5705f, v30
	v_sub_f32_e32 v32, v32, v34
	s_wait_alu 0xf1ff
	s_delay_alu instid0(VALU_DEP_3) | instskip(SKIP_1) | instid1(VALU_DEP_3)
	v_cndmask_b32_e64 v29, 0, v29, s2
	v_cmp_nlt_f32_e64 s2, 0x42b17218, v28
	v_add_f32_e32 v32, v32, v33
	s_wait_alu 0xf1ff
	s_delay_alu instid0(VALU_DEP_2) | instskip(NEXT) | instid1(VALU_DEP_2)
	v_cndmask_b32_e64 v28, 0x7f800000, v29, s2
	v_exp_f32_e32 v31, v32
	v_cvt_i32_f32_e32 v32, v34
	s_mov_b32 s2, exec_lo
	s_delay_alu instid0(TRANS32_DEP_1) | instid1(VALU_DEP_1)
	v_ldexp_f32 v31, v31, v32
	v_sub_f32_e32 v32, v105, v103
	s_wait_alu 0xfffd
	s_delay_alu instid0(VALU_DEP_2) | instskip(NEXT) | instid1(VALU_DEP_2)
	v_cndmask_b32_e32 v31, 0, v31, vcc_lo
	v_mul_f32_e32 v33, 0x3fb8aa3b, v32
	v_cmp_nlt_f32_e32 vcc_lo, 0x42b17218, v30
	v_cmp_ngt_f32_e64 s0, 0xc2ce8ed0, v32
	s_delay_alu instid0(VALU_DEP_3) | instskip(SKIP_3) | instid1(VALU_DEP_2)
	v_fma_f32 v34, 0x3fb8aa3b, v32, -v33
	v_rndne_f32_e32 v35, v33
	s_wait_alu 0xfffd
	v_cndmask_b32_e32 v31, 0x7f800000, v31, vcc_lo
	v_dual_fmac_f32 v34, 0x32a5705f, v32 :: v_dual_sub_f32 v33, v33, v35
	v_cvt_i32_f32_e32 v35, v35
	s_delay_alu instid0(VALU_DEP_2) | instskip(SKIP_1) | instid1(VALU_DEP_2)
	v_add_f32_e32 v33, v33, v34
	v_sub_f32_e32 v34, v93, v103
	v_exp_f32_e32 v33, v33
	s_delay_alu instid0(VALU_DEP_1) | instskip(SKIP_1) | instid1(VALU_DEP_2)
	v_mul_f32_e32 v36, 0x3fb8aa3b, v34
	v_cmp_ngt_f32_e64 s1, 0xc2ce8ed0, v34
	v_fma_f32 v37, 0x3fb8aa3b, v34, -v36
	v_rndne_f32_e32 v38, v36
	s_delay_alu instid0(TRANS32_DEP_1) | instskip(NEXT) | instid1(VALU_DEP_3)
	v_ldexp_f32 v33, v33, v35
	v_fmac_f32_e32 v37, 0x32a5705f, v34
	s_delay_alu instid0(VALU_DEP_3)
	v_sub_f32_e32 v36, v36, v38
	v_cvt_i32_f32_e32 v35, v38
	s_wait_alu 0xf1ff
	v_cndmask_b32_e64 v33, 0, v33, s0
	v_cmp_nlt_f32_e64 s0, 0x42b17218, v32
	v_add_f32_e32 v36, v36, v37
	v_cvt_f16_f32_e32 v32, v28
	s_wait_alu 0xf1ff
	s_delay_alu instid0(VALU_DEP_3) | instskip(NEXT) | instid1(VALU_DEP_3)
	v_cndmask_b32_e64 v29, 0x7f800000, v33, s0
	v_exp_f32_e32 v30, v36
	v_cvt_f16_f32_e32 v36, v31
	s_delay_alu instid0(VALU_DEP_2) | instskip(NEXT) | instid1(TRANS32_DEP_1)
	v_cvt_f16_f32_e32 v33, v29
	v_ldexp_f32 v30, v30, v35
	s_delay_alu instid0(VALU_DEP_1) | instskip(SKIP_2) | instid1(VALU_DEP_1)
	v_cndmask_b32_e64 v30, 0, v30, s1
	v_cmp_nlt_f32_e64 s1, 0x42b17218, v34
	s_wait_alu 0xf1ff
	v_cndmask_b32_e64 v30, 0x7f800000, v30, s1
	s_mov_b32 s1, 0
	s_delay_alu instid0(VALU_DEP_1) | instskip(NEXT) | instid1(VALU_DEP_1)
	v_cvt_f16_f32_e32 v34, v30
	v_pack_b32_f16 v35, v33, v34
	v_pack_b32_f16 v34, v32, v36
	v_sub_f32_e32 v32, v92, v103
	s_delay_alu instid0(VALU_DEP_1) | instskip(SKIP_1) | instid1(VALU_DEP_2)
	v_mul_f32_e32 v33, 0x3fb8aa3b, v32
	v_cmp_ngt_f32_e32 vcc_lo, 0xc2ce8ed0, v32
	v_fma_f32 v36, 0x3fb8aa3b, v32, -v33
	v_rndne_f32_e32 v37, v33
	s_delay_alu instid0(VALU_DEP_1) | instskip(SKIP_1) | instid1(VALU_DEP_2)
	v_dual_fmac_f32 v36, 0x32a5705f, v32 :: v_dual_sub_f32 v33, v33, v37
	v_cvt_i32_f32_e32 v37, v37
	v_add_f32_e32 v33, v33, v36
	v_sub_f32_e32 v36, v89, v103
	s_delay_alu instid0(VALU_DEP_2) | instskip(NEXT) | instid1(VALU_DEP_1)
	v_exp_f32_e32 v33, v33
	v_mul_f32_e32 v38, 0x3fb8aa3b, v36
	v_cmp_ngt_f32_e64 s0, 0xc2ce8ed0, v36
	s_delay_alu instid0(VALU_DEP_2) | instskip(SKIP_1) | instid1(TRANS32_DEP_1)
	v_fma_f32 v39, 0x3fb8aa3b, v36, -v38
	v_rndne_f32_e32 v40, v38
	v_ldexp_f32 v33, v33, v37
	s_delay_alu instid0(VALU_DEP_3) | instskip(SKIP_1) | instid1(VALU_DEP_2)
	v_fmac_f32_e32 v39, 0x32a5705f, v36
	s_wait_alu 0xfffd
	v_dual_sub_f32 v38, v38, v40 :: v_dual_cndmask_b32 v33, 0, v33
	v_cmp_nlt_f32_e32 vcc_lo, 0x42b17218, v32
	s_delay_alu instid0(VALU_DEP_2) | instskip(NEXT) | instid1(VALU_DEP_1)
	v_add_f32_e32 v38, v38, v39
	v_exp_f32_e32 v37, v38
	v_cvt_i32_f32_e32 v38, v40
	s_delay_alu instid0(TRANS32_DEP_1) | instid1(VALU_DEP_1)
	v_ldexp_f32 v37, v37, v38
	s_wait_alu 0xf1ff
	s_delay_alu instid0(VALU_DEP_1) | instskip(SKIP_4) | instid1(VALU_DEP_2)
	v_cndmask_b32_e64 v32, 0, v37, s0
	v_cmp_nlt_f32_e64 s0, 0x42b17218, v36
	s_wait_alu 0xfffd
	v_cndmask_b32_e32 v37, 0x7f800000, v33, vcc_lo
	s_wait_alu 0xf1ff
	v_cndmask_b32_e64 v36, 0x7f800000, v32, s0
	s_delay_alu instid0(VALU_DEP_2) | instskip(NEXT) | instid1(VALU_DEP_2)
	v_cvt_f16_f32_e32 v33, v37
	v_cvt_f16_f32_e32 v32, v36
	s_delay_alu instid0(VALU_DEP_1) | instskip(SKIP_1) | instid1(VALU_DEP_1)
	v_pack_b32_f16 v33, v32, v33
	v_sub_f32_e32 v32, v88, v103
	v_mul_f32_e32 v38, 0x3fb8aa3b, v32
	v_cmp_ngt_f32_e32 vcc_lo, 0xc2ce8ed0, v32
	s_delay_alu instid0(VALU_DEP_2) | instskip(SKIP_1) | instid1(VALU_DEP_2)
	v_fma_f32 v39, 0x3fb8aa3b, v32, -v38
	v_rndne_f32_e32 v40, v38
	v_fmac_f32_e32 v39, 0x32a5705f, v32
	s_delay_alu instid0(VALU_DEP_2) | instskip(SKIP_1) | instid1(VALU_DEP_2)
	v_sub_f32_e32 v38, v38, v40
	v_cvt_i32_f32_e32 v40, v40
	v_add_f32_e32 v38, v38, v39
	v_sub_f32_e32 v39, v84, v103
	s_delay_alu instid0(VALU_DEP_2) | instskip(NEXT) | instid1(VALU_DEP_1)
	v_exp_f32_e32 v38, v38
	v_mul_f32_e32 v41, 0x3fb8aa3b, v39
	v_cmp_ngt_f32_e64 s0, 0xc2ce8ed0, v39
	s_delay_alu instid0(VALU_DEP_2) | instskip(SKIP_1) | instid1(TRANS32_DEP_1)
	v_fma_f32 v42, 0x3fb8aa3b, v39, -v41
	v_rndne_f32_e32 v43, v41
	v_ldexp_f32 v38, v38, v40
	s_delay_alu instid0(VALU_DEP_3) | instskip(SKIP_1) | instid1(VALU_DEP_2)
	v_fmac_f32_e32 v42, 0x32a5705f, v39
	s_wait_alu 0xfffd
	v_dual_sub_f32 v41, v41, v43 :: v_dual_cndmask_b32 v38, 0, v38
	v_cmp_nlt_f32_e32 vcc_lo, 0x42b17218, v32
	s_delay_alu instid0(VALU_DEP_2) | instskip(SKIP_1) | instid1(VALU_DEP_3)
	v_add_f32_e32 v41, v41, v42
	s_wait_alu 0xfffd
	v_cndmask_b32_e32 v38, 0x7f800000, v38, vcc_lo
	s_delay_alu instid0(VALU_DEP_2)
	v_exp_f32_e32 v40, v41
	v_cvt_i32_f32_e32 v41, v43
	s_delay_alu instid0(TRANS32_DEP_1) | instid1(VALU_DEP_1)
	v_ldexp_f32 v40, v40, v41
	s_wait_alu 0xf1ff
	s_delay_alu instid0(VALU_DEP_1) | instskip(SKIP_3) | instid1(VALU_DEP_2)
	v_cndmask_b32_e64 v32, 0, v40, s0
	v_cmp_nlt_f32_e64 s0, 0x42b17218, v39
	v_cvt_f16_f32_e32 v40, v38
	s_wait_alu 0xf1ff
	v_cndmask_b32_e64 v39, 0x7f800000, v32, s0
	s_delay_alu instid0(VALU_DEP_1) | instskip(NEXT) | instid1(VALU_DEP_1)
	v_cvt_f16_f32_e32 v32, v39
	v_pack_b32_f16 v32, v32, v40
	v_add_f32_e32 v40, v119, v120
	s_wait_dscnt 0x5
	s_delay_alu instid0(VALU_DEP_2) | instskip(NEXT) | instid1(VALU_DEP_2)
	v_wmma_f16_16x16x16_f16 v[20:23], v[72:75], v[32:35], v[20:23]
	v_add_f32_e32 v40, v116, v40
	s_wait_dscnt 0x0
	v_wmma_f16_16x16x16_f16 v[0:3], v[76:79], v[32:35], v[0:3]
	s_delay_alu instid0(VALU_DEP_2) | instskip(NEXT) | instid1(VALU_DEP_1)
	v_add_f32_e32 v40, v117, v40
	v_add_f32_e32 v40, v114, v40
	s_delay_alu instid0(VALU_DEP_1) | instskip(NEXT) | instid1(VALU_DEP_1)
	v_add_f32_e32 v40, v115, v40
	v_add_f32_e32 v40, v112, v40
	s_delay_alu instid0(VALU_DEP_1) | instskip(NEXT) | instid1(VALU_DEP_1)
	;; [unrolled: 3-line block ×4, first 2 shown]
	v_add_f32_e32 v40, v127, v40
	v_add_f32_e32 v40, v80, v40
	ds_load_u16 v48, v118 offset:11520
	ds_load_u16 v49, v118 offset:12000
	;; [unrolled: 1-line block ×9, first 2 shown]
	s_wait_dscnt 0x8
	ds_load_u16_d16_hi v48, v118 offset:11760
	s_wait_dscnt 0x8
	ds_load_u16_d16_hi v49, v118 offset:12240
	;; [unrolled: 2-line block ×9, first 2 shown]
	v_add_f32_e32 v40, v125, v40
	s_wait_loadcnt_dscnt 0x0
	s_barrier_signal -1
	s_barrier_wait -1
	global_inv scope:SCOPE_SE
	v_add_f32_e32 v40, v123, v40
	s_wait_loadcnt 0x0
	s_barrier_signal -1
	s_barrier_wait -1
	global_inv scope:SCOPE_SE
	v_add_f32_e32 v40, v124, v40
	v_wmma_f16_16x16x16_f16 v[24:27], v[48:51], v[32:35], v[24:27]
	v_wmma_f16_16x16x16_f16 v[16:19], v[84:87], v[32:35], v[16:19]
	s_delay_alu instid0(VALU_DEP_3) | instskip(SKIP_3) | instid1(VALU_DEP_4)
	v_add_f32_e32 v40, v58, v40
	v_wmma_f16_16x16x16_f16 v[12:15], v[80:83], v[32:35], v[12:15]
	v_wmma_f16_16x16x16_f16 v[8:11], v[92:95], v[32:35], v[8:11]
	;; [unrolled: 1-line block ×3, first 2 shown]
	v_add_f32_e32 v40, v59, v40
	s_delay_alu instid0(VALU_DEP_1) | instskip(NEXT) | instid1(VALU_DEP_1)
	v_add_f32_e32 v40, v56, v40
	v_add_f32_e32 v40, v57, v40
	s_delay_alu instid0(VALU_DEP_1) | instskip(NEXT) | instid1(VALU_DEP_1)
	v_add_f32_e32 v40, v52, v40
	;; [unrolled: 3-line block ×6, first 2 shown]
	v_add_f32_e32 v28, v31, v28
	s_delay_alu instid0(VALU_DEP_1) | instskip(NEXT) | instid1(VALU_DEP_1)
	v_dual_add_f32 v28, v29, v28 :: v_dual_mov_b32 v29, 0
	v_add_f32_e32 v30, v30, v28
	s_delay_alu instid0(VALU_DEP_1)
	v_fmac_f32_e32 v30, v185, v111
	ds_bpermute_b32 v31, v104, v30
	v_cmpx_gt_u32_e32 16, v141
	s_cbranch_execz .LBB19_658
; %bb.657:
	v_readlane_b32 s6, v255, 4
	v_or_b32_e32 v28, v208, v141
	v_readlane_b32 s7, v255, 5
	s_wait_dscnt 0x0
	v_add_f32_e32 v104, v30, v31
	s_add_co_i32 s0, s6, ttmp9
	v_lshlrev_b64_e32 v[32:33], 3, v[28:29]
	s_wait_alu 0xfffe
	s_lshl_b32 s0, s0, 6
	s_wait_alu 0xfffe
	s_lshl_b64 s[6:7], s[0:1], 3
	s_wait_alu 0xfffe
	s_add_nc_u64 s[6:7], s[22:23], s[6:7]
	s_wait_alu 0xfffe
	v_add_co_u32 v32, vcc_lo, s6, v32
	s_wait_alu 0xfffd
	v_add_co_ci_u32_e64 v33, null, s7, v33, vcc_lo
	global_store_b64 v[32:33], v[103:104], off
.LBB19_658:
	s_wait_alu 0xfffe
	s_or_b32 exec_lo, exec_lo, s2
	v_or_b32_e32 v28, v208, v186
	s_clause 0x1
	s_load_b32 s0, s[4:5], 0x0
	s_load_u16 s2, s[4:5], 0x12
	s_delay_alu instid0(VALU_DEP_1) | instskip(NEXT) | instid1(VALU_DEP_1)
	v_mul_i32_i24_e32 v28, 0xf0, v28
	v_add3_u32 v28, 0, v28, v180
	ds_store_2addr_b32 v28, v24, v25 offset1:1
	ds_store_2addr_b32 v28, v26, v27 offset0:2 offset1:3
	ds_store_2addr_b32 v28, v20, v21 offset0:8 offset1:9
	ds_store_2addr_b32 v28, v22, v23 offset0:10 offset1:11
	ds_store_2addr_b32 v28, v16, v17 offset0:16 offset1:17
	ds_store_2addr_b32 v28, v18, v19 offset0:18 offset1:19
	ds_store_2addr_b32 v28, v12, v13 offset0:24 offset1:25
	ds_store_2addr_b32 v28, v14, v15 offset0:26 offset1:27
	ds_store_2addr_b32 v28, v8, v9 offset0:32 offset1:33
	ds_store_2addr_b32 v28, v10, v11 offset0:34 offset1:35
	ds_store_2addr_b32 v28, v4, v5 offset0:40 offset1:41
	ds_store_2addr_b32 v28, v6, v7 offset0:42 offset1:43
	ds_store_2addr_b32 v28, v0, v1 offset0:48 offset1:49
	ds_store_2addr_b32 v28, v2, v3 offset0:50 offset1:51
	s_wait_storecnt 0x0
	s_wait_loadcnt_dscnt 0x0
	s_barrier_signal -1
	s_barrier_wait -1
	global_inv scope:SCOPE_SE
	ds_load_2addr_b32 v[0:1], v166 offset1:240
	v_mul_u32_u24_e32 v4, 56, v140
	s_wait_kmcnt 0x0
	s_cmp_lg_u32 s2, 0
	v_and_b32_e32 v20, 15, v173
	s_cselect_b32 s2, -1, 0
	v_mad_u32_u24 v28, v168, 56, v186
	v_add_lshl_u32 v10, v4, v141, 3
	s_wait_alu 0xfffe
	s_cmp_lg_u32 s2, 0
	v_and_or_b32 v17, 0x3ff0, v178, v20
	s_add_co_ci_u32 s0, s0, 0
	v_and_or_b32 v18, 0x3ff0, v179, v20
	s_wait_alu 0xfffe
	s_lshl_b32 s0, s0, 7
	v_and_b32_e32 v15, 15, v168
	s_wait_alu 0xfffe
	s_lshl_b64 s[2:3], s[0:1], 3
	s_mul_i32 s0, ttmp9, 0xe00
	v_mad_u32_u24 v17, 0xf0, v17, v172
	v_mad_u32_u24 v18, 0xf0, v18, v172
	s_wait_alu 0xfffe
	s_add_nc_u64 s[2:3], s[22:23], s[2:3]
	s_lshl_b64 s[0:1], s[0:1], 3
	v_and_or_b32 v16, 0x1ff0, v171, v15
	s_wait_dscnt 0x0
	v_lshrrev_b32_e32 v4, 16, v0
	v_lshrrev_b32_e32 v5, 16, v1
	v_cvt_f32_f16_e32 v7, v1
	v_cvt_f32_f16_e32 v0, v0
	s_wait_alu 0xfffe
	s_add_nc_u64 s[0:1], s[2:3], s[0:1]
	v_cvt_f32_f16_e32 v4, v4
	v_add_nc_u32_e32 v2, 0x780, v166
	v_cvt_f32_f16_e32 v5, v5
	v_and_b32_e32 v6, 15, v140
	v_add_f32_e32 v0, 0, v0
	v_add_f32_e32 v1, 0, v4
	ds_load_2addr_b32 v[2:3], v2 offset1:240
	v_dual_add_f32 v4, 0, v7 :: v_dual_add_f32 v5, 0, v5
	v_and_or_b32 v8, 0x7f0, v181, v6
	v_and_or_b32 v12, 0x7f0, v139, v6
	;; [unrolled: 1-line block ×3, first 2 shown]
	v_mad_u32_u24 v16, 0xf0, v16, v169
	s_wait_dscnt 0x0
	v_lshrrev_b32_e32 v7, 16, v2
	v_lshrrev_b32_e32 v9, 16, v3
	v_cvt_f32_f16_e32 v2, v2
	s_delay_alu instid0(VALU_DEP_3)
	v_cvt_f32_f16_e32 v11, v7
	v_mad_u32_u24 v7, 0xf0, v8, v167
	v_cvt_f32_f16_e32 v8, v3
	v_add_nc_u32_e32 v3, 0x12c0, v166
	v_cvt_f32_f16_e32 v9, v9
	v_add_f32_e32 v2, 0, v2
	ds_load_b32 v13, v7
	v_add_f32_e32 v8, 0, v8
	ds_load_2addr_b32 v[6:7], v3 offset1:240
	v_mad_u32_u24 v3, 0xf0, v12, v167
	v_mad_u32_u24 v12, 0xf0, v14, v167
	v_and_or_b32 v14, 0x1ff0, v170, v15
	v_and_or_b32 v15, 0x1ff0, v175, v15
	v_add_f32_e32 v9, 0, v9
	s_delay_alu instid0(VALU_DEP_3) | instskip(NEXT) | instid1(VALU_DEP_3)
	v_mad_u32_u24 v14, 0xf0, v14, v169
	v_mad_u32_u24 v15, 0xf0, v15, v169
	ds_load_b32 v19, v3
	ds_load_b32 v12, v12
	ds_load_b32 v14, v14 offset:128
	ds_load_b32 v21, v16 offset:128
	;; [unrolled: 1-line block ×5, first 2 shown]
	v_add_f32_e32 v3, 0, v11
	ds_load_b32 v16, v166 offset:6720
	s_clause 0x3
	global_store_b64 v10, v[0:1], s[0:1]
	global_store_b64 v10, v[4:5], s[0:1] offset:1792
	global_store_b64 v10, v[2:3], s[0:1] offset:3584
	;; [unrolled: 1-line block ×3, first 2 shown]
	v_add_nc_u32_e32 v8, 0x1c00, v10
	s_wait_dscnt 0x9
	v_lshrrev_b32_e32 v15, 16, v13
	v_cvt_f32_f16_e32 v11, v13
	s_wait_dscnt 0x8
	v_cvt_f32_f16_e32 v2, v6
	s_delay_alu instid0(VALU_DEP_3)
	v_cvt_f32_f16_e32 v13, v15
	v_lshrrev_b32_e32 v15, 16, v6
	v_lshrrev_b32_e32 v6, 16, v7
	v_add_f32_e32 v0, 0, v11
	v_cvt_f32_f16_e32 v7, v7
	v_add_nc_u32_e32 v9, 0x2300, v10
	v_cvt_f32_f16_e32 v3, v15
	v_cvt_f32_f16_e32 v11, v6
	v_add_nc_u32_e32 v4, 0x21c0, v166
	v_add_f32_e32 v6, 0, v7
	s_wait_dscnt 0x0
	v_lshrrev_b32_e32 v18, 16, v16
	v_add_f32_e32 v1, 0, v13
	v_add_f32_e32 v7, 0, v11
	ds_load_2addr_b32 v[4:5], v4 offset1:240
	v_cvt_f32_f16_e32 v16, v16
	v_cvt_f32_f16_e32 v18, v18
	v_dual_add_f32 v2, 0, v2 :: v_dual_add_f32 v3, 0, v3
	v_add_nc_u32_e32 v11, 0x2a00, v10
	ds_load_b32 v13, v166 offset:10560
	ds_load_b32 v15, v166 offset:14400
	;; [unrolled: 1-line block ×3, first 2 shown]
	s_clause 0x2
	global_store_b64 v8, v[0:1], s[0:1]
	global_store_b64 v9, v[2:3], s[0:1]
	;; [unrolled: 1-line block ×3, first 2 shown]
	v_lshrrev_b32_e32 v2, 16, v19
	v_add_f32_e32 v0, 0, v16
	v_cvt_f32_f16_e32 v3, v19
	v_add_f32_e32 v1, 0, v18
	v_add_nc_u32_e32 v18, 0x3f00, v10
	v_cvt_f32_f16_e32 v7, v2
	s_delay_alu instid0(VALU_DEP_4) | instskip(NEXT) | instid1(VALU_DEP_2)
	v_dual_mov_b32 v19, v29 :: v_dual_add_f32 v2, 0, v3
	v_add_f32_e32 v3, 0, v7
	s_wait_dscnt 0x3
	v_lshrrev_b32_e32 v6, 16, v4
	v_cvt_f32_f16_e32 v4, v4
	v_add_nc_u32_e32 v11, 0x3100, v10
	s_delay_alu instid0(VALU_DEP_3) | instskip(NEXT) | instid1(VALU_DEP_3)
	v_cvt_f32_f16_e32 v8, v6
	v_add_f32_e32 v6, 0, v4
	global_store_b64 v11, v[0:1], s[0:1]
	v_cvt_f32_f16_e32 v0, v5
	v_add_nc_u32_e32 v9, 0x30c0, v166
	v_add_f32_e32 v7, 0, v8
	v_lshrrev_b32_e32 v4, 16, v5
	s_delay_alu instid0(VALU_DEP_4) | instskip(SKIP_4) | instid1(VALU_DEP_3)
	v_add_f32_e32 v0, 0, v0
	ds_load_2addr_b32 v[8:9], v9 offset1:240
	v_cvt_f32_f16_e32 v1, v4
	v_add_nc_u32_e32 v16, 0x3800, v10
	v_lshrrev_b32_e32 v4, 16, v12
	v_add_f32_e32 v1, 0, v1
	s_clause 0x1
	global_store_b64 v16, v[2:3], s[0:1]
	global_store_b64 v18, v[6:7], s[0:1]
	s_wait_dscnt 0x3
	v_lshrrev_b32_e32 v2, 16, v13
	v_cvt_f32_f16_e32 v7, v12
	v_cvt_f32_f16_e32 v3, v13
	;; [unrolled: 1-line block ×3, first 2 shown]
	v_add_nc_u32_e32 v6, 0x4600, v10
	v_cvt_f32_f16_e32 v5, v2
	v_add_f32_e32 v4, 0, v7
	v_dual_add_f32 v2, 0, v3 :: v_dual_mov_b32 v13, v29
	v_lshrrev_b32_e32 v18, 16, v21
	s_delay_alu instid0(VALU_DEP_4)
	v_add_f32_e32 v3, 0, v5
	s_wait_dscnt 0x0
	v_lshrrev_b32_e32 v7, 16, v8
	v_add_f32_e32 v5, 0, v11
	global_store_b64 v6, v[0:1], s[0:1]
	v_add_nc_u32_e32 v11, 0x5400, v10
	v_cvt_f32_f16_e32 v8, v8
	v_cvt_f32_f16_e32 v1, v7
	v_add_nc_u32_e32 v12, 0x4d00, v10
	v_cvt_f32_f16_e32 v6, v9
	v_lshrrev_b32_e32 v7, 16, v15
	s_delay_alu instid0(VALU_DEP_4)
	v_dual_add_f32 v0, 0, v8 :: v_dual_add_f32 v1, 0, v1
	s_clause 0x1
	global_store_b64 v12, v[2:3], s[0:1]
	global_store_b64 v11, v[4:5], s[0:1]
	v_lshrrev_b32_e32 v4, 16, v9
	ds_load_2addr_stride64_b32 v[2:3], v220 offset0:8 offset1:23
	v_add_nc_u32_e32 v5, 0x5b00, v10
	v_lshrrev_b32_e32 v8, 16, v17
	ds_load_b32 v25, v176 offset:192
	v_cvt_f32_f16_e32 v4, v4
	v_cvt_f32_f16_e32 v21, v21
	global_store_b64 v5, v[0:1], s[0:1]
	v_cvt_f32_f16_e32 v5, v15
	v_dual_add_f32 v0, 0, v6 :: v_dual_add_f32 v1, 0, v4
	v_cvt_f32_f16_e32 v6, v7
	s_delay_alu instid0(VALU_DEP_3) | instskip(SKIP_2) | instid1(VALU_DEP_4)
	v_dual_add_f32 v4, 0, v5 :: v_dual_add_nc_u32 v7, 0x6200, v10
	v_cvt_f32_f16_e32 v26, v18
	v_mov_b32_e32 v15, v29
	v_add_f32_e32 v5, 0, v6
	global_store_b64 v7, v[0:1], s[0:1]
	v_cvt_f32_f16_e32 v1, v8
	v_add_nc_u32_e32 v6, 0x6900, v10
	v_lshrrev_b32_e32 v10, 16, v14
	v_cvt_f32_f16_e32 v0, v17
	s_wait_dscnt 0x1
	v_cvt_f32_f16_e32 v16, v3
	v_add_f32_e32 v1, 0, v1
	global_store_b64 v6, v[4:5], s[0:1]
	v_lshrrev_b32_e32 v6, 16, v2
	v_cvt_f32_f16_e32 v2, v2
	v_cvt_f32_f16_e32 v11, v10
	v_dual_add_f32 v0, 0, v0 :: v_dual_mov_b32 v7, v29
	s_delay_alu instid0(VALU_DEP_4) | instskip(NEXT) | instid1(VALU_DEP_4)
	v_cvt_f32_f16_e32 v9, v6
	v_add_f32_e32 v8, 0, v2
	v_cvt_f32_f16_e32 v2, v14
	v_add_nc_u32_e32 v6, 0x1c0, v28
	v_dual_add_f32 v11, 0, v11 :: v_dual_add_nc_u32 v12, 0x380, v28
	v_lshlrev_b64_e32 v[4:5], 3, v[28:29]
	s_delay_alu instid0(VALU_DEP_4)
	v_add_f32_e32 v10, 0, v2
	v_lshrrev_b32_e32 v2, 16, v3
	v_add_f32_e32 v9, 0, v9
	v_lshlrev_b64_e32 v[6:7], 3, v[6:7]
	v_lshlrev_b64_e32 v[12:13], 3, v[12:13]
	s_wait_alu 0xfffe
	v_add_co_u32 v4, vcc_lo, s0, v4
	v_cvt_f32_f16_e32 v17, v2
	v_add_nc_u32_e32 v14, 0x540, v28
	s_wait_alu 0xfffd
	v_add_co_ci_u32_e64 v5, null, s1, v5, vcc_lo
	v_add_co_u32 v6, vcc_lo, s0, v6
	v_add_f32_e32 v17, 0, v17
	v_lshlrev_b64_e32 v[2:3], 3, v[14:15]
	ds_load_2addr_stride64_b32 v[14:15], v220 offset0:38 offset1:53
	s_wait_alu 0xfffd
	v_add_co_ci_u32_e64 v7, null, s1, v7, vcc_lo
	v_add_co_u32 v12, vcc_lo, s0, v12
	s_wait_alu 0xfffd
	v_add_co_ci_u32_e64 v13, null, s1, v13, vcc_lo
	v_add_co_u32 v2, vcc_lo, s0, v2
	v_add_f32_e32 v16, 0, v16
	s_wait_alu 0xfffd
	v_add_co_ci_u32_e64 v3, null, s1, v3, vcc_lo
	s_clause 0x3
	global_store_b64 v[4:5], v[0:1], off offset:256
	global_store_b64 v[6:7], v[8:9], off offset:256
	global_store_b64 v[12:13], v[10:11], off offset:256
	global_store_b64 v[2:3], v[16:17], off offset:256
	v_dual_add_f32 v3, 0, v26 :: v_dual_add_nc_u32 v18, 0x700, v28
	v_dual_add_f32 v2, 0, v21 :: v_dual_mov_b32 v5, v29
	v_lshrrev_b32_e32 v10, 16, v22
	s_delay_alu instid0(VALU_DEP_3)
	v_lshlrev_b64_e32 v[0:1], 3, v[18:19]
	v_mov_b32_e32 v9, v29
	s_wait_dscnt 0x0
	v_lshrrev_b32_e32 v4, 16, v14
	v_cvt_f32_f16_e32 v11, v22
	v_cvt_f32_f16_e32 v12, v10
	;; [unrolled: 1-line block ×3, first 2 shown]
	v_add_co_u32 v0, vcc_lo, s0, v0
	v_cvt_f32_f16_e32 v7, v4
	v_add_nc_u32_e32 v4, 0x8c0, v28
	s_wait_alu 0xfffd
	v_add_co_ci_u32_e64 v1, null, s1, v1, vcc_lo
	v_dual_add_f32 v10, 0, v11 :: v_dual_add_f32 v11, 0, v12
	s_delay_alu instid0(VALU_DEP_3)
	v_lshlrev_b64_e32 v[4:5], 3, v[4:5]
	v_and_or_b32 v12, 0x3ff0, v177, v20
	v_dual_add_f32 v6, 0, v6 :: v_dual_add_f32 v7, 0, v7
	v_lshrrev_b32_e32 v13, 16, v15
	v_cvt_f32_f16_e32 v14, v24
	v_add_co_u32 v4, vcc_lo, s0, v4
	s_wait_alu 0xfffd
	v_add_co_ci_u32_e64 v5, null, s1, v5, vcc_lo
	s_clause 0x1
	global_store_b64 v[0:1], v[2:3], off offset:256
	global_store_b64 v[4:5], v[6:7], off offset:256
	v_mad_u32_u24 v1, 0xf0, v12, v172
	v_lshrrev_b32_e32 v5, 16, v25
	v_mul_u32_u24_e32 v6, 56, v173
	v_cvt_f32_f16_e32 v4, v13
	v_cvt_f32_f16_e32 v0, v15
	ds_load_b32 v16, v1 offset:192
	v_cvt_f32_f16_e32 v5, v5
	v_add_nc_u32_e32 v8, 0xa80, v28
	v_add_nc_u32_e32 v28, 0xc40, v28
	v_lshrrev_b32_e32 v15, 16, v24
	v_mov_b32_e32 v13, v29
	v_add_f32_e32 v5, 0, v5
	v_lshlrev_b64_e32 v[8:9], 3, v[8:9]
	v_add_f32_e32 v14, 0, v14
	v_cvt_f32_f16_e32 v15, v15
	s_delay_alu instid0(VALU_DEP_3) | instskip(SKIP_1) | instid1(VALU_DEP_4)
	v_add_co_u32 v8, vcc_lo, s0, v8
	s_wait_alu 0xfffd
	v_add_co_ci_u32_e64 v9, null, s1, v9, vcc_lo
	s_delay_alu instid0(VALU_DEP_3)
	v_add_f32_e32 v15, 0, v15
	global_store_b64 v[8:9], v[10:11], off offset:256
	v_lshrrev_b32_e32 v8, 16, v23
	v_mov_b32_e32 v9, v29
	v_lshlrev_b64_e32 v[2:3], 3, v[28:29]
	v_or_b32_e32 v28, v6, v174
	v_cvt_f32_f16_e32 v10, v23
	v_add_f32_e32 v1, 0, v4
	v_cvt_f32_f16_e32 v4, v25
	s_wait_dscnt 0x0
	v_lshrrev_b32_e32 v17, 16, v16
	v_cvt_f32_f16_e32 v11, v8
	v_add_nc_u32_e32 v8, 0x380, v28
	v_lshlrev_b64_e32 v[6:7], 3, v[28:29]
	v_add_f32_e32 v4, 0, v4
	v_cvt_f32_f16_e32 v19, v17
	v_add_nc_u32_e32 v12, 0x700, v28
	v_add_nc_u32_e32 v28, 0xa80, v28
	v_lshlrev_b64_e32 v[8:9], 3, v[8:9]
	v_add_co_u32 v2, vcc_lo, s0, v2
	v_add_f32_e32 v19, 0, v19
	v_lshlrev_b64_e32 v[12:13], 3, v[12:13]
	s_wait_alu 0xfffd
	v_add_co_ci_u32_e64 v3, null, s1, v3, vcc_lo
	v_add_co_u32 v6, vcc_lo, s0, v6
	v_cvt_f32_f16_e32 v18, v16
	v_lshlrev_b64_e32 v[16:17], 3, v[28:29]
	s_wait_alu 0xfffd
	v_add_co_ci_u32_e64 v7, null, s1, v7, vcc_lo
	v_add_co_u32 v8, vcc_lo, s0, v8
	v_dual_add_f32 v0, 0, v0 :: v_dual_add_f32 v11, 0, v11
	s_wait_alu 0xfffd
	v_add_co_ci_u32_e64 v9, null, s1, v9, vcc_lo
	v_add_co_u32 v12, vcc_lo, s0, v12
	v_add_f32_e32 v10, 0, v10
	s_wait_alu 0xfffd
	v_add_co_ci_u32_e64 v13, null, s1, v13, vcc_lo
	v_add_co_u32 v16, vcc_lo, s0, v16
	v_add_f32_e32 v18, 0, v18
	s_wait_alu 0xfffd
	v_add_co_ci_u32_e64 v17, null, s1, v17, vcc_lo
	s_clause 0x4
	global_store_b64 v[2:3], v[0:1], off offset:256
	global_store_b64 v[6:7], v[4:5], off offset:384
	;; [unrolled: 1-line block ×5, first 2 shown]
.LBB19_659:
	s_nop 0
	s_sendmsg sendmsg(MSG_DEALLOC_VGPRS)
	s_endpgm
	.section	.rodata,"a",@progbits
	.p2align	6, 0x0
	.amdhsa_kernel _ZL18flash_attn_ext_f16ILi112ELi112ELi32ELi2ELb0ELb0EEvPKcS1_S1_S1_S1_PKiPfP15HIP_vector_typeIfLj2EEffffjfiS5_IjLj3EEiiiiiiiiiiiliiliiiiil
		.amdhsa_group_segment_fixed_size 0
		.amdhsa_private_segment_fixed_size 916
		.amdhsa_kernarg_size 464
		.amdhsa_user_sgpr_count 2
		.amdhsa_user_sgpr_dispatch_ptr 0
		.amdhsa_user_sgpr_queue_ptr 0
		.amdhsa_user_sgpr_kernarg_segment_ptr 1
		.amdhsa_user_sgpr_dispatch_id 0
		.amdhsa_user_sgpr_private_segment_size 0
		.amdhsa_wavefront_size32 1
		.amdhsa_uses_dynamic_stack 0
		.amdhsa_enable_private_segment 1
		.amdhsa_system_sgpr_workgroup_id_x 1
		.amdhsa_system_sgpr_workgroup_id_y 0
		.amdhsa_system_sgpr_workgroup_id_z 0
		.amdhsa_system_sgpr_workgroup_info 0
		.amdhsa_system_vgpr_workitem_id 1
		.amdhsa_next_free_vgpr 256
		.amdhsa_next_free_sgpr 105
		.amdhsa_reserve_vcc 1
		.amdhsa_float_round_mode_32 0
		.amdhsa_float_round_mode_16_64 0
		.amdhsa_float_denorm_mode_32 3
		.amdhsa_float_denorm_mode_16_64 3
		.amdhsa_fp16_overflow 0
		.amdhsa_workgroup_processor_mode 1
		.amdhsa_memory_ordered 1
		.amdhsa_forward_progress 1
		.amdhsa_inst_pref_size 255
		.amdhsa_round_robin_scheduling 0
		.amdhsa_exception_fp_ieee_invalid_op 0
		.amdhsa_exception_fp_denorm_src 0
		.amdhsa_exception_fp_ieee_div_zero 0
		.amdhsa_exception_fp_ieee_overflow 0
		.amdhsa_exception_fp_ieee_underflow 0
		.amdhsa_exception_fp_ieee_inexact 0
		.amdhsa_exception_int_div_zero 0
	.end_amdhsa_kernel
	.section	.text._ZL18flash_attn_ext_f16ILi112ELi112ELi32ELi2ELb0ELb0EEvPKcS1_S1_S1_S1_PKiPfP15HIP_vector_typeIfLj2EEffffjfiS5_IjLj3EEiiiiiiiiiiiliiliiiiil,"axG",@progbits,_ZL18flash_attn_ext_f16ILi112ELi112ELi32ELi2ELb0ELb0EEvPKcS1_S1_S1_S1_PKiPfP15HIP_vector_typeIfLj2EEffffjfiS5_IjLj3EEiiiiiiiiiiiliiliiiiil,comdat
.Lfunc_end19:
	.size	_ZL18flash_attn_ext_f16ILi112ELi112ELi32ELi2ELb0ELb0EEvPKcS1_S1_S1_S1_PKiPfP15HIP_vector_typeIfLj2EEffffjfiS5_IjLj3EEiiiiiiiiiiiliiliiiiil, .Lfunc_end19-_ZL18flash_attn_ext_f16ILi112ELi112ELi32ELi2ELb0ELb0EEvPKcS1_S1_S1_S1_PKiPfP15HIP_vector_typeIfLj2EEffffjfiS5_IjLj3EEiiiiiiiiiiiliiliiiiil
                                        ; -- End function
	.set _ZL18flash_attn_ext_f16ILi112ELi112ELi32ELi2ELb0ELb0EEvPKcS1_S1_S1_S1_PKiPfP15HIP_vector_typeIfLj2EEffffjfiS5_IjLj3EEiiiiiiiiiiiliiliiiiil.num_vgpr, 256
	.set _ZL18flash_attn_ext_f16ILi112ELi112ELi32ELi2ELb0ELb0EEvPKcS1_S1_S1_S1_PKiPfP15HIP_vector_typeIfLj2EEffffjfiS5_IjLj3EEiiiiiiiiiiiliiliiiiil.num_agpr, 0
	.set _ZL18flash_attn_ext_f16ILi112ELi112ELi32ELi2ELb0ELb0EEvPKcS1_S1_S1_S1_PKiPfP15HIP_vector_typeIfLj2EEffffjfiS5_IjLj3EEiiiiiiiiiiiliiliiiiil.numbered_sgpr, 105
	.set _ZL18flash_attn_ext_f16ILi112ELi112ELi32ELi2ELb0ELb0EEvPKcS1_S1_S1_S1_PKiPfP15HIP_vector_typeIfLj2EEffffjfiS5_IjLj3EEiiiiiiiiiiiliiliiiiil.num_named_barrier, 0
	.set _ZL18flash_attn_ext_f16ILi112ELi112ELi32ELi2ELb0ELb0EEvPKcS1_S1_S1_S1_PKiPfP15HIP_vector_typeIfLj2EEffffjfiS5_IjLj3EEiiiiiiiiiiiliiliiiiil.private_seg_size, 916
	.set _ZL18flash_attn_ext_f16ILi112ELi112ELi32ELi2ELb0ELb0EEvPKcS1_S1_S1_S1_PKiPfP15HIP_vector_typeIfLj2EEffffjfiS5_IjLj3EEiiiiiiiiiiiliiliiiiil.uses_vcc, 1
	.set _ZL18flash_attn_ext_f16ILi112ELi112ELi32ELi2ELb0ELb0EEvPKcS1_S1_S1_S1_PKiPfP15HIP_vector_typeIfLj2EEffffjfiS5_IjLj3EEiiiiiiiiiiiliiliiiiil.uses_flat_scratch, 1
	.set _ZL18flash_attn_ext_f16ILi112ELi112ELi32ELi2ELb0ELb0EEvPKcS1_S1_S1_S1_PKiPfP15HIP_vector_typeIfLj2EEffffjfiS5_IjLj3EEiiiiiiiiiiiliiliiiiil.has_dyn_sized_stack, 0
	.set _ZL18flash_attn_ext_f16ILi112ELi112ELi32ELi2ELb0ELb0EEvPKcS1_S1_S1_S1_PKiPfP15HIP_vector_typeIfLj2EEffffjfiS5_IjLj3EEiiiiiiiiiiiliiliiiiil.has_recursion, 0
	.set _ZL18flash_attn_ext_f16ILi112ELi112ELi32ELi2ELb0ELb0EEvPKcS1_S1_S1_S1_PKiPfP15HIP_vector_typeIfLj2EEffffjfiS5_IjLj3EEiiiiiiiiiiiliiliiiiil.has_indirect_call, 0
	.section	.AMDGPU.csdata,"",@progbits
; Kernel info:
; codeLenInByte = 118776
; TotalNumSgprs: 107
; NumVgprs: 256
; ScratchSize: 916
; MemoryBound: 0
; FloatMode: 240
; IeeeMode: 1
; LDSByteSize: 0 bytes/workgroup (compile time only)
; SGPRBlocks: 0
; VGPRBlocks: 31
; NumSGPRsForWavesPerEU: 107
; NumVGPRsForWavesPerEU: 256
; Occupancy: 5
; WaveLimiterHint : 1
; COMPUTE_PGM_RSRC2:SCRATCH_EN: 1
; COMPUTE_PGM_RSRC2:USER_SGPR: 2
; COMPUTE_PGM_RSRC2:TRAP_HANDLER: 0
; COMPUTE_PGM_RSRC2:TGID_X_EN: 1
; COMPUTE_PGM_RSRC2:TGID_Y_EN: 0
; COMPUTE_PGM_RSRC2:TGID_Z_EN: 0
; COMPUTE_PGM_RSRC2:TIDIG_COMP_CNT: 1
	.section	.text._ZL18flash_attn_ext_f16ILi112ELi112ELi32ELi2ELb1ELb0EEvPKcS1_S1_S1_S1_PKiPfP15HIP_vector_typeIfLj2EEffffjfiS5_IjLj3EEiiiiiiiiiiiliiliiiiil,"axG",@progbits,_ZL18flash_attn_ext_f16ILi112ELi112ELi32ELi2ELb1ELb0EEvPKcS1_S1_S1_S1_PKiPfP15HIP_vector_typeIfLj2EEffffjfiS5_IjLj3EEiiiiiiiiiiiliiliiiiil,comdat
	.globl	_ZL18flash_attn_ext_f16ILi112ELi112ELi32ELi2ELb1ELb0EEvPKcS1_S1_S1_S1_PKiPfP15HIP_vector_typeIfLj2EEffffjfiS5_IjLj3EEiiiiiiiiiiiliiliiiiil ; -- Begin function _ZL18flash_attn_ext_f16ILi112ELi112ELi32ELi2ELb1ELb0EEvPKcS1_S1_S1_S1_PKiPfP15HIP_vector_typeIfLj2EEffffjfiS5_IjLj3EEiiiiiiiiiiiliiliiiiil
	.p2align	8
	.type	_ZL18flash_attn_ext_f16ILi112ELi112ELi32ELi2ELb1ELb0EEvPKcS1_S1_S1_S1_PKiPfP15HIP_vector_typeIfLj2EEffffjfiS5_IjLj3EEiiiiiiiiiiiliiliiiiil,@function
_ZL18flash_attn_ext_f16ILi112ELi112ELi32ELi2ELb1ELb0EEvPKcS1_S1_S1_S1_PKiPfP15HIP_vector_typeIfLj2EEffffjfiS5_IjLj3EEiiiiiiiiiiiliiliiiiil: ; @_ZL18flash_attn_ext_f16ILi112ELi112ELi32ELi2ELb1ELb0EEvPKcS1_S1_S1_S1_PKiPfP15HIP_vector_typeIfLj2EEffffjfiS5_IjLj3EEiiiiiiiiiiiliiliiiiil
; %bb.0:
	v_mov_b32_e32 v0, 0x6cc
	s_add_nc_u64 s[8:9], s[0:1], 0xd0
	s_getpc_b64 s[0:1]
	s_sext_i32_i16 s1, s1
	s_add_co_u32 s0, s0, _ZL14no_device_codePKciS0_iS0_@rel32@lo+8
	s_add_co_ci_u32 s1, s1, _ZL14no_device_codePKciS0_iS0_@rel32@hi+16
	s_mov_b32 s32, 0
	s_swappc_b64 s[30:31], s[0:1]
	.section	.rodata,"a",@progbits
	.p2align	6, 0x0
	.amdhsa_kernel _ZL18flash_attn_ext_f16ILi112ELi112ELi32ELi2ELb1ELb0EEvPKcS1_S1_S1_S1_PKiPfP15HIP_vector_typeIfLj2EEffffjfiS5_IjLj3EEiiiiiiiiiiiliiliiiiil
		.amdhsa_group_segment_fixed_size 0
		.amdhsa_private_segment_fixed_size 16
		.amdhsa_kernarg_size 464
		.amdhsa_user_sgpr_count 2
		.amdhsa_user_sgpr_dispatch_ptr 0
		.amdhsa_user_sgpr_queue_ptr 0
		.amdhsa_user_sgpr_kernarg_segment_ptr 1
		.amdhsa_user_sgpr_dispatch_id 0
		.amdhsa_user_sgpr_private_segment_size 0
		.amdhsa_wavefront_size32 1
		.amdhsa_uses_dynamic_stack 0
		.amdhsa_enable_private_segment 1
		.amdhsa_system_sgpr_workgroup_id_x 1
		.amdhsa_system_sgpr_workgroup_id_y 0
		.amdhsa_system_sgpr_workgroup_id_z 0
		.amdhsa_system_sgpr_workgroup_info 0
		.amdhsa_system_vgpr_workitem_id 0
		.amdhsa_next_free_vgpr 40
		.amdhsa_next_free_sgpr 34
		.amdhsa_reserve_vcc 1
		.amdhsa_float_round_mode_32 0
		.amdhsa_float_round_mode_16_64 0
		.amdhsa_float_denorm_mode_32 3
		.amdhsa_float_denorm_mode_16_64 3
		.amdhsa_fp16_overflow 0
		.amdhsa_workgroup_processor_mode 1
		.amdhsa_memory_ordered 1
		.amdhsa_forward_progress 1
		.amdhsa_inst_pref_size 1
		.amdhsa_round_robin_scheduling 0
		.amdhsa_exception_fp_ieee_invalid_op 0
		.amdhsa_exception_fp_denorm_src 0
		.amdhsa_exception_fp_ieee_div_zero 0
		.amdhsa_exception_fp_ieee_overflow 0
		.amdhsa_exception_fp_ieee_underflow 0
		.amdhsa_exception_fp_ieee_inexact 0
		.amdhsa_exception_int_div_zero 0
	.end_amdhsa_kernel
	.section	.text._ZL18flash_attn_ext_f16ILi112ELi112ELi32ELi2ELb1ELb0EEvPKcS1_S1_S1_S1_PKiPfP15HIP_vector_typeIfLj2EEffffjfiS5_IjLj3EEiiiiiiiiiiiliiliiiiil,"axG",@progbits,_ZL18flash_attn_ext_f16ILi112ELi112ELi32ELi2ELb1ELb0EEvPKcS1_S1_S1_S1_PKiPfP15HIP_vector_typeIfLj2EEffffjfiS5_IjLj3EEiiiiiiiiiiiliiliiiiil,comdat
.Lfunc_end20:
	.size	_ZL18flash_attn_ext_f16ILi112ELi112ELi32ELi2ELb1ELb0EEvPKcS1_S1_S1_S1_PKiPfP15HIP_vector_typeIfLj2EEffffjfiS5_IjLj3EEiiiiiiiiiiiliiliiiiil, .Lfunc_end20-_ZL18flash_attn_ext_f16ILi112ELi112ELi32ELi2ELb1ELb0EEvPKcS1_S1_S1_S1_PKiPfP15HIP_vector_typeIfLj2EEffffjfiS5_IjLj3EEiiiiiiiiiiiliiliiiiil
                                        ; -- End function
	.set _ZL18flash_attn_ext_f16ILi112ELi112ELi32ELi2ELb1ELb0EEvPKcS1_S1_S1_S1_PKiPfP15HIP_vector_typeIfLj2EEffffjfiS5_IjLj3EEiiiiiiiiiiiliiliiiiil.num_vgpr, max(1, .L_ZL14no_device_codePKciS0_iS0_.num_vgpr)
	.set _ZL18flash_attn_ext_f16ILi112ELi112ELi32ELi2ELb1ELb0EEvPKcS1_S1_S1_S1_PKiPfP15HIP_vector_typeIfLj2EEffffjfiS5_IjLj3EEiiiiiiiiiiiliiliiiiil.num_agpr, max(0, .L_ZL14no_device_codePKciS0_iS0_.num_agpr)
	.set _ZL18flash_attn_ext_f16ILi112ELi112ELi32ELi2ELb1ELb0EEvPKcS1_S1_S1_S1_PKiPfP15HIP_vector_typeIfLj2EEffffjfiS5_IjLj3EEiiiiiiiiiiiliiliiiiil.numbered_sgpr, max(33, .L_ZL14no_device_codePKciS0_iS0_.numbered_sgpr)
	.set _ZL18flash_attn_ext_f16ILi112ELi112ELi32ELi2ELb1ELb0EEvPKcS1_S1_S1_S1_PKiPfP15HIP_vector_typeIfLj2EEffffjfiS5_IjLj3EEiiiiiiiiiiiliiliiiiil.num_named_barrier, max(0, .L_ZL14no_device_codePKciS0_iS0_.num_named_barrier)
	.set _ZL18flash_attn_ext_f16ILi112ELi112ELi32ELi2ELb1ELb0EEvPKcS1_S1_S1_S1_PKiPfP15HIP_vector_typeIfLj2EEffffjfiS5_IjLj3EEiiiiiiiiiiiliiliiiiil.private_seg_size, 0+max(.L_ZL14no_device_codePKciS0_iS0_.private_seg_size)
	.set _ZL18flash_attn_ext_f16ILi112ELi112ELi32ELi2ELb1ELb0EEvPKcS1_S1_S1_S1_PKiPfP15HIP_vector_typeIfLj2EEffffjfiS5_IjLj3EEiiiiiiiiiiiliiliiiiil.uses_vcc, or(1, .L_ZL14no_device_codePKciS0_iS0_.uses_vcc)
	.set _ZL18flash_attn_ext_f16ILi112ELi112ELi32ELi2ELb1ELb0EEvPKcS1_S1_S1_S1_PKiPfP15HIP_vector_typeIfLj2EEffffjfiS5_IjLj3EEiiiiiiiiiiiliiliiiiil.uses_flat_scratch, or(0, .L_ZL14no_device_codePKciS0_iS0_.uses_flat_scratch)
	.set _ZL18flash_attn_ext_f16ILi112ELi112ELi32ELi2ELb1ELb0EEvPKcS1_S1_S1_S1_PKiPfP15HIP_vector_typeIfLj2EEffffjfiS5_IjLj3EEiiiiiiiiiiiliiliiiiil.has_dyn_sized_stack, or(0, .L_ZL14no_device_codePKciS0_iS0_.has_dyn_sized_stack)
	.set _ZL18flash_attn_ext_f16ILi112ELi112ELi32ELi2ELb1ELb0EEvPKcS1_S1_S1_S1_PKiPfP15HIP_vector_typeIfLj2EEffffjfiS5_IjLj3EEiiiiiiiiiiiliiliiiiil.has_recursion, or(0, .L_ZL14no_device_codePKciS0_iS0_.has_recursion)
	.set _ZL18flash_attn_ext_f16ILi112ELi112ELi32ELi2ELb1ELb0EEvPKcS1_S1_S1_S1_PKiPfP15HIP_vector_typeIfLj2EEffffjfiS5_IjLj3EEiiiiiiiiiiiliiliiiiil.has_indirect_call, or(0, .L_ZL14no_device_codePKciS0_iS0_.has_indirect_call)
	.section	.AMDGPU.csdata,"",@progbits
; Kernel info:
; codeLenInByte = 48
; TotalNumSgprs: 36
; NumVgprs: 40
; ScratchSize: 16
; MemoryBound: 0
; FloatMode: 240
; IeeeMode: 1
; LDSByteSize: 0 bytes/workgroup (compile time only)
; SGPRBlocks: 0
; VGPRBlocks: 4
; NumSGPRsForWavesPerEU: 36
; NumVGPRsForWavesPerEU: 40
; Occupancy: 16
; WaveLimiterHint : 1
; COMPUTE_PGM_RSRC2:SCRATCH_EN: 1
; COMPUTE_PGM_RSRC2:USER_SGPR: 2
; COMPUTE_PGM_RSRC2:TRAP_HANDLER: 0
; COMPUTE_PGM_RSRC2:TGID_X_EN: 1
; COMPUTE_PGM_RSRC2:TGID_Y_EN: 0
; COMPUTE_PGM_RSRC2:TGID_Z_EN: 0
; COMPUTE_PGM_RSRC2:TIDIG_COMP_CNT: 0
	.section	.text._ZL33flash_attn_stream_k_fixup_uniformILi112ELi32ELi2EEvPfPK15HIP_vector_typeIfLj2EEiiiiiiS1_IjLj3EES5_S5_,"axG",@progbits,_ZL33flash_attn_stream_k_fixup_uniformILi112ELi32ELi2EEvPfPK15HIP_vector_typeIfLj2EEiiiiiiS1_IjLj3EES5_S5_,comdat
	.globl	_ZL33flash_attn_stream_k_fixup_uniformILi112ELi32ELi2EEvPfPK15HIP_vector_typeIfLj2EEiiiiiiS1_IjLj3EES5_S5_ ; -- Begin function _ZL33flash_attn_stream_k_fixup_uniformILi112ELi32ELi2EEvPfPK15HIP_vector_typeIfLj2EEiiiiiiS1_IjLj3EES5_S5_
	.p2align	8
	.type	_ZL33flash_attn_stream_k_fixup_uniformILi112ELi32ELi2EEvPfPK15HIP_vector_typeIfLj2EEiiiiiiS1_IjLj3EES5_S5_,@function
_ZL33flash_attn_stream_k_fixup_uniformILi112ELi32ELi2EEvPfPK15HIP_vector_typeIfLj2EEiiiiiiS1_IjLj3EES5_S5_: ; @_ZL33flash_attn_stream_k_fixup_uniformILi112ELi32ELi2EEvPfPK15HIP_vector_typeIfLj2EEiiiiiiS1_IjLj3EES5_S5_
; %bb.0:
	s_clause 0x1
	s_load_b256 s[4:11], s[0:1], 0x1c
	s_load_b128 s[12:15], s[0:1], 0x3c
	s_wait_kmcnt 0x0
	s_mul_hi_u32 s2, s7, ttmp9
	s_delay_alu instid0(SALU_CYCLE_1) | instskip(NEXT) | instid1(SALU_CYCLE_1)
	s_add_co_i32 s2, ttmp9, s2
	s_lshr_b32 s2, s2, s8
	s_delay_alu instid0(SALU_CYCLE_1) | instskip(SKIP_2) | instid1(SALU_CYCLE_1)
	s_mul_i32 s3, s2, s9
	s_load_b64 s[8:9], s[0:1], 0x10
	s_sub_co_i32 s3, ttmp9, s3
	s_mul_hi_u32 s7, s3, s10
	s_delay_alu instid0(SALU_CYCLE_1) | instskip(NEXT) | instid1(SALU_CYCLE_1)
	s_add_co_i32 s7, s3, s7
	s_lshr_b32 s7, s7, s11
	s_lshr_b32 s11, ttmp7, 16
	s_mul_i32 s10, s7, s12
	s_delay_alu instid0(SALU_CYCLE_1) | instskip(NEXT) | instid1(SALU_CYCLE_1)
	s_sub_co_i32 s3, s3, s10
	s_mul_hi_u32 s10, s3, s13
	s_delay_alu instid0(SALU_CYCLE_1) | instskip(NEXT) | instid1(SALU_CYCLE_1)
	s_add_co_i32 s10, s3, s10
	s_lshr_b32 s13, s10, s14
	s_delay_alu instid0(SALU_CYCLE_1) | instskip(SKIP_4) | instid1(SALU_CYCLE_1)
	s_mul_i32 s10, s13, s15
	s_lshl_b32 s13, s13, 1
	s_sub_co_i32 s12, s3, s10
	s_and_b32 s10, ttmp7, 0xffff
	s_lshl_b32 s3, s12, 5
	s_add_co_i32 s3, s3, s10
	s_wait_kmcnt 0x0
	s_cmp_lt_i32 s3, s8
	s_cselect_b32 s3, -1, 0
	s_add_co_i32 s13, s13, s11
	s_delay_alu instid0(SALU_CYCLE_1) | instskip(SKIP_1) | instid1(SALU_CYCLE_1)
	s_cmp_lt_i32 s13, s5
	s_cselect_b32 s14, -1, 0
	s_and_b32 s3, s3, s14
	s_delay_alu instid0(SALU_CYCLE_1)
	s_and_not1_b32 vcc_lo, exec_lo, s3
	s_cbranch_vccnz .LBB21_6
; %bb.1:
	s_mul_i32 s8, s2, s8
	s_mul_i32 s7, s7, s5
	s_add_co_i32 s8, s8, s10
	s_add_co_i32 s5, s13, s7
	s_mul_i32 s8, s8, s9
	s_load_b128 s[0:3], s[0:1], 0x0
	s_mul_i32 s7, s9, s12
	s_add_co_i32 s5, s5, s8
	s_mulk_i32 s7, 0xe00
	s_mulk_i32 s5, 0x70
	s_mul_i32 s8, s6, ttmp9
	v_add3_u32 v1, s5, s7, v0
	s_lshl_b32 s5, s10, 1
	s_add_co_i32 s9, s8, s6
	s_delay_alu instid0(SALU_CYCLE_1) | instskip(NEXT) | instid1(VALU_DEP_1)
	s_add_co_i32 s7, s9, -2
	v_ashrrev_i32_e32 v2, 31, v1
	s_delay_alu instid0(VALU_DEP_1) | instskip(SKIP_1) | instid1(VALU_DEP_1)
	v_lshlrev_b64_e32 v[1:2], 2, v[1:2]
	s_wait_kmcnt 0x0
	v_add_co_u32 v1, vcc_lo, s0, v1
	s_delay_alu instid0(VALU_DEP_1)
	v_add_co_ci_u32_e64 v2, null, s1, v2, vcc_lo
	s_wait_alu 0xfffe
	s_add_co_i32 s0, s5, s11
	s_lshl_b32 s1, s9, 6
	global_load_b32 v5, v[1:2], off
	s_wait_alu 0xfffe
	s_add_co_i32 s0, s0, s1
	s_wait_alu 0xfffe
	s_sub_co_i32 s0, s0, 64
	s_wait_alu 0xfffe
	s_ashr_i32 s1, s0, 31
	s_wait_alu 0xfffe
	s_lshl_b64 s[0:1], s[0:1], 3
	s_cmp_lt_i32 s7, s8
	s_wait_alu 0xfffe
	s_add_nc_u64 s[0:1], s[2:3], s[0:1]
	s_load_b32 s12, s[0:1], 0x4
	s_cbranch_scc1 .LBB21_4
; %bb.2:
	s_load_b32 s0, s[0:1], 0x0
	s_add_co_i32 s1, ttmp9, 1
	s_mulk_i32 s10, 0xe0
	s_wait_alu 0xfffe
	s_mul_i32 s1, s6, s1
	s_lshl_b32 s14, s4, 8
	s_wait_alu 0xfffe
	s_lshl_b32 s13, s1, 6
	s_mulk_i32 s1, 0x1c00
	s_add_co_i32 s13, s11, s13
	s_mulk_i32 s11, 0x70
	s_lshl_b32 s4, s4, 6
	s_add_co_i32 s10, s11, s10
	s_ashr_i32 s15, s14, 31
	s_wait_alu 0xfffe
	s_add_co_i32 s10, s10, s1
	s_add_co_i32 s1, s13, s4
	v_add3_u32 v3, s10, v0, 0xffffc800
	s_wait_kmcnt 0x0
	v_mov_b32_e32 v6, s12
	s_lshl_b64 s[6:7], s[14:15], 2
	s_wait_alu 0xfffe
	s_add_co_i32 s4, s1, s5
	s_add_nc_u64 s[6:7], s[2:3], s[6:7]
	s_add_co_i32 s1, s9, -1
	s_wait_alu 0xfffe
	s_addk_co_i32 s4, 0xff80
.LBB21_3:                               ; =>This Inner Loop Header: Depth=1
	v_ashrrev_i32_e32 v4, 31, v3
	s_wait_alu 0xfffe
	s_ashr_i32 s5, s4, 31
	v_mov_b32_e32 v10, v6
	s_wait_alu 0xfffe
	s_lshl_b64 s[10:11], s[4:5], 3
	s_wait_loadcnt 0x0
	v_mov_b32_e32 v9, v5
	v_lshlrev_b64_e32 v[7:8], 2, v[3:4]
	s_wait_alu 0xfffe
	s_add_nc_u64 s[10:11], s[2:3], s[10:11]
	v_max_num_f32_e64 v4, s0, s0
	s_load_b64 s[10:11], s[10:11], 0x0
	v_add_nc_u32_e32 v3, 0xffffe400, v3
	v_add_co_u32 v7, vcc_lo, s6, v7
	s_wait_alu 0xfffd
	v_add_co_ci_u32_e64 v8, null, s7, v8, vcc_lo
	v_readfirstlane_b32 s5, v4
	global_load_b32 v0, v[7:8], off
	s_wait_kmcnt 0x0
	v_max_num_f32_e64 v4, s10, s10
	s_delay_alu instid0(VALU_DEP_1) | instskip(SKIP_2) | instid1(SALU_CYCLE_2)
	v_readfirstlane_b32 s9, v4
	s_max_num_f32 s5, s5, s9
	s_wait_alu 0xfffe
	s_sub_f32 s0, s0, s5
	s_sub_f32 s9, s10, s5
	s_wait_alu 0xfffe
	s_delay_alu instid0(SALU_CYCLE_1) | instskip(NEXT) | instid1(SALU_CYCLE_1)
	s_mul_f32 s10, s0, 0x3fb8aa3b
	s_mul_f32 s12, s9, 0x3fb8aa3b
	s_wait_alu 0xfffe
	s_delay_alu instid0(SALU_CYCLE_1)
	s_xor_b32 s13, s10, 0x80000000
	s_rndne_f32 s14, s10
	s_wait_alu 0xfffe
	s_fmamk_f32 s13, s0, 0x3fb8aa3b, s13
	s_cmp_nlt_f32 s0, 0xc2ce8ed0
	s_rndne_f32 s15, s12
	s_sub_f32 s10, s10, s14
	s_wait_alu 0xfffe
	s_fmamk_f32 s13, s0, 0x32a5705f, s13
	s_cvt_i32_f32 s14, s14
	s_cselect_b32 vcc_lo, -1, 0
	s_cmp_ngt_f32 s0, 0x42b17218
	s_wait_alu 0xfffe
	s_add_f32 s10, s10, s13
	s_sub_f32 s13, s12, s15
	s_wait_alu 0xfffe
	s_delay_alu instid0(SALU_CYCLE_1) | instskip(SKIP_1) | instid1(TRANS32_DEP_1)
	v_s_exp_f32 s10, s10
	s_wait_alu 0xf1ff
	v_ldexp_f32 v4, s10, s14
	s_cvt_i32_f32 s10, s15
	s_delay_alu instid0(VALU_DEP_1) | instskip(SKIP_3) | instid1(VALU_DEP_1)
	v_cndmask_b32_e32 v4, 0, v4, vcc_lo
	s_cselect_b32 vcc_lo, -1, 0
	s_cmp_ge_f32 s0, 0xc1a00000
	s_wait_alu 0xfffe
	v_cndmask_b32_e32 v4, 0x7f800000, v4, vcc_lo
	s_cselect_b32 vcc_lo, -1, 0
	s_xor_b32 s0, s12, 0x80000000
	s_cmp_nlt_f32 s9, 0xc2ce8ed0
	s_wait_alu 0xfffe
	s_fmamk_f32 s0, s9, 0x3fb8aa3b, s0
	s_wait_alu 0xfffe
	s_delay_alu instid0(SALU_CYCLE_2) | instskip(SKIP_1) | instid1(SALU_CYCLE_2)
	s_fmamk_f32 s0, s9, 0x32a5705f, s0
	s_wait_alu 0xfffe
	s_add_f32 s0, s13, s0
	s_wait_alu 0xfffe
	s_delay_alu instid0(SALU_CYCLE_2) | instskip(SKIP_1) | instid1(TRANS32_DEP_1)
	v_s_exp_f32 s0, s0
	s_wait_alu 0xf1ff
	v_ldexp_f32 v7, s0, s10
	s_cselect_b32 s0, -1, 0
	s_cmp_ngt_f32 s9, 0x42b17218
	s_wait_alu 0xfffe
	s_delay_alu instid0(VALU_DEP_1) | instskip(SKIP_3) | instid1(VALU_DEP_1)
	v_cndmask_b32_e64 v7, 0, v7, s0
	s_cselect_b32 s0, -1, 0
	s_cmp_ge_f32 s9, 0xc1a00000
	s_wait_alu 0xfffe
	v_cndmask_b32_e64 v7, 0x7f800000, v7, s0
	s_cselect_b32 s0, -1, 0
	s_add_co_i32 s1, s1, -1
	s_sub_co_i32 s4, s4, 64
	s_wait_alu 0xfffe
	s_cmp_le_i32 s1, s8
	v_cndmask_b32_e64 v7, 0, v7, s0
	s_mov_b32 s0, s5
	s_wait_loadcnt 0x0
	s_delay_alu instid0(VALU_DEP_1) | instskip(NEXT) | instid1(VALU_DEP_1)
	v_dual_mul_f32 v5, v0, v7 :: v_dual_cndmask_b32 v4, 0, v4
	v_dual_mul_f32 v8, s11, v7 :: v_dual_fmac_f32 v5, v9, v4
	s_delay_alu instid0(VALU_DEP_1) | instskip(NEXT) | instid1(VALU_DEP_1)
	v_mov_b32_e32 v6, v8
	v_fmac_f32_e32 v6, v10, v4
	s_cbranch_scc0 .LBB21_3
	s_branch .LBB21_5
.LBB21_4:
	s_wait_kmcnt 0x0
	v_mov_b32_e32 v6, s12
.LBB21_5:
	s_wait_loadcnt 0x0
	s_delay_alu instid0(VALU_DEP_1) | instskip(NEXT) | instid1(VALU_DEP_1)
	v_div_scale_f32 v0, null, v6, v6, v5
	v_rcp_f32_e32 v3, v0
	s_delay_alu instid0(TRANS32_DEP_1) | instskip(NEXT) | instid1(VALU_DEP_1)
	v_fma_f32 v4, -v0, v3, 1.0
	v_fmac_f32_e32 v3, v4, v3
	v_div_scale_f32 v4, vcc_lo, v5, v6, v5
	s_delay_alu instid0(VALU_DEP_1) | instskip(NEXT) | instid1(VALU_DEP_1)
	v_mul_f32_e32 v7, v4, v3
	v_fma_f32 v8, -v0, v7, v4
	s_delay_alu instid0(VALU_DEP_1) | instskip(NEXT) | instid1(VALU_DEP_1)
	v_fmac_f32_e32 v7, v8, v3
	v_fma_f32 v0, -v0, v7, v4
	s_wait_alu 0xfffd
	s_delay_alu instid0(VALU_DEP_1) | instskip(NEXT) | instid1(VALU_DEP_1)
	v_div_fmas_f32 v0, v0, v3, v7
	v_div_fixup_f32 v0, v0, v6, v5
	global_store_b32 v[1:2], v0, off
.LBB21_6:
	s_endpgm
	.section	.rodata,"a",@progbits
	.p2align	6, 0x0
	.amdhsa_kernel _ZL33flash_attn_stream_k_fixup_uniformILi112ELi32ELi2EEvPfPK15HIP_vector_typeIfLj2EEiiiiiiS1_IjLj3EES5_S5_
		.amdhsa_group_segment_fixed_size 0
		.amdhsa_private_segment_fixed_size 0
		.amdhsa_kernarg_size 76
		.amdhsa_user_sgpr_count 2
		.amdhsa_user_sgpr_dispatch_ptr 0
		.amdhsa_user_sgpr_queue_ptr 0
		.amdhsa_user_sgpr_kernarg_segment_ptr 1
		.amdhsa_user_sgpr_dispatch_id 0
		.amdhsa_user_sgpr_private_segment_size 0
		.amdhsa_wavefront_size32 1
		.amdhsa_uses_dynamic_stack 0
		.amdhsa_enable_private_segment 0
		.amdhsa_system_sgpr_workgroup_id_x 1
		.amdhsa_system_sgpr_workgroup_id_y 1
		.amdhsa_system_sgpr_workgroup_id_z 1
		.amdhsa_system_sgpr_workgroup_info 0
		.amdhsa_system_vgpr_workitem_id 0
		.amdhsa_next_free_vgpr 11
		.amdhsa_next_free_sgpr 16
		.amdhsa_reserve_vcc 1
		.amdhsa_float_round_mode_32 0
		.amdhsa_float_round_mode_16_64 0
		.amdhsa_float_denorm_mode_32 3
		.amdhsa_float_denorm_mode_16_64 3
		.amdhsa_fp16_overflow 0
		.amdhsa_workgroup_processor_mode 1
		.amdhsa_memory_ordered 1
		.amdhsa_forward_progress 1
		.amdhsa_inst_pref_size 9
		.amdhsa_round_robin_scheduling 0
		.amdhsa_exception_fp_ieee_invalid_op 0
		.amdhsa_exception_fp_denorm_src 0
		.amdhsa_exception_fp_ieee_div_zero 0
		.amdhsa_exception_fp_ieee_overflow 0
		.amdhsa_exception_fp_ieee_underflow 0
		.amdhsa_exception_fp_ieee_inexact 0
		.amdhsa_exception_int_div_zero 0
	.end_amdhsa_kernel
	.section	.text._ZL33flash_attn_stream_k_fixup_uniformILi112ELi32ELi2EEvPfPK15HIP_vector_typeIfLj2EEiiiiiiS1_IjLj3EES5_S5_,"axG",@progbits,_ZL33flash_attn_stream_k_fixup_uniformILi112ELi32ELi2EEvPfPK15HIP_vector_typeIfLj2EEiiiiiiS1_IjLj3EES5_S5_,comdat
.Lfunc_end21:
	.size	_ZL33flash_attn_stream_k_fixup_uniformILi112ELi32ELi2EEvPfPK15HIP_vector_typeIfLj2EEiiiiiiS1_IjLj3EES5_S5_, .Lfunc_end21-_ZL33flash_attn_stream_k_fixup_uniformILi112ELi32ELi2EEvPfPK15HIP_vector_typeIfLj2EEiiiiiiS1_IjLj3EES5_S5_
                                        ; -- End function
	.set _ZL33flash_attn_stream_k_fixup_uniformILi112ELi32ELi2EEvPfPK15HIP_vector_typeIfLj2EEiiiiiiS1_IjLj3EES5_S5_.num_vgpr, 11
	.set _ZL33flash_attn_stream_k_fixup_uniformILi112ELi32ELi2EEvPfPK15HIP_vector_typeIfLj2EEiiiiiiS1_IjLj3EES5_S5_.num_agpr, 0
	.set _ZL33flash_attn_stream_k_fixup_uniformILi112ELi32ELi2EEvPfPK15HIP_vector_typeIfLj2EEiiiiiiS1_IjLj3EES5_S5_.numbered_sgpr, 16
	.set _ZL33flash_attn_stream_k_fixup_uniformILi112ELi32ELi2EEvPfPK15HIP_vector_typeIfLj2EEiiiiiiS1_IjLj3EES5_S5_.num_named_barrier, 0
	.set _ZL33flash_attn_stream_k_fixup_uniformILi112ELi32ELi2EEvPfPK15HIP_vector_typeIfLj2EEiiiiiiS1_IjLj3EES5_S5_.private_seg_size, 0
	.set _ZL33flash_attn_stream_k_fixup_uniformILi112ELi32ELi2EEvPfPK15HIP_vector_typeIfLj2EEiiiiiiS1_IjLj3EES5_S5_.uses_vcc, 1
	.set _ZL33flash_attn_stream_k_fixup_uniformILi112ELi32ELi2EEvPfPK15HIP_vector_typeIfLj2EEiiiiiiS1_IjLj3EES5_S5_.uses_flat_scratch, 0
	.set _ZL33flash_attn_stream_k_fixup_uniformILi112ELi32ELi2EEvPfPK15HIP_vector_typeIfLj2EEiiiiiiS1_IjLj3EES5_S5_.has_dyn_sized_stack, 0
	.set _ZL33flash_attn_stream_k_fixup_uniformILi112ELi32ELi2EEvPfPK15HIP_vector_typeIfLj2EEiiiiiiS1_IjLj3EES5_S5_.has_recursion, 0
	.set _ZL33flash_attn_stream_k_fixup_uniformILi112ELi32ELi2EEvPfPK15HIP_vector_typeIfLj2EEiiiiiiS1_IjLj3EES5_S5_.has_indirect_call, 0
	.section	.AMDGPU.csdata,"",@progbits
; Kernel info:
; codeLenInByte = 1148
; TotalNumSgprs: 18
; NumVgprs: 11
; ScratchSize: 0
; MemoryBound: 0
; FloatMode: 240
; IeeeMode: 1
; LDSByteSize: 0 bytes/workgroup (compile time only)
; SGPRBlocks: 0
; VGPRBlocks: 1
; NumSGPRsForWavesPerEU: 18
; NumVGPRsForWavesPerEU: 11
; Occupancy: 16
; WaveLimiterHint : 0
; COMPUTE_PGM_RSRC2:SCRATCH_EN: 0
; COMPUTE_PGM_RSRC2:USER_SGPR: 2
; COMPUTE_PGM_RSRC2:TRAP_HANDLER: 0
; COMPUTE_PGM_RSRC2:TGID_X_EN: 1
; COMPUTE_PGM_RSRC2:TGID_Y_EN: 1
; COMPUTE_PGM_RSRC2:TGID_Z_EN: 1
; COMPUTE_PGM_RSRC2:TIDIG_COMP_CNT: 0
	.section	.text._ZL33flash_attn_stream_k_fixup_generalILi112ELi32ELi2EEvPfPK15HIP_vector_typeIfLj2EEiiiiS1_IjLj3EES5_S5_S5_,"axG",@progbits,_ZL33flash_attn_stream_k_fixup_generalILi112ELi32ELi2EEvPfPK15HIP_vector_typeIfLj2EEiiiiS1_IjLj3EES5_S5_S5_,comdat
	.globl	_ZL33flash_attn_stream_k_fixup_generalILi112ELi32ELi2EEvPfPK15HIP_vector_typeIfLj2EEiiiiS1_IjLj3EES5_S5_S5_ ; -- Begin function _ZL33flash_attn_stream_k_fixup_generalILi112ELi32ELi2EEvPfPK15HIP_vector_typeIfLj2EEiiiiS1_IjLj3EES5_S5_S5_
	.p2align	8
	.type	_ZL33flash_attn_stream_k_fixup_generalILi112ELi32ELi2EEvPfPK15HIP_vector_typeIfLj2EEiiiiS1_IjLj3EES5_S5_S5_,@function
_ZL33flash_attn_stream_k_fixup_generalILi112ELi32ELi2EEvPfPK15HIP_vector_typeIfLj2EEiiiiS1_IjLj3EES5_S5_S5_: ; @_ZL33flash_attn_stream_k_fixup_generalILi112ELi32ELi2EEvPfPK15HIP_vector_typeIfLj2EEiiiiS1_IjLj3EES5_S5_S5_
; %bb.0:
	s_clause 0x1
	s_load_b128 s[4:7], s[0:1], 0x10
	s_load_b32 s16, s[0:1], 0x50
	s_mov_b32 s2, ttmp9
	s_ashr_i32 s3, ttmp9, 31
	s_mov_b32 s17, 0
	s_delay_alu instid0(SALU_CYCLE_1) | instskip(SKIP_3) | instid1(SALU_CYCLE_1)
	s_mov_b32 s8, s17
	s_wait_kmcnt 0x0
	s_ashr_i32 s19, s7, 31
	s_mov_b32 s18, s7
	s_mul_u64 s[2:3], s[18:19], s[2:3]
	s_delay_alu instid0(SALU_CYCLE_1) | instskip(NEXT) | instid1(SALU_CYCLE_1)
	s_mov_b32 s9, s3
	s_cmp_lg_u64 s[8:9], 0
	s_cbranch_scc0 .LBB22_21
; %bb.1:
	s_add_nc_u64 s[8:9], s[16:17], 0
	s_mov_b32 s15, s17
	s_xor_b64 s[8:9], s[8:9], 0
	s_mov_b32 s23, s17
	s_cvt_f32_u32 s7, s8
	s_cvt_f32_u32 s10, s9
	s_sub_nc_u64 s[12:13], 0, s[8:9]
	s_delay_alu instid0(SALU_CYCLE_2) | instskip(NEXT) | instid1(SALU_CYCLE_3)
	s_fmamk_f32 s7, s10, 0x4f800000, s7
	v_s_rcp_f32 s7, s7
	s_delay_alu instid0(TRANS32_DEP_1) | instskip(SKIP_1) | instid1(SALU_CYCLE_2)
	s_mul_f32 s7, s7, 0x5f7ffffc
	s_wait_alu 0xfffe
	s_mul_f32 s10, s7, 0x2f800000
	s_delay_alu instid0(SALU_CYCLE_3) | instskip(NEXT) | instid1(SALU_CYCLE_3)
	s_trunc_f32 s10, s10
	s_fmamk_f32 s7, s10, 0xcf800000, s7
	s_cvt_u32_f32 s11, s10
	s_wait_alu 0xfffe
	s_delay_alu instid0(SALU_CYCLE_1) | instskip(NEXT) | instid1(SALU_CYCLE_3)
	s_cvt_u32_f32 s10, s7
	s_mul_u64 s[20:21], s[12:13], s[10:11]
	s_delay_alu instid0(SALU_CYCLE_1)
	s_mul_hi_u32 s25, s10, s21
	s_mul_i32 s24, s10, s21
	s_mul_hi_u32 s14, s10, s20
	s_mul_i32 s22, s11, s20
	s_add_nc_u64 s[14:15], s[14:15], s[24:25]
	s_mul_hi_u32 s7, s11, s20
	s_mul_hi_u32 s26, s11, s21
	s_add_co_u32 s14, s14, s22
	s_wait_alu 0xfffe
	s_add_co_ci_u32 s22, s15, s7
	s_mul_i32 s20, s11, s21
	s_add_co_ci_u32 s21, s26, 0
	s_delay_alu instid0(SALU_CYCLE_1)
	s_add_nc_u64 s[14:15], s[22:23], s[20:21]
	s_mov_b32 s21, s17
	s_add_co_u32 s10, s10, s14
	s_cselect_b32 s7, -1, 0
	s_wait_alu 0xfffe
	s_cmp_lg_u32 s7, 0
	s_add_co_ci_u32 s11, s11, s15
	s_mov_b32 s15, s17
	s_mul_u64 s[12:13], s[12:13], s[10:11]
	s_delay_alu instid0(SALU_CYCLE_1)
	s_mul_hi_u32 s23, s10, s13
	s_mul_i32 s22, s10, s13
	s_mul_hi_u32 s14, s10, s12
	s_mul_i32 s20, s11, s12
	s_add_nc_u64 s[14:15], s[14:15], s[22:23]
	s_mul_hi_u32 s7, s11, s12
	s_mul_hi_u32 s24, s11, s13
	s_mul_i32 s12, s11, s13
	s_add_co_u32 s13, s14, s20
	s_wait_alu 0xfffe
	s_add_co_ci_u32 s20, s15, s7
	s_add_co_ci_u32 s13, s24, 0
	s_mov_b32 s15, s17
	s_add_nc_u64 s[12:13], s[20:21], s[12:13]
	s_delay_alu instid0(SALU_CYCLE_1) | instskip(SKIP_1) | instid1(SALU_CYCLE_1)
	s_add_co_u32 s7, s10, s12
	s_cselect_b32 s10, -1, 0
	s_cmp_lg_u32 s10, 0
	s_add_co_ci_u32 s20, s11, s13
	s_ashr_i32 s10, s3, 31
	s_delay_alu instid0(SALU_CYCLE_1) | instskip(NEXT) | instid1(SALU_CYCLE_1)
	s_mov_b32 s11, s10
	s_add_nc_u64 s[12:13], s[2:3], s[10:11]
	s_delay_alu instid0(SALU_CYCLE_1) | instskip(NEXT) | instid1(SALU_CYCLE_1)
	s_xor_b64 s[12:13], s[12:13], s[10:11]
	s_mul_hi_u32 s23, s12, s20
	s_mul_i32 s22, s12, s20
	s_wait_alu 0xfffe
	s_mul_hi_u32 s14, s12, s7
	s_mul_hi_u32 s24, s13, s7
	s_mul_i32 s7, s13, s7
	s_add_nc_u64 s[14:15], s[14:15], s[22:23]
	s_mul_hi_u32 s3, s13, s20
	s_wait_alu 0xfffe
	s_add_co_u32 s7, s14, s7
	s_mul_i32 s22, s13, s20
	s_add_co_ci_u32 s20, s15, s24
	s_add_co_ci_u32 s23, s3, 0
	s_delay_alu instid0(SALU_CYCLE_1) | instskip(NEXT) | instid1(SALU_CYCLE_1)
	s_add_nc_u64 s[14:15], s[20:21], s[22:23]
	s_mul_u64 s[20:21], s[8:9], s[14:15]
	s_delay_alu instid0(SALU_CYCLE_1)
	s_sub_co_u32 s3, s12, s20
	s_cselect_b32 s7, -1, 0
	s_sub_co_i32 s12, s13, s21
	s_wait_alu 0xfffe
	s_cmp_lg_u32 s7, 0
	s_sub_co_ci_u32 s12, s12, s9
	s_sub_co_u32 s20, s3, s8
	s_cselect_b32 s22, -1, 0
	s_delay_alu instid0(SALU_CYCLE_1) | instskip(SKIP_2) | instid1(SALU_CYCLE_1)
	s_cmp_lg_u32 s22, 0
	s_add_nc_u64 s[22:23], s[14:15], 1
	s_sub_co_ci_u32 s12, s12, 0
	s_cmp_ge_u32 s12, s9
	s_cselect_b32 s24, -1, 0
	s_cmp_ge_u32 s20, s8
	s_cselect_b32 s20, -1, 0
	s_cmp_eq_u32 s12, s9
	s_cselect_b32 s12, s20, s24
	s_add_nc_u64 s[24:25], s[14:15], 2
	s_cmp_lg_u32 s12, 0
	s_cselect_b32 s12, s24, s22
	s_cselect_b32 s20, s25, s23
	s_cmp_lg_u32 s7, 0
	s_sub_co_ci_u32 s7, s13, s21
	s_wait_alu 0xfffe
	s_cmp_ge_u32 s7, s9
	s_cselect_b32 s13, -1, 0
	s_cmp_ge_u32 s3, s8
	s_cselect_b32 s3, -1, 0
	s_cmp_eq_u32 s7, s9
	s_cselect_b32 s3, s3, s13
	s_delay_alu instid0(SALU_CYCLE_1) | instskip(SKIP_4) | instid1(SALU_CYCLE_1)
	s_cmp_lg_u32 s3, 0
	s_mov_b32 s3, s17
	s_cselect_b32 s9, s20, s15
	s_cselect_b32 s8, s12, s14
	s_xor_b64 s[10:11], s[10:11], 0
	s_xor_b64 s[8:9], s[8:9], s[10:11]
	s_delay_alu instid0(SALU_CYCLE_1)
	s_sub_nc_u64 s[20:21], s[8:9], s[10:11]
	s_and_not1_b32 vcc_lo, exec_lo, s3
	s_cbranch_vccnz .LBB22_3
.LBB22_2:
	v_cvt_f32_u32_e32 v1, s16
	s_sub_co_i32 s7, 0, s16
	s_delay_alu instid0(VALU_DEP_1) | instskip(NEXT) | instid1(TRANS32_DEP_1)
	v_rcp_iflag_f32_e32 v1, v1
	v_mul_f32_e32 v1, 0x4f7ffffe, v1
	s_delay_alu instid0(VALU_DEP_1) | instskip(NEXT) | instid1(VALU_DEP_1)
	v_cvt_u32_f32_e32 v1, v1
	v_readfirstlane_b32 s3, v1
	s_wait_alu 0xfffe
	s_mul_i32 s7, s7, s3
	s_wait_alu 0xfffe
	s_mul_hi_u32 s7, s3, s7
	s_wait_alu 0xfffe
	s_add_co_i32 s3, s3, s7
	s_delay_alu instid0(SALU_CYCLE_1) | instskip(NEXT) | instid1(SALU_CYCLE_1)
	s_mul_hi_u32 s3, s2, s3
	s_mul_i32 s7, s3, s16
	s_wait_alu 0xfffe
	s_sub_co_i32 s2, s2, s7
	s_add_co_i32 s7, s3, 1
	s_sub_co_i32 s8, s2, s16
	s_cmp_ge_u32 s2, s16
	s_wait_alu 0xfffe
	s_cselect_b32 s3, s7, s3
	s_cselect_b32 s2, s8, s2
	s_add_co_i32 s7, s3, 1
	s_cmp_ge_u32 s2, s16
	s_wait_alu 0xfffe
	s_cselect_b32 s20, s7, s3
.LBB22_3:
	s_add_co_i32 s2, ttmp9, 1
	s_mov_b32 s8, 0
	s_ashr_i32 s3, s2, 31
	s_delay_alu instid0(SALU_CYCLE_1) | instskip(NEXT) | instid1(SALU_CYCLE_1)
	s_mul_u64 s[2:3], s[18:19], s[2:3]
	s_mov_b32 s9, s3
	s_delay_alu instid0(SALU_CYCLE_1)
	s_cmp_lg_u64 s[8:9], 0
	s_cbranch_scc0 .LBB22_22
; %bb.4:
	s_add_nc_u64 s[10:11], s[16:17], 0
	s_mov_b32 s23, s8
	s_xor_b64 s[10:11], s[10:11], 0
	s_mov_b32 s27, s8
	s_cvt_f32_u32 s7, s10
	s_cvt_f32_u32 s9, s11
	s_sub_nc_u64 s[14:15], 0, s[10:11]
	s_wait_alu 0xfffe
	s_delay_alu instid0(SALU_CYCLE_1) | instskip(SKIP_1) | instid1(SALU_CYCLE_2)
	s_fmamk_f32 s7, s9, 0x4f800000, s7
	s_wait_alu 0xfffe
	v_s_rcp_f32 s7, s7
	s_delay_alu instid0(TRANS32_DEP_1) | instskip(SKIP_1) | instid1(SALU_CYCLE_2)
	s_mul_f32 s7, s7, 0x5f7ffffc
	s_wait_alu 0xfffe
	s_mul_f32 s9, s7, 0x2f800000
	s_delay_alu instid0(SALU_CYCLE_3) | instskip(NEXT) | instid1(SALU_CYCLE_3)
	s_trunc_f32 s9, s9
	s_fmamk_f32 s7, s9, 0xcf800000, s7
	s_cvt_u32_f32 s13, s9
	s_wait_alu 0xfffe
	s_delay_alu instid0(SALU_CYCLE_1) | instskip(NEXT) | instid1(SALU_CYCLE_3)
	s_cvt_u32_f32 s12, s7
	s_mul_u64 s[24:25], s[14:15], s[12:13]
	s_delay_alu instid0(SALU_CYCLE_1)
	s_mul_hi_u32 s29, s12, s25
	s_mul_i32 s28, s12, s25
	s_mul_hi_u32 s22, s12, s24
	s_mul_i32 s9, s13, s24
	s_add_nc_u64 s[22:23], s[22:23], s[28:29]
	s_mul_hi_u32 s7, s13, s24
	s_mul_hi_u32 s21, s13, s25
	s_add_co_u32 s9, s22, s9
	s_wait_alu 0xfffe
	s_add_co_ci_u32 s26, s23, s7
	s_mul_i32 s24, s13, s25
	s_add_co_ci_u32 s25, s21, 0
	s_delay_alu instid0(SALU_CYCLE_1)
	s_add_nc_u64 s[22:23], s[26:27], s[24:25]
	s_mov_b32 s25, s8
	s_add_co_u32 s12, s12, s22
	s_cselect_b32 s7, -1, 0
	s_wait_alu 0xfffe
	s_cmp_lg_u32 s7, 0
	s_add_co_ci_u32 s13, s13, s23
	s_mov_b32 s23, s8
	s_mul_u64 s[14:15], s[14:15], s[12:13]
	s_delay_alu instid0(SALU_CYCLE_1)
	s_mul_hi_u32 s27, s12, s15
	s_mul_i32 s26, s12, s15
	s_mul_hi_u32 s22, s12, s14
	s_mul_i32 s9, s13, s14
	s_add_nc_u64 s[22:23], s[22:23], s[26:27]
	s_mul_hi_u32 s7, s13, s14
	s_mul_hi_u32 s21, s13, s15
	s_add_co_u32 s9, s22, s9
	s_wait_alu 0xfffe
	s_add_co_ci_u32 s24, s23, s7
	s_mul_i32 s14, s13, s15
	s_add_co_ci_u32 s15, s21, 0
	s_mov_b32 s23, s8
	s_add_nc_u64 s[14:15], s[24:25], s[14:15]
	s_delay_alu instid0(SALU_CYCLE_1) | instskip(SKIP_1) | instid1(SALU_CYCLE_1)
	s_add_co_u32 s7, s12, s14
	s_cselect_b32 s9, -1, 0
	s_cmp_lg_u32 s9, 0
	s_add_co_ci_u32 s9, s13, s15
	s_ashr_i32 s12, s3, 31
	s_delay_alu instid0(SALU_CYCLE_1) | instskip(NEXT) | instid1(SALU_CYCLE_1)
	s_mov_b32 s13, s12
	s_add_nc_u64 s[14:15], s[2:3], s[12:13]
	s_delay_alu instid0(SALU_CYCLE_1) | instskip(NEXT) | instid1(SALU_CYCLE_1)
	s_xor_b64 s[14:15], s[14:15], s[12:13]
	s_mul_hi_u32 s27, s14, s9
	s_mul_i32 s26, s14, s9
	s_wait_alu 0xfffe
	s_mul_hi_u32 s22, s14, s7
	s_mul_hi_u32 s21, s15, s7
	s_mul_i32 s7, s15, s7
	s_add_nc_u64 s[22:23], s[22:23], s[26:27]
	s_mul_hi_u32 s3, s15, s9
	s_wait_alu 0xfffe
	s_add_co_u32 s7, s22, s7
	s_add_co_ci_u32 s24, s23, s21
	s_mul_i32 s26, s15, s9
	s_add_co_ci_u32 s27, s3, 0
	s_delay_alu instid0(SALU_CYCLE_1) | instskip(NEXT) | instid1(SALU_CYCLE_1)
	s_add_nc_u64 s[22:23], s[24:25], s[26:27]
	s_mul_u64 s[24:25], s[10:11], s[22:23]
	s_add_nc_u64 s[26:27], s[22:23], 1
	s_sub_co_u32 s3, s14, s24
	s_cselect_b32 s7, -1, 0
	s_sub_co_i32 s9, s15, s25
	s_wait_alu 0xfffe
	s_cmp_lg_u32 s7, 0
	s_add_nc_u64 s[28:29], s[22:23], 2
	s_sub_co_ci_u32 s9, s9, s11
	s_sub_co_u32 s14, s3, s10
	s_cselect_b32 s21, -1, 0
	s_delay_alu instid0(SALU_CYCLE_1) | instskip(SKIP_1) | instid1(SALU_CYCLE_1)
	s_cmp_lg_u32 s21, 0
	s_sub_co_ci_u32 s9, s9, 0
	s_cmp_ge_u32 s9, s11
	s_cselect_b32 s21, -1, 0
	s_cmp_ge_u32 s14, s10
	s_cselect_b32 s14, -1, 0
	s_cmp_eq_u32 s9, s11
	s_cselect_b32 s9, s14, s21
	s_delay_alu instid0(SALU_CYCLE_1)
	s_cmp_lg_u32 s9, 0
	s_cselect_b32 s9, s28, s26
	s_cselect_b32 s14, s29, s27
	s_cmp_lg_u32 s7, 0
	s_sub_co_ci_u32 s7, s15, s25
	s_wait_alu 0xfffe
	s_cmp_ge_u32 s7, s11
	s_cselect_b32 s15, -1, 0
	s_cmp_ge_u32 s3, s10
	s_cselect_b32 s3, -1, 0
	s_cmp_eq_u32 s7, s11
	s_cselect_b32 s3, s3, s15
	s_delay_alu instid0(SALU_CYCLE_1) | instskip(SKIP_3) | instid1(SALU_CYCLE_1)
	s_cmp_lg_u32 s3, 0
	s_cselect_b32 s11, s14, s23
	s_cselect_b32 s10, s9, s22
	s_xor_b64 s[12:13], s[12:13], 0
	s_xor_b64 s[10:11], s[10:11], s[12:13]
	s_delay_alu instid0(SALU_CYCLE_1)
	s_sub_nc_u64 s[10:11], s[10:11], s[12:13]
	s_load_b96 s[12:14], s[0:1], 0x44
	s_and_not1_b32 vcc_lo, exec_lo, s8
	s_cbranch_vccnz .LBB22_6
.LBB22_5:
	v_cvt_f32_u32_e32 v1, s16
	s_sub_co_i32 s7, 0, s16
	s_delay_alu instid0(VALU_DEP_1) | instskip(NEXT) | instid1(TRANS32_DEP_1)
	v_rcp_iflag_f32_e32 v1, v1
	v_mul_f32_e32 v1, 0x4f7ffffe, v1
	s_delay_alu instid0(VALU_DEP_1) | instskip(NEXT) | instid1(VALU_DEP_1)
	v_cvt_u32_f32_e32 v1, v1
	v_readfirstlane_b32 s3, v1
	s_wait_alu 0xfffe
	s_mul_i32 s7, s7, s3
	s_wait_alu 0xfffe
	s_mul_hi_u32 s7, s3, s7
	s_wait_alu 0xfffe
	s_add_co_i32 s3, s3, s7
	s_delay_alu instid0(SALU_CYCLE_1) | instskip(NEXT) | instid1(SALU_CYCLE_1)
	s_mul_hi_u32 s3, s2, s3
	s_mul_i32 s7, s3, s16
	s_wait_alu 0xfffe
	s_sub_co_i32 s2, s2, s7
	s_add_co_i32 s7, s3, 1
	s_sub_co_i32 s8, s2, s16
	s_cmp_ge_u32 s2, s16
	s_wait_alu 0xfffe
	s_cselect_b32 s3, s7, s3
	s_cselect_b32 s2, s8, s2
	s_add_co_i32 s7, s3, 1
	s_cmp_ge_u32 s2, s16
	s_wait_alu 0xfffe
	s_cselect_b32 s10, s7, s3
.LBB22_6:
	s_mov_b32 s21, 0
	s_wait_kmcnt 0x0
	s_mov_b32 s22, s12
	s_mov_b32 s23, s21
	s_cmp_eq_u32 s20, s10
	s_mul_u64 s[2:3], s[20:21], s[22:23]
	s_cselect_b32 s7, -1, 0
	s_add_co_i32 s2, s3, s20
	s_mov_b32 s11, s21
	s_lshr_b32 s12, s2, s13
	s_mul_u64 s[2:3], s[10:11], s[22:23]
	s_mul_i32 s2, s12, s14
	s_delay_alu instid0(SALU_CYCLE_1) | instskip(SKIP_2) | instid1(SALU_CYCLE_1)
	s_cmp_eq_u32 s2, s20
	s_cselect_b32 s2, -1, 0
	s_add_co_i32 s3, s3, s10
	s_lshr_b32 s3, s3, s13
	s_delay_alu instid0(SALU_CYCLE_1)
	s_cmp_eq_u32 s12, s3
	s_mul_i32 s3, s3, s14
	s_cselect_b32 s8, -1, 0
	s_cmp_lg_u32 s3, s10
	s_cselect_b32 s3, -1, 0
	s_wait_alu 0xfffe
	s_or_b32 s2, s7, s2
	s_and_b32 s3, s8, s3
	s_delay_alu instid0(SALU_CYCLE_1) | instskip(NEXT) | instid1(SALU_CYCLE_1)
	s_or_b32 s2, s2, s3
	s_and_b32 vcc_lo, exec_lo, s2
	s_cbranch_vccnz .LBB22_24
; %bb.7:
	s_load_b256 s[24:31], s[0:1], 0x20
	s_mov_b32 s3, s21
	s_wait_kmcnt 0x0
	s_mov_b32 s2, s24
	s_delay_alu instid0(SALU_CYCLE_1) | instskip(NEXT) | instid1(SALU_CYCLE_1)
	s_mul_u64 s[2:3], s[20:21], s[2:3]
	s_add_co_i32 s2, s3, s20
	s_delay_alu instid0(SALU_CYCLE_1) | instskip(SKIP_2) | instid1(SALU_CYCLE_1)
	s_lshr_b32 s7, s2, s25
	s_load_b32 s2, s[0:1], 0x40
	s_mul_i32 s3, s7, s26
	s_sub_co_i32 s3, s20, s3
	s_delay_alu instid0(SALU_CYCLE_1) | instskip(NEXT) | instid1(SALU_CYCLE_1)
	s_mul_hi_u32 s8, s3, s27
	s_add_co_i32 s8, s3, s8
	s_delay_alu instid0(SALU_CYCLE_1) | instskip(NEXT) | instid1(SALU_CYCLE_1)
	s_lshr_b32 s15, s8, s28
	s_mul_i32 s8, s15, s29
	s_delay_alu instid0(SALU_CYCLE_1) | instskip(NEXT) | instid1(SALU_CYCLE_1)
	s_sub_co_i32 s8, s3, s8
	s_mul_hi_u32 s3, s8, s30
	s_delay_alu instid0(SALU_CYCLE_1) | instskip(NEXT) | instid1(SALU_CYCLE_1)
	s_add_co_i32 s3, s8, s3
	s_lshr_b32 s10, s3, s31
	s_mov_b32 s3, s21
	s_wait_kmcnt 0x0
	s_mul_i32 s2, s10, s2
	s_lshl_b32 s24, s10, 1
	s_sub_co_i32 s2, s8, s2
	s_delay_alu instid0(SALU_CYCLE_1) | instskip(SKIP_2) | instid1(SALU_CYCLE_1)
	s_mul_u64 s[8:9], s[2:3], s[22:23]
	s_lshr_b32 s3, ttmp7, 16
	s_add_co_i32 s2, s2, s9
	s_lshr_b32 s21, s2, s13
	s_and_b32 s2, ttmp7, 0xffff
	s_lshl_b32 s8, s21, 5
	s_delay_alu instid0(SALU_CYCLE_1) | instskip(NEXT) | instid1(SALU_CYCLE_1)
	s_add_co_i32 s8, s8, s2
	s_cmp_lt_i32 s8, s4
	s_cselect_b32 s8, -1, 0
	s_add_co_i32 s24, s24, s3
	s_delay_alu instid0(SALU_CYCLE_1) | instskip(SKIP_1) | instid1(SALU_CYCLE_1)
	s_cmp_lt_i32 s24, s6
	s_cselect_b32 s9, -1, 0
	s_and_b32 s8, s8, s9
	s_delay_alu instid0(SALU_CYCLE_1)
	s_and_not1_b32 vcc_lo, exec_lo, s8
	s_cbranch_vccnz .LBB22_24
; %bb.8:
	s_mul_i32 s4, s7, s4
	s_load_b128 s[8:11], s[0:1], 0x0
	s_add_co_i32 s0, s4, s2
	s_mul_i32 s15, s15, s6
	s_mul_i32 s0, s0, s5
	s_add_co_i32 s1, s24, s15
	s_mul_i32 s4, s5, s21
	s_add_co_i32 s0, s1, s0
	s_mulk_i32 s4, 0xe00
	s_mulk_i32 s0, 0x70
	s_lshl_b32 s15, s2, 1
	v_add3_u32 v1, s4, s0, v0
	s_add_nc_u64 s[0:1], s[16:17], 0
	s_add_co_i32 s15, s15, s3
	s_wait_alu 0xfffe
	s_xor_b64 s[6:7], s[0:1], 0
	s_lshl_b32 s0, ttmp9, 6
	v_ashrrev_i32_e32 v2, 31, v1
	s_wait_alu 0xfffe
	s_cvt_f32_u32 s1, s6
	s_cvt_f32_u32 s2, s7
	s_add_co_i32 s0, s15, s0
	v_cvt_f32_u32_e32 v3, s16
	v_lshlrev_b64_e32 v[1:2], 2, v[1:2]
	s_wait_alu 0xfffe
	s_fmamk_f32 s2, s2, 0x4f800000, s1
	s_ashr_i32 s1, s0, 31
	s_add_co_i32 s34, ttmp9, -1
	s_wait_alu 0xfffe
	s_lshl_b64 s[0:1], s[0:1], 3
	v_s_rcp_f32 s2, s2
	s_wait_kmcnt 0x0
	v_add_co_u32 v1, vcc_lo, s8, v1
	s_delay_alu instid0(VALU_DEP_1)
	v_add_co_ci_u32_e64 v2, null, s9, v2, vcc_lo
	s_wait_alu 0xfffe
	s_add_nc_u64 s[0:1], s[10:11], s[0:1]
	v_rcp_iflag_f32_e32 v3, v3
	s_load_b64 s[26:27], s[0:1], 0x0
	global_load_b32 v5, v[1:2], off
	s_mul_f32 s2, s2, 0x5f7ffffc
	s_mov_b32 s8, 0
	s_lshl_b32 s0, s16, 8
	s_wait_alu 0xfffe
	s_mov_b32 s1, s8
	s_mul_f32 s3, s2, 0x2f800000
	s_wait_alu 0xfffe
	s_lshl_b64 s[0:1], s[0:1], 2
	s_sub_nc_u64 s[30:31], 0, s[6:7]
	v_mul_f32_e32 v6, 0x4f7ffffe, v3
	s_trunc_f32 s3, s3
	s_wait_alu 0xfffe
	s_add_nc_u64 s[24:25], s[10:11], s[0:1]
	v_mad_co_u64_u32 v[3:4], null, 0x70, s15, v[0:1]
	s_fmamk_f32 s0, s3, 0xcf800000, s2
	v_cvt_u32_f32_e32 v0, v6
	s_cvt_u32_f32 s29, s3
	s_wait_alu 0xfffe
	s_cvt_u32_f32 s28, s0
	s_wait_kmcnt 0x0
	v_mov_b32_e32 v4, s27
.LBB22_9:                               ; =>This Inner Loop Header: Depth=1
	s_wait_alu 0xfffe
	s_ashr_i32 s35, s34, 31
	s_mov_b32 s2, -1
	s_wait_alu 0xfffe
	s_mul_u64 s[0:1], s[34:35], s[18:19]
                                        ; implicit-def: $sgpr38_sgpr39
	s_wait_alu 0xfffe
	s_mov_b32 s9, s1
	s_wait_alu 0xfffe
	s_cmp_lg_u64 s[8:9], 0
	s_cbranch_scc0 .LBB22_11
; %bb.10:                               ;   in Loop: Header=BB22_9 Depth=1
	s_mul_u64 s[2:3], s[30:31], s[28:29]
	s_mov_b32 s37, s8
	s_wait_alu 0xfffe
	s_mul_hi_u32 s5, s28, s3
	s_mul_i32 s4, s28, s3
	s_mul_hi_u32 s36, s28, s2
	s_mul_hi_u32 s9, s29, s2
	s_wait_alu 0xfffe
	s_add_nc_u64 s[4:5], s[36:37], s[4:5]
	s_mul_i32 s2, s29, s2
	s_mul_hi_u32 s17, s29, s3
	s_wait_alu 0xfffe
	s_add_co_u32 s2, s4, s2
	s_add_co_ci_u32 s2, s5, s9
	s_add_co_ci_u32 s5, s17, 0
	s_mul_i32 s4, s29, s3
	s_mov_b32 s3, s8
	s_mov_b32 s39, s8
	s_wait_alu 0xfffe
	s_add_nc_u64 s[2:3], s[2:3], s[4:5]
	s_wait_alu 0xfffe
	s_add_co_u32 s2, s28, s2
	s_cselect_b32 s4, -1, 0
	s_wait_alu 0xfffe
	s_cmp_lg_u32 s4, 0
	s_add_co_ci_u32 s3, s29, s3
	s_wait_alu 0xfffe
	s_mul_u64 s[4:5], s[30:31], s[2:3]
	s_wait_alu 0xfffe
	s_mul_hi_u32 s37, s2, s5
	s_mul_i32 s36, s2, s5
	s_mul_hi_u32 s38, s2, s4
	s_mul_hi_u32 s9, s3, s4
	s_mul_i32 s4, s3, s4
	s_wait_alu 0xfffe
	s_add_nc_u64 s[36:37], s[38:39], s[36:37]
	s_mul_hi_u32 s17, s3, s5
	s_wait_alu 0xfffe
	s_add_co_u32 s4, s36, s4
	s_add_co_ci_u32 s4, s37, s9
	s_add_co_ci_u32 s37, s17, 0
	s_mul_i32 s36, s3, s5
	s_mov_b32 s5, s8
	s_wait_alu 0xfffe
	s_add_nc_u64 s[4:5], s[4:5], s[36:37]
	s_mov_b32 s37, s8
	s_wait_alu 0xfffe
	s_add_co_u32 s9, s2, s4
	s_cselect_b32 s2, -1, 0
	s_wait_alu 0xfffe
	s_cmp_lg_u32 s2, 0
	s_add_co_ci_u32 s17, s3, s5
	s_ashr_i32 s2, s1, 31
	s_wait_alu 0xfffe
	s_mov_b32 s3, s2
	s_wait_alu 0xfffe
	s_add_nc_u64 s[4:5], s[0:1], s[2:3]
	s_wait_alu 0xfffe
	s_xor_b64 s[4:5], s[4:5], s[2:3]
	s_wait_alu 0xfffe
	s_mul_hi_u32 s39, s4, s17
	s_mul_i32 s38, s4, s17
	s_mul_hi_u32 s36, s4, s9
	s_mul_i32 s21, s5, s9
	s_wait_alu 0xfffe
	s_add_nc_u64 s[36:37], s[36:37], s[38:39]
	s_mul_hi_u32 s9, s5, s9
	s_mul_hi_u32 s1, s5, s17
	s_wait_alu 0xfffe
	s_add_co_u32 s21, s36, s21
	s_add_co_ci_u32 s36, s37, s9
	s_add_co_ci_u32 s39, s1, 0
	s_mul_i32 s38, s5, s17
	s_mov_b32 s37, s8
	s_wait_alu 0xfffe
	s_add_nc_u64 s[36:37], s[36:37], s[38:39]
	s_wait_alu 0xfffe
	s_mul_u64 s[38:39], s[6:7], s[36:37]
	s_add_nc_u64 s[40:41], s[36:37], 1
	s_sub_co_u32 s1, s4, s38
	s_cselect_b32 s4, -1, 0
	s_sub_co_i32 s9, s5, s39
	s_wait_alu 0xfffe
	s_cmp_lg_u32 s4, 0
	s_add_nc_u64 s[42:43], s[36:37], 2
	s_sub_co_ci_u32 s9, s9, s7
	s_sub_co_u32 s17, s1, s6
	s_cselect_b32 s21, -1, 0
	s_delay_alu instid0(SALU_CYCLE_1)
	s_cmp_lg_u32 s21, 0
	s_wait_alu 0xfffe
	s_sub_co_ci_u32 s9, s9, 0
	s_wait_alu 0xfffe
	s_cmp_ge_u32 s9, s7
	s_cselect_b32 s21, -1, 0
	s_cmp_ge_u32 s17, s6
	s_cselect_b32 s17, -1, 0
	s_cmp_eq_u32 s9, s7
	s_wait_alu 0xfffe
	s_cselect_b32 s9, s17, s21
	s_wait_alu 0xfffe
	s_cmp_lg_u32 s9, 0
	s_cselect_b32 s9, s42, s40
	s_cselect_b32 s17, s43, s41
	s_cmp_lg_u32 s4, 0
	s_sub_co_ci_u32 s4, s5, s39
	s_wait_alu 0xfffe
	s_cmp_ge_u32 s4, s7
	s_cselect_b32 s5, -1, 0
	s_cmp_ge_u32 s1, s6
	s_cselect_b32 s1, -1, 0
	s_cmp_eq_u32 s4, s7
	s_wait_alu 0xfffe
	s_cselect_b32 s1, s1, s5
	s_wait_alu 0xfffe
	s_cmp_lg_u32 s1, 0
	s_cselect_b32 s5, s17, s37
	s_cselect_b32 s4, s9, s36
	s_xor_b64 s[2:3], s[2:3], 0
	s_wait_alu 0xfffe
	s_xor_b64 s[4:5], s[4:5], s[2:3]
	s_wait_alu 0xfffe
	s_sub_nc_u64 s[38:39], s[4:5], s[2:3]
	s_mov_b32 s2, 0
.LBB22_11:                              ;   in Loop: Header=BB22_9 Depth=1
	s_wait_alu 0xfffe
	s_and_not1_b32 vcc_lo, exec_lo, s2
	s_wait_alu 0xfffe
	s_cbranch_vccnz .LBB22_13
; %bb.12:                               ;   in Loop: Header=BB22_9 Depth=1
	v_readfirstlane_b32 s1, v0
	s_sub_co_i32 s2, 0, s16
	s_wait_alu 0xfffe
	s_mul_i32 s2, s2, s1
	s_wait_alu 0xfffe
	s_mul_hi_u32 s2, s1, s2
	s_wait_alu 0xfffe
	s_add_co_i32 s1, s1, s2
	s_wait_alu 0xfffe
	s_mul_hi_u32 s1, s0, s1
	s_wait_alu 0xfffe
	s_mul_i32 s2, s1, s16
	s_wait_alu 0xfffe
	s_sub_co_i32 s0, s0, s2
	s_add_co_i32 s2, s1, 1
	s_wait_alu 0xfffe
	s_sub_co_i32 s3, s0, s16
	s_cmp_ge_u32 s0, s16
	s_cselect_b32 s1, s2, s1
	s_wait_alu 0xfffe
	s_cselect_b32 s0, s3, s0
	s_add_co_i32 s2, s1, 1
	s_wait_alu 0xfffe
	s_cmp_ge_u32 s0, s16
	s_cselect_b32 s38, s2, s1
.LBB22_13:                              ;   in Loop: Header=BB22_9 Depth=1
	v_readfirstlane_b32 s9, v0
	s_cmp_lg_u32 s20, s38
	s_mov_b32 s0, -1
                                        ; implicit-def: $sgpr21
                                        ; implicit-def: $vgpr6
                                        ; implicit-def: $vgpr7
                                        ; implicit-def: $sgpr17
                                        ; implicit-def: $sgpr27
	s_cbranch_scc1 .LBB22_16
; %bb.14:                               ;   in Loop: Header=BB22_9 Depth=1
	s_wait_alu 0xfffe
	s_and_not1_b32 vcc_lo, exec_lo, s0
	s_wait_alu 0xfffe
	s_cbranch_vccz .LBB22_19
.LBB22_15:                              ;   in Loop: Header=BB22_9 Depth=1
	s_and_not1_b32 vcc_lo, exec_lo, s21
	s_wait_alu 0xfffe
	s_cbranch_vccnz .LBB22_20
	s_branch .LBB22_23
.LBB22_16:                              ;   in Loop: Header=BB22_9 Depth=1
	s_add_co_i32 s0, s34, s16
	s_mov_b32 s1, s8
	s_wait_alu 0xfffe
	s_lshl_b32 s0, s0, 6
	v_max_num_f32_e64 v6, s26, s26
	s_wait_alu 0xfffe
	s_add_co_i32 s0, s0, s15
	s_mov_b32 s39, s8
	s_wait_alu 0xfffe
	s_lshl_b64 s[0:1], s[0:1], 3
	s_mul_u64 s[40:41], s[38:39], s[22:23]
	s_wait_alu 0xfffe
	s_add_nc_u64 s[0:1], s[10:11], s[0:1]
	s_mov_b32 s27, s20
	s_load_b64 s[36:37], s[0:1], 0x0
	v_readfirstlane_b32 s0, v6
	s_wait_kmcnt 0x0
	v_max_num_f32_e64 v7, s36, s36
	s_delay_alu instid0(VALU_DEP_1) | instskip(SKIP_2) | instid1(SALU_CYCLE_2)
	v_readfirstlane_b32 s1, v7
	s_max_num_f32 s9, s0, s1
	s_wait_alu 0xfffe
	s_sub_f32 s33, s26, s9
	s_sub_f32 s35, s36, s9
	s_wait_alu 0xfffe
	s_delay_alu instid0(SALU_CYCLE_1)
	s_cmp_nlt_f32 s33, 0xc2ce8ed0
	s_cselect_b32 s0, -1, 0
	s_cmp_ngt_f32 s33, 0x42b17218
	s_cselect_b32 s1, -1, 0
	s_cmp_ge_f32 s33, 0xc1a00000
	s_cselect_b32 s2, -1, 0
	s_cmp_nlt_f32 s35, 0xc2ce8ed0
	s_cselect_b32 s3, -1, 0
	s_cmp_ngt_f32 s35, 0x42b17218
	s_cselect_b32 s4, -1, 0
	s_cmp_ge_f32 s35, 0xc1a00000
	s_cselect_b32 s5, -1, 0
	s_add_co_i32 s17, s41, s38
	s_wait_alu 0xfffe
	s_lshr_b32 s17, s17, s13
	s_wait_alu 0xfffe
	s_mul_i32 s21, s17, s14
	s_delay_alu instid0(SALU_CYCLE_1)
	s_cmp_eq_u32 s21, s38
	s_cselect_b32 s21, -1, 0
	s_cmp_lt_u32 s17, s12
	s_cselect_b32 s17, -1, 0
	s_wait_alu 0xfffe
	s_or_b32 s17, s17, s21
	s_mov_b32 s21, -1
	s_wait_alu 0xfffe
	s_and_b32 vcc_lo, exec_lo, s17
	s_mov_b32 s17, s34
	s_wait_alu 0xfffe
	s_cbranch_vccnz .LBB22_18
; %bb.17:                               ;   in Loop: Header=BB22_9 Depth=1
	s_add_co_i32 s17, s34, -1
	s_mov_b32 s21, 0
	s_mov_b32 s27, s38
.LBB22_18:                              ;   in Loop: Header=BB22_9 Depth=1
	v_mad_co_u64_u32 v[6:7], null, 0x1c00, s34, v[3:4]
	s_mul_f32 s36, s35, 0x3fb8aa3b
	s_mul_f32 s38, s33, 0x3fb8aa3b
	s_wait_alu 0xfffe
	s_delay_alu instid0(SALU_CYCLE_1)
	s_xor_b32 s39, s36, 0x80000000
	s_rndne_f32 s40, s36
	v_ashrrev_i32_e32 v7, 31, v6
	s_fmamk_f32 s39, s35, 0x3fb8aa3b, s39
	s_xor_b32 s41, s38, 0x80000000
	s_sub_f32 s36, s36, s40
	s_rndne_f32 s42, s38
	v_lshlrev_b64_e32 v[6:7], 2, v[6:7]
	s_fmamk_f32 s35, s35, 0x32a5705f, s39
	s_fmamk_f32 s39, s33, 0x3fb8aa3b, s41
	s_sub_f32 s38, s38, s42
	s_wait_alu 0xfffe
	s_add_f32 s35, s36, s35
	v_add_co_u32 v6, vcc_lo, s24, v6
	s_wait_alu 0xfffd
	v_add_co_ci_u32_e64 v7, null, s25, v7, vcc_lo
	s_fmamk_f32 s33, s33, 0x32a5705f, s39
	s_wait_alu 0xfffe
	v_s_exp_f32 s35, s35
	s_cvt_i32_f32 s36, s40
	global_load_b32 v6, v[6:7], off
	s_add_f32 s33, s38, s33
	s_wait_alu 0xfffe
	s_delay_alu instid0(SALU_CYCLE_2) | instskip(SKIP_2) | instid1(VALU_DEP_1)
	v_s_exp_f32 s33, s33
	v_ldexp_f32 v7, s35, s36
	s_cvt_i32_f32 s35, s42
	v_cndmask_b32_e64 v7, 0, v7, s3
	s_wait_alu 0xf1fe
	s_delay_alu instid0(TRANS32_DEP_1) | instid1(SALU_CYCLE_1)
	v_ldexp_f32 v8, s33, s35
	s_delay_alu instid0(VALU_DEP_2) | instskip(NEXT) | instid1(VALU_DEP_2)
	v_cndmask_b32_e64 v7, 0x7f800000, v7, s4
	v_cndmask_b32_e64 v8, 0, v8, s0
	s_delay_alu instid0(VALU_DEP_2) | instskip(NEXT) | instid1(VALU_DEP_2)
	v_cndmask_b32_e64 v7, 0, v7, s5
	v_cndmask_b32_e64 v8, 0x7f800000, v8, s1
	s_delay_alu instid0(VALU_DEP_1) | instskip(SKIP_1) | instid1(VALU_DEP_3)
	v_cndmask_b32_e64 v8, 0, v8, s2
	s_wait_loadcnt 0x0
	v_mul_f32_e32 v6, v6, v7
	v_mul_f32_e32 v7, s37, v7
	s_delay_alu instid0(VALU_DEP_1) | instskip(NEXT) | instid1(VALU_DEP_3)
	v_fmac_f32_e32 v7, v4, v8
	v_fmac_f32_e32 v6, v5, v8
	s_cbranch_execnz .LBB22_15
.LBB22_19:                              ;   in Loop: Header=BB22_9 Depth=1
	s_wait_loadcnt 0x0
	v_dual_mov_b32 v7, v4 :: v_dual_mov_b32 v6, v5
	s_add_co_i32 s17, s34, -1
	s_mov_b32 s27, s20
	s_mov_b32 s9, s26
	s_cbranch_execz .LBB22_23
.LBB22_20:                              ;   in Loop: Header=BB22_9 Depth=1
	s_wait_loadcnt 0x0
	v_dual_mov_b32 v4, v7 :: v_dual_mov_b32 v5, v6
	s_wait_alu 0xfffe
	s_mov_b32 s20, s27
	s_mov_b32 s34, s17
	;; [unrolled: 1-line block ×3, first 2 shown]
	s_branch .LBB22_9
.LBB22_21:
                                        ; implicit-def: $sgpr20_sgpr21
	s_branch .LBB22_2
.LBB22_22:
                                        ; implicit-def: $sgpr10_sgpr11
	s_load_b96 s[12:14], s[0:1], 0x44
	s_branch .LBB22_5
.LBB22_23:
	v_div_scale_f32 v0, null, v7, v7, v6
	s_delay_alu instid0(VALU_DEP_1) | instskip(NEXT) | instid1(TRANS32_DEP_1)
	v_rcp_f32_e32 v3, v0
	v_fma_f32 v4, -v0, v3, 1.0
	s_delay_alu instid0(VALU_DEP_1) | instskip(SKIP_2) | instid1(VALU_DEP_1)
	v_fmac_f32_e32 v3, v4, v3
	v_div_scale_f32 v4, vcc_lo, v6, v7, v6
	s_wait_loadcnt 0x0
	v_mul_f32_e32 v5, v4, v3
	s_delay_alu instid0(VALU_DEP_1) | instskip(NEXT) | instid1(VALU_DEP_1)
	v_fma_f32 v8, -v0, v5, v4
	v_fmac_f32_e32 v5, v8, v3
	s_delay_alu instid0(VALU_DEP_1) | instskip(SKIP_1) | instid1(VALU_DEP_1)
	v_fma_f32 v0, -v0, v5, v4
	s_wait_alu 0xfffd
	v_div_fmas_f32 v0, v0, v3, v5
	s_delay_alu instid0(VALU_DEP_1)
	v_div_fixup_f32 v0, v0, v7, v6
	global_store_b32 v[1:2], v0, off
.LBB22_24:
	s_endpgm
	.section	.rodata,"a",@progbits
	.p2align	6, 0x0
	.amdhsa_kernel _ZL33flash_attn_stream_k_fixup_generalILi112ELi32ELi2EEvPfPK15HIP_vector_typeIfLj2EEiiiiS1_IjLj3EES5_S5_S5_
		.amdhsa_group_segment_fixed_size 0
		.amdhsa_private_segment_fixed_size 0
		.amdhsa_kernarg_size 336
		.amdhsa_user_sgpr_count 2
		.amdhsa_user_sgpr_dispatch_ptr 0
		.amdhsa_user_sgpr_queue_ptr 0
		.amdhsa_user_sgpr_kernarg_segment_ptr 1
		.amdhsa_user_sgpr_dispatch_id 0
		.amdhsa_user_sgpr_private_segment_size 0
		.amdhsa_wavefront_size32 1
		.amdhsa_uses_dynamic_stack 0
		.amdhsa_enable_private_segment 0
		.amdhsa_system_sgpr_workgroup_id_x 1
		.amdhsa_system_sgpr_workgroup_id_y 1
		.amdhsa_system_sgpr_workgroup_id_z 1
		.amdhsa_system_sgpr_workgroup_info 0
		.amdhsa_system_vgpr_workitem_id 0
		.amdhsa_next_free_vgpr 9
		.amdhsa_next_free_sgpr 44
		.amdhsa_reserve_vcc 1
		.amdhsa_float_round_mode_32 0
		.amdhsa_float_round_mode_16_64 0
		.amdhsa_float_denorm_mode_32 3
		.amdhsa_float_denorm_mode_16_64 3
		.amdhsa_fp16_overflow 0
		.amdhsa_workgroup_processor_mode 1
		.amdhsa_memory_ordered 1
		.amdhsa_forward_progress 1
		.amdhsa_inst_pref_size 28
		.amdhsa_round_robin_scheduling 0
		.amdhsa_exception_fp_ieee_invalid_op 0
		.amdhsa_exception_fp_denorm_src 0
		.amdhsa_exception_fp_ieee_div_zero 0
		.amdhsa_exception_fp_ieee_overflow 0
		.amdhsa_exception_fp_ieee_underflow 0
		.amdhsa_exception_fp_ieee_inexact 0
		.amdhsa_exception_int_div_zero 0
	.end_amdhsa_kernel
	.section	.text._ZL33flash_attn_stream_k_fixup_generalILi112ELi32ELi2EEvPfPK15HIP_vector_typeIfLj2EEiiiiS1_IjLj3EES5_S5_S5_,"axG",@progbits,_ZL33flash_attn_stream_k_fixup_generalILi112ELi32ELi2EEvPfPK15HIP_vector_typeIfLj2EEiiiiS1_IjLj3EES5_S5_S5_,comdat
.Lfunc_end22:
	.size	_ZL33flash_attn_stream_k_fixup_generalILi112ELi32ELi2EEvPfPK15HIP_vector_typeIfLj2EEiiiiS1_IjLj3EES5_S5_S5_, .Lfunc_end22-_ZL33flash_attn_stream_k_fixup_generalILi112ELi32ELi2EEvPfPK15HIP_vector_typeIfLj2EEiiiiS1_IjLj3EES5_S5_S5_
                                        ; -- End function
	.set _ZL33flash_attn_stream_k_fixup_generalILi112ELi32ELi2EEvPfPK15HIP_vector_typeIfLj2EEiiiiS1_IjLj3EES5_S5_S5_.num_vgpr, 9
	.set _ZL33flash_attn_stream_k_fixup_generalILi112ELi32ELi2EEvPfPK15HIP_vector_typeIfLj2EEiiiiS1_IjLj3EES5_S5_S5_.num_agpr, 0
	.set _ZL33flash_attn_stream_k_fixup_generalILi112ELi32ELi2EEvPfPK15HIP_vector_typeIfLj2EEiiiiS1_IjLj3EES5_S5_S5_.numbered_sgpr, 44
	.set _ZL33flash_attn_stream_k_fixup_generalILi112ELi32ELi2EEvPfPK15HIP_vector_typeIfLj2EEiiiiS1_IjLj3EES5_S5_S5_.num_named_barrier, 0
	.set _ZL33flash_attn_stream_k_fixup_generalILi112ELi32ELi2EEvPfPK15HIP_vector_typeIfLj2EEiiiiS1_IjLj3EES5_S5_S5_.private_seg_size, 0
	.set _ZL33flash_attn_stream_k_fixup_generalILi112ELi32ELi2EEvPfPK15HIP_vector_typeIfLj2EEiiiiS1_IjLj3EES5_S5_S5_.uses_vcc, 1
	.set _ZL33flash_attn_stream_k_fixup_generalILi112ELi32ELi2EEvPfPK15HIP_vector_typeIfLj2EEiiiiS1_IjLj3EES5_S5_S5_.uses_flat_scratch, 0
	.set _ZL33flash_attn_stream_k_fixup_generalILi112ELi32ELi2EEvPfPK15HIP_vector_typeIfLj2EEiiiiS1_IjLj3EES5_S5_S5_.has_dyn_sized_stack, 0
	.set _ZL33flash_attn_stream_k_fixup_generalILi112ELi32ELi2EEvPfPK15HIP_vector_typeIfLj2EEiiiiS1_IjLj3EES5_S5_S5_.has_recursion, 0
	.set _ZL33flash_attn_stream_k_fixup_generalILi112ELi32ELi2EEvPfPK15HIP_vector_typeIfLj2EEiiiiS1_IjLj3EES5_S5_S5_.has_indirect_call, 0
	.section	.AMDGPU.csdata,"",@progbits
; Kernel info:
; codeLenInByte = 3540
; TotalNumSgprs: 46
; NumVgprs: 9
; ScratchSize: 0
; MemoryBound: 0
; FloatMode: 240
; IeeeMode: 1
; LDSByteSize: 0 bytes/workgroup (compile time only)
; SGPRBlocks: 0
; VGPRBlocks: 1
; NumSGPRsForWavesPerEU: 46
; NumVGPRsForWavesPerEU: 9
; Occupancy: 16
; WaveLimiterHint : 0
; COMPUTE_PGM_RSRC2:SCRATCH_EN: 0
; COMPUTE_PGM_RSRC2:USER_SGPR: 2
; COMPUTE_PGM_RSRC2:TRAP_HANDLER: 0
; COMPUTE_PGM_RSRC2:TGID_X_EN: 1
; COMPUTE_PGM_RSRC2:TGID_Y_EN: 1
; COMPUTE_PGM_RSRC2:TGID_Z_EN: 1
; COMPUTE_PGM_RSRC2:TIDIG_COMP_CNT: 0
	.section	.text._ZL26flash_attn_combine_resultsILi112EEvPKfPK15HIP_vector_typeIfLj2EEPfi,"axG",@progbits,_ZL26flash_attn_combine_resultsILi112EEvPKfPK15HIP_vector_typeIfLj2EEPfi,comdat
	.globl	_ZL26flash_attn_combine_resultsILi112EEvPKfPK15HIP_vector_typeIfLj2EEPfi ; -- Begin function _ZL26flash_attn_combine_resultsILi112EEvPKfPK15HIP_vector_typeIfLj2EEPfi
	.p2align	8
	.type	_ZL26flash_attn_combine_resultsILi112EEvPKfPK15HIP_vector_typeIfLj2EEPfi,@function
_ZL26flash_attn_combine_resultsILi112EEvPKfPK15HIP_vector_typeIfLj2EEPfi: ; @_ZL26flash_attn_combine_resultsILi112EEvPKfPK15HIP_vector_typeIfLj2EEPfi
; %bb.0:
	s_clause 0x2
	s_load_b64 s[2:3], s[0:1], 0x20
	s_load_b96 s[12:14], s[0:1], 0x10
	s_load_b128 s[8:11], s[0:1], 0x0
	s_lshr_b32 s0, ttmp7, 16
	v_lshlrev_b32_e32 v5, 2, v0
	s_mov_b32 s4, exec_lo
	s_wait_kmcnt 0x0
	s_mul_i32 s0, s2, s0
	s_and_b32 s2, ttmp7, 0xffff
	s_add_co_i32 s0, s0, ttmp9
	s_lshl_b32 s1, s14, 1
	s_mul_i32 s15, s0, s3
	s_delay_alu instid0(SALU_CYCLE_1) | instskip(NEXT) | instid1(SALU_CYCLE_1)
	s_add_co_i32 s15, s15, s2
	s_mul_i32 s2, s15, s14
	v_cmpx_gt_i32_e64 s1, v0
	s_cbranch_execz .LBB23_3
; %bb.1:
	s_ashr_i32 s3, s2, 31
	v_dual_mov_b32 v4, v0 :: v_dual_add_nc_u32 v3, 0, v5
	s_lshl_b64 s[6:7], s[2:3], 3
	s_mov_b32 s3, 0
	s_add_nc_u64 s[6:7], s[10:11], s[6:7]
	s_delay_alu instid0(SALU_CYCLE_1)
	v_add_co_u32 v1, s0, s6, v5
	s_wait_alu 0xf1ff
	v_add_co_ci_u32_e64 v2, null, s7, 0, s0
.LBB23_2:                               ; =>This Inner Loop Header: Depth=1
	global_load_b32 v6, v[1:2], off
	v_add_nc_u32_e32 v4, 0x70, v4
	v_add_co_u32 v1, vcc_lo, 0x1c0, v1
	s_wait_alu 0xfffd
	v_add_co_ci_u32_e64 v2, null, 0, v2, vcc_lo
	s_delay_alu instid0(VALU_DEP_3)
	v_cmp_le_i32_e64 s0, s1, v4
	s_or_b32 s3, s0, s3
	s_wait_loadcnt 0x0
	ds_store_b32 v3, v6
	v_add_nc_u32_e32 v3, 0x1c0, v3
	s_and_not1_b32 exec_lo, exec_lo, s3
	s_cbranch_execnz .LBB23_2
.LBB23_3:
	s_or_b32 exec_lo, exec_lo, s4
	v_mov_b32_e32 v1, 0
	s_wait_dscnt 0x0
	s_barrier_signal -1
	s_barrier_wait -1
	global_inv scope:SCOPE_SE
	ds_load_b32 v6, v1
	s_cmp_lt_i32 s14, 2
	s_cbranch_scc1 .LBB23_11
; %bb.4:
	s_add_co_i32 s1, s14, -2
	s_add_co_i32 s0, s14, -1
	s_wait_alu 0xfffe
	s_cmp_lt_u32 s1, 7
	s_cbranch_scc1 .LBB23_8
; %bb.5:
	s_mov_b32 s3, 0
	s_add_co_i32 s1, 0, 8
	s_and_b32 s4, s0, -8
.LBB23_6:                               ; =>This Inner Loop Header: Depth=1
	s_wait_alu 0xfffe
	v_mov_b32_e32 v9, s1
	s_mov_b32 s5, s3
	s_add_co_i32 s3, s3, 8
	s_add_co_i32 s1, s1, 64
	s_cmp_eq_u32 s4, s3
	ds_load_2addr_b32 v[1:2], v9 offset1:2
	ds_load_2addr_b32 v[3:4], v9 offset0:4 offset1:6
	ds_load_2addr_b32 v[7:8], v9 offset0:8 offset1:10
	;; [unrolled: 1-line block ×3, first 2 shown]
	s_wait_dscnt 0x3
	v_max3_num_f32 v1, v6, v1, v2
	s_wait_dscnt 0x2
	s_delay_alu instid0(VALU_DEP_1) | instskip(SKIP_1) | instid1(VALU_DEP_1)
	v_max3_num_f32 v1, v1, v3, v4
	s_wait_dscnt 0x1
	v_max3_num_f32 v1, v1, v7, v8
	s_wait_dscnt 0x0
	s_delay_alu instid0(VALU_DEP_1)
	v_max3_num_f32 v6, v1, v9, v10
	s_cbranch_scc0 .LBB23_6
; %bb.7:
	s_add_co_i32 s1, s5, 9
	s_and_b32 s0, s0, 7
	s_wait_alu 0xfffe
	s_cmp_eq_u32 s0, 0
	s_cbranch_scc0 .LBB23_9
	s_branch .LBB23_11
.LBB23_8:
	s_mov_b32 s1, 1
	s_and_b32 s0, s0, 7
	s_wait_alu 0xfffe
	s_cmp_eq_u32 s0, 0
	s_cbranch_scc1 .LBB23_11
.LBB23_9:
	s_lshl_b32 s1, s1, 3
	s_wait_alu 0xfffe
	s_add_co_i32 s1, s1, 0
.LBB23_10:                              ; =>This Inner Loop Header: Depth=1
	s_wait_dscnt 0x0
	s_wait_alu 0xfffe
	s_delay_alu instid0(VALU_DEP_1)
	v_dual_mov_b32 v1, s1 :: v_dual_max_num_f32 v2, v6, v6
	s_add_co_i32 s0, s0, -1
	s_add_co_i32 s1, s1, 8
	s_wait_alu 0xfffe
	s_cmp_lg_u32 s0, 0
	ds_load_b32 v1, v1
	s_wait_dscnt 0x0
	v_max_num_f32_e32 v1, v1, v1
	s_delay_alu instid0(VALU_DEP_1)
	v_max_num_f32_e32 v6, v2, v1
	s_cbranch_scc1 .LBB23_10
.LBB23_11:
	s_cmp_lt_i32 s14, 1
	s_cbranch_scc1 .LBB23_16
; %bb.12:
	s_mul_i32 s6, s2, 0x70
	s_wait_alu 0xfffe
	s_ashr_i32 s7, s6, 31
	s_cmp_lt_u32 s14, 8
	s_cbranch_scc1 .LBB23_17
; %bb.13:
	v_dual_mov_b32 v4, 0 :: v_dual_add_nc_u32 v1, 0x1c0, v0
	v_dual_mov_b32 v7, 0 :: v_dual_mov_b32 v8, 0
	s_wait_alu 0xfffe
	s_lshl_b64 s[0:1], s[6:7], 2
	s_and_b32 s16, s14, 0x7ffffff8
	s_wait_alu 0xfffe
	s_add_nc_u64 s[10:11], s[8:9], s[0:1]
	s_mov_b32 s17, 0
	s_mov_b32 s18, 0
.LBB23_14:                              ; =>This Inner Loop Header: Depth=1
	v_dual_mov_b32 v2, v4 :: v_dual_add_nc_u32 v3, 0xfffffe40, v1
	s_add_co_i32 s17, s17, 8
	s_delay_alu instid0(VALU_DEP_1) | instskip(SKIP_1) | instid1(VALU_DEP_3)
	v_lshlrev_b64_e32 v[9:10], 2, v[3:4]
	v_add_nc_u32_e32 v3, 0xfffffeb0, v1
	v_lshlrev_b64_e32 v[11:12], 2, v[1:2]
	s_delay_alu instid0(VALU_DEP_2) | instskip(NEXT) | instid1(VALU_DEP_4)
	v_lshlrev_b64_e32 v[13:14], 2, v[3:4]
	v_add_co_u32 v9, vcc_lo, s10, v9
	s_wait_alu 0xfffd
	v_add_co_ci_u32_e64 v10, null, s11, v10, vcc_lo
	v_add_nc_u32_e32 v3, 0xffffff20, v1
	v_add_co_u32 v11, vcc_lo, s10, v11
	global_load_b32 v25, v[9:10], off
	s_wait_alu 0xfffd
	v_add_co_ci_u32_e64 v12, null, s11, v12, vcc_lo
	v_add_co_u32 v13, vcc_lo, s10, v13
	v_lshlrev_b64_e32 v[15:16], 2, v[3:4]
	s_wait_alu 0xfffd
	v_add_co_ci_u32_e64 v14, null, s11, v14, vcc_lo
	global_load_b32 v29, v[11:12], off
	v_add_nc_u32_e32 v3, 0xffffff90, v1
	global_load_b32 v26, v[13:14], off
	v_add_co_u32 v13, vcc_lo, s10, v15
	s_wait_alu 0xfffd
	v_add_co_ci_u32_e64 v14, null, s11, v16, vcc_lo
	v_lshlrev_b64_e32 v[9:10], 2, v[3:4]
	v_add_nc_u32_e32 v3, 0x70, v1
	global_load_b32 v27, v[13:14], off
	v_add_co_u32 v9, vcc_lo, s10, v9
	v_lshlrev_b64_e32 v[15:16], 2, v[3:4]
	v_add_nc_u32_e32 v3, 0xe0, v1
	s_wait_alu 0xfffd
	v_add_co_ci_u32_e64 v10, null, s11, v10, vcc_lo
	global_load_b32 v28, v[9:10], off
	v_lshlrev_b64_e32 v[13:14], 2, v[3:4]
	v_add_nc_u32_e32 v3, 0x150, v1
	v_add_co_u32 v9, vcc_lo, s10, v15
	s_wait_alu 0xfffd
	v_add_co_ci_u32_e64 v10, null, s11, v16, vcc_lo
	s_delay_alu instid0(VALU_DEP_3)
	v_lshlrev_b64_e32 v[2:3], 2, v[3:4]
	v_add_nc_u32_e32 v1, 0x380, v1
	global_load_b32 v30, v[9:10], off
	v_add_co_u32 v9, vcc_lo, s10, v13
	s_wait_alu 0xfffd
	v_add_co_ci_u32_e64 v10, null, s11, v14, vcc_lo
	v_add_co_u32 v2, vcc_lo, s10, v2
	s_wait_alu 0xfffd
	v_add_co_ci_u32_e64 v3, null, s11, v3, vcc_lo
	s_clause 0x1
	global_load_b32 v31, v[9:10], off
	global_load_b32 v2, v[2:3], off
	s_wait_alu 0xfffe
	v_mov_b32_e32 v3, s18
	ds_load_2addr_b64 v[9:12], v3 offset1:1
	ds_load_2addr_b64 v[13:16], v3 offset0:2 offset1:3
	ds_load_2addr_b64 v[17:20], v3 offset0:4 offset1:5
	;; [unrolled: 1-line block ×3, first 2 shown]
	s_add_co_i32 s18, s18, 64
	s_cmp_eq_u32 s16, s17
	s_wait_dscnt 0x3
	v_sub_f32_e32 v3, v9, v6
	v_sub_f32_e32 v9, v11, v6
	s_wait_dscnt 0x2
	v_sub_f32_e32 v11, v13, v6
	v_sub_f32_e32 v13, v15, v6
	;; [unrolled: 3-line block ×3, first 2 shown]
	s_wait_dscnt 0x0
	v_sub_f32_e32 v19, v21, v6
	s_delay_alu instid0(VALU_DEP_2) | instskip(SKIP_1) | instid1(VALU_DEP_2)
	v_dual_sub_f32 v21, v23, v6 :: v_dual_mul_f32 v36, 0x3fb8aa3b, v17
	v_mul_f32_e32 v32, 0x3fb8aa3b, v9
	v_dual_mul_f32 v38, 0x3fb8aa3b, v21 :: v_dual_mul_f32 v33, 0x3fb8aa3b, v11
	v_cmp_ngt_f32_e32 vcc_lo, 0xc2ce8ed0, v11
	s_delay_alu instid0(VALU_DEP_4) | instskip(NEXT) | instid1(VALU_DEP_4)
	v_xor_b32_e32 v49, 0x80000000, v36
	v_xor_b32_e32 v41, 0x80000000, v32
	v_rndne_f32_e32 v42, v32
	v_xor_b32_e32 v43, 0x80000000, v33
	v_rndne_f32_e32 v44, v33
	v_rndne_f32_e32 v50, v36
	s_delay_alu instid0(VALU_DEP_4) | instskip(NEXT) | instid1(VALU_DEP_4)
	v_dual_fmac_f32 v41, 0x3fb8aa3b, v9 :: v_dual_sub_f32 v32, v32, v42
	v_fmac_f32_e32 v43, 0x3fb8aa3b, v11
	s_delay_alu instid0(VALU_DEP_4) | instskip(SKIP_1) | instid1(VALU_DEP_4)
	v_sub_f32_e32 v33, v33, v44
	v_cvt_i32_f32_e32 v42, v42
	v_fmac_f32_e32 v41, 0x32a5705f, v9
	v_cvt_i32_f32_e32 v44, v44
	v_fmac_f32_e32 v43, 0x32a5705f, v11
	v_dual_fmac_f32 v49, 0x3fb8aa3b, v17 :: v_dual_sub_f32 v36, v36, v50
	s_delay_alu instid0(VALU_DEP_4) | instskip(SKIP_1) | instid1(VALU_DEP_4)
	v_add_f32_e32 v32, v32, v41
	v_dual_mul_f32 v34, 0x3fb8aa3b, v13 :: v_dual_mul_f32 v23, 0x3fb8aa3b, v3
	v_add_f32_e32 v33, v33, v43
	v_cmp_ngt_f32_e64 s5, 0xc2ce8ed0, v3
	s_delay_alu instid0(VALU_DEP_4) | instskip(NEXT) | instid1(VALU_DEP_3)
	v_exp_f32_e32 v32, v32
	v_xor_b32_e32 v45, 0x80000000, v34
	v_xor_b32_e32 v39, 0x80000000, v23
	v_rndne_f32_e32 v40, v23
	v_rndne_f32_e32 v46, v34
	v_exp_f32_e32 v33, v33
	v_fmac_f32_e32 v45, 0x3fb8aa3b, v13
	v_fmac_f32_e32 v39, 0x3fb8aa3b, v3
	v_sub_f32_e32 v23, v23, v40
	v_cvt_i32_f32_e32 v40, v40
	s_delay_alu instid0(VALU_DEP_4) | instskip(NEXT) | instid1(VALU_DEP_4)
	v_dual_sub_f32 v34, v34, v46 :: v_dual_fmac_f32 v45, 0x32a5705f, v13
	v_fmac_f32_e32 v39, 0x32a5705f, v3
	v_ldexp_f32 v32, v32, v42
	v_cvt_i32_f32_e32 v46, v46
	s_delay_alu instid0(TRANS32_DEP_1) | instskip(NEXT) | instid1(VALU_DEP_4)
	v_ldexp_f32 v33, v33, v44
	v_dual_add_f32 v34, v34, v45 :: v_dual_add_f32 v23, v23, v39
	v_cmp_ngt_f32_e64 s0, 0xc2ce8ed0, v13
	v_fmac_f32_e32 v49, 0x32a5705f, v17
	v_xor_b32_e32 v53, 0x80000000, v38
	s_delay_alu instid0(VALU_DEP_4)
	v_exp_f32_e32 v34, v34
	v_exp_f32_e32 v23, v23
	v_cvt_i32_f32_e32 v50, v50
	v_add_f32_e32 v36, v36, v49
	v_cmp_ngt_f32_e64 s1, 0xc2ce8ed0, v15
	v_rndne_f32_e32 v54, v38
	v_cmp_ngt_f32_e64 s2, 0xc2ce8ed0, v17
	s_delay_alu instid0(VALU_DEP_4) | instskip(NEXT) | instid1(TRANS32_DEP_3)
	v_exp_f32_e32 v36, v36
	v_ldexp_f32 v34, v34, v46
	s_delay_alu instid0(TRANS32_DEP_2) | instskip(SKIP_3) | instid1(VALU_DEP_3)
	v_ldexp_f32 v23, v23, v40
	v_sub_f32_e32 v38, v38, v54
	v_cvt_i32_f32_e32 v54, v54
	s_wait_alu 0xf1ff
	v_cndmask_b32_e64 v23, 0, v23, s5
	v_cmp_ngt_f32_e64 s5, 0xc2ce8ed0, v9
	s_delay_alu instid0(TRANS32_DEP_1) | instskip(SKIP_1) | instid1(VALU_DEP_2)
	v_ldexp_f32 v36, v36, v50
	s_wait_alu 0xf1ff
	v_cndmask_b32_e64 v32, 0, v32, s5
	v_cmp_nlt_f32_e64 s5, 0x42b17218, v3
	s_wait_alu 0xf1ff
	s_delay_alu instid0(VALU_DEP_1)
	v_cndmask_b32_e64 v3, 0x7f800000, v23, s5
	s_wait_alu 0xfffd
	v_cndmask_b32_e32 v23, 0, v33, vcc_lo
	v_cmp_nlt_f32_e32 vcc_lo, 0x42b17218, v9
	s_wait_alu 0xfffd
	v_dual_fmac_f32 v8, v3, v10 :: v_dual_cndmask_b32 v9, 0x7f800000, v32
	v_cmp_nlt_f32_e32 vcc_lo, 0x42b17218, v11
	s_delay_alu instid0(VALU_DEP_2)
	v_fmac_f32_e32 v8, v9, v12
	s_wait_alu 0xfffd
	v_cndmask_b32_e32 v10, 0x7f800000, v23, vcc_lo
	v_cmp_nlt_f32_e32 vcc_lo, 0x42b17218, v13
	v_fmac_f32_e32 v53, 0x3fb8aa3b, v21
	v_cmp_ngt_f32_e64 s4, 0xc2ce8ed0, v21
	s_delay_alu instid0(VALU_DEP_2) | instskip(NEXT) | instid1(VALU_DEP_1)
	v_dual_fmac_f32 v8, v10, v14 :: v_dual_fmac_f32 v53, 0x32a5705f, v21
	v_add_f32_e32 v38, v38, v53
	v_cmp_ngt_f32_e64 s3, 0xc2ce8ed0, v19
	s_delay_alu instid0(VALU_DEP_2) | instskip(NEXT) | instid1(TRANS32_DEP_1)
	v_exp_f32_e32 v38, v38
	v_ldexp_f32 v38, v38, v54
	s_wait_loadcnt 0x7
	v_fmac_f32_e32 v7, v25, v3
	v_cndmask_b32_e64 v3, 0, v34, s0
	s_wait_alu 0xfffd
	s_delay_alu instid0(VALU_DEP_1) | instskip(SKIP_2) | instid1(VALU_DEP_2)
	v_cndmask_b32_e32 v3, 0x7f800000, v3, vcc_lo
	v_cmp_nlt_f32_e32 vcc_lo, 0x42b17218, v15
	s_wait_loadcnt 0x5
	v_dual_fmac_f32 v7, v26, v9 :: v_dual_fmac_f32 v8, v3, v16
	v_mul_f32_e32 v35, 0x3fb8aa3b, v15
	s_delay_alu instid0(VALU_DEP_1)
	v_xor_b32_e32 v47, 0x80000000, v35
	v_rndne_f32_e32 v48, v35
	s_wait_loadcnt 0x4
	v_fmac_f32_e32 v7, v27, v10
	v_cndmask_b32_e64 v10, 0, v36, s2
	v_fmac_f32_e32 v47, 0x3fb8aa3b, v15
	v_sub_f32_e32 v35, v35, v48
	v_cvt_i32_f32_e32 v48, v48
	s_delay_alu instid0(VALU_DEP_3) | instskip(SKIP_2) | instid1(VALU_DEP_2)
	v_fmac_f32_e32 v47, 0x32a5705f, v15
	s_wait_loadcnt 0x3
	v_fmac_f32_e32 v7, v28, v3
	v_add_f32_e32 v35, v35, v47
	s_delay_alu instid0(VALU_DEP_1) | instskip(NEXT) | instid1(TRANS32_DEP_1)
	v_exp_f32_e32 v35, v35
	v_ldexp_f32 v35, v35, v48
	s_delay_alu instid0(VALU_DEP_1) | instskip(SKIP_1) | instid1(VALU_DEP_1)
	v_cndmask_b32_e64 v9, 0, v35, s1
	s_wait_alu 0xfffd
	v_cndmask_b32_e32 v9, 0x7f800000, v9, vcc_lo
	v_cmp_nlt_f32_e32 vcc_lo, 0x42b17218, v17
	s_delay_alu instid0(VALU_DEP_2)
	v_fmac_f32_e32 v8, v9, v18
	s_wait_alu 0xfffd
	v_cndmask_b32_e32 v10, 0x7f800000, v10, vcc_lo
	v_mul_f32_e32 v37, 0x3fb8aa3b, v19
	v_fmac_f32_e32 v7, v29, v9
	v_cmp_nlt_f32_e32 vcc_lo, 0x42b17218, v19
	s_wait_alu 0xf1ff
	v_cndmask_b32_e64 v9, 0, v38, s4
	v_fmac_f32_e32 v8, v10, v20
	v_xor_b32_e32 v51, 0x80000000, v37
	v_rndne_f32_e32 v52, v37
	s_wait_loadcnt 0x2
	v_fmac_f32_e32 v7, v30, v10
	s_delay_alu instid0(VALU_DEP_3) | instskip(NEXT) | instid1(VALU_DEP_3)
	v_fmac_f32_e32 v51, 0x3fb8aa3b, v19
	v_sub_f32_e32 v37, v37, v52
	v_cvt_i32_f32_e32 v52, v52
	s_delay_alu instid0(VALU_DEP_3) | instskip(NEXT) | instid1(VALU_DEP_1)
	v_fmac_f32_e32 v51, 0x32a5705f, v19
	v_add_f32_e32 v37, v37, v51
	s_delay_alu instid0(VALU_DEP_1) | instskip(NEXT) | instid1(TRANS32_DEP_1)
	v_exp_f32_e32 v37, v37
	v_ldexp_f32 v37, v37, v52
	s_delay_alu instid0(VALU_DEP_1) | instskip(SKIP_1) | instid1(VALU_DEP_1)
	v_cndmask_b32_e64 v3, 0, v37, s3
	s_wait_alu 0xfffd
	v_cndmask_b32_e32 v3, 0x7f800000, v3, vcc_lo
	v_cmp_nlt_f32_e32 vcc_lo, 0x42b17218, v21
	s_wait_alu 0xfffd
	s_delay_alu instid0(VALU_DEP_2) | instskip(SKIP_1) | instid1(VALU_DEP_1)
	v_dual_fmac_f32 v8, v3, v22 :: v_dual_cndmask_b32 v9, 0x7f800000, v9
	s_wait_loadcnt 0x1
	v_dual_fmac_f32 v7, v31, v3 :: v_dual_fmac_f32 v8, v9, v24
	s_wait_loadcnt 0x0
	s_delay_alu instid0(VALU_DEP_1)
	v_fmac_f32_e32 v7, v2, v9
	s_cbranch_scc0 .LBB23_14
; %bb.15:
	s_and_b32 s1, s14, 7
	s_wait_alu 0xfffe
	s_cmp_eq_u32 s1, 0
	s_cbranch_scc0 .LBB23_18
	s_branch .LBB23_20
.LBB23_16:
	v_mov_b32_e32 v0, 0x7fc00000
	s_branch .LBB23_21
.LBB23_17:
	v_dual_mov_b32 v7, 0 :: v_dual_mov_b32 v8, 0
	s_mov_b32 s16, 0
	s_and_b32 s1, s14, 7
	s_wait_alu 0xfffe
	s_cmp_eq_u32 s1, 0
	s_cbranch_scc1 .LBB23_20
.LBB23_18:
	v_mad_co_u64_u32 v[0:1], null, 0x70, s16, v[0:1]
	v_mov_b32_e32 v1, 0
	s_lshl_b64 s[2:3], s[6:7], 2
	s_lshl_b32 s0, s16, 3
	s_wait_alu 0xfffe
	s_add_nc_u64 s[2:3], s[8:9], s[2:3]
	s_delay_alu instid0(VALU_DEP_2) | instskip(SKIP_1) | instid1(VALU_DEP_1)
	v_lshlrev_b64_e32 v[0:1], 2, v[0:1]
	s_wait_alu 0xfffe
	v_add_co_u32 v0, vcc_lo, s2, v0
	s_wait_alu 0xfffd
	s_delay_alu instid0(VALU_DEP_2)
	v_add_co_ci_u32_e64 v1, null, s3, v1, vcc_lo
	s_add_co_i32 s2, s0, 0
.LBB23_19:                              ; =>This Inner Loop Header: Depth=1
	global_load_b32 v4, v[0:1], off
	s_wait_alu 0xfffe
	v_mov_b32_e32 v2, s2
	s_add_co_i32 s1, s1, -1
	s_add_co_i32 s2, s2, 8
	s_wait_alu 0xfffe
	s_cmp_lg_u32 s1, 0
	ds_load_b64 v[2:3], v2
	s_wait_dscnt 0x0
	v_sub_f32_e32 v2, v2, v6
	s_delay_alu instid0(VALU_DEP_1) | instskip(SKIP_1) | instid1(VALU_DEP_2)
	v_mul_f32_e32 v9, 0x3fb8aa3b, v2
	v_cmp_ngt_f32_e32 vcc_lo, 0xc2ce8ed0, v2
	v_xor_b32_e32 v10, 0x80000000, v9
	v_rndne_f32_e32 v11, v9
	s_delay_alu instid0(VALU_DEP_1) | instskip(NEXT) | instid1(VALU_DEP_1)
	v_dual_fmac_f32 v10, 0x3fb8aa3b, v2 :: v_dual_sub_f32 v9, v9, v11
	v_fmac_f32_e32 v10, 0x32a5705f, v2
	s_delay_alu instid0(VALU_DEP_1) | instskip(SKIP_1) | instid1(VALU_DEP_2)
	v_add_f32_e32 v9, v9, v10
	v_cvt_i32_f32_e32 v10, v11
	v_exp_f32_e32 v9, v9
	s_delay_alu instid0(TRANS32_DEP_1) | instskip(SKIP_1) | instid1(VALU_DEP_1)
	v_ldexp_f32 v9, v9, v10
	s_wait_alu 0xfffd
	v_cndmask_b32_e32 v9, 0, v9, vcc_lo
	v_cmp_nlt_f32_e64 s0, 0x42b17218, v2
	v_add_co_u32 v0, vcc_lo, 0x1c0, v0
	s_wait_alu 0xfffd
	v_add_co_ci_u32_e64 v1, null, 0, v1, vcc_lo
	s_wait_alu 0xf1ff
	v_cndmask_b32_e64 v2, 0x7f800000, v9, s0
	s_wait_loadcnt 0x0
	s_delay_alu instid0(VALU_DEP_1)
	v_dual_fmac_f32 v8, v2, v3 :: v_dual_fmac_f32 v7, v4, v2
	s_cbranch_scc1 .LBB23_19
.LBB23_20:
	s_delay_alu instid0(VALU_DEP_1) | instskip(NEXT) | instid1(VALU_DEP_1)
	v_div_scale_f32 v0, null, v8, v8, v7
	v_rcp_f32_e32 v1, v0
	s_delay_alu instid0(TRANS32_DEP_1) | instskip(NEXT) | instid1(VALU_DEP_1)
	v_fma_f32 v2, -v0, v1, 1.0
	v_fmac_f32_e32 v1, v2, v1
	v_div_scale_f32 v2, vcc_lo, v7, v8, v7
	s_delay_alu instid0(VALU_DEP_1) | instskip(NEXT) | instid1(VALU_DEP_1)
	v_mul_f32_e32 v3, v2, v1
	v_fma_f32 v4, -v0, v3, v2
	s_delay_alu instid0(VALU_DEP_1) | instskip(NEXT) | instid1(VALU_DEP_1)
	v_fmac_f32_e32 v3, v4, v1
	v_fma_f32 v0, -v0, v3, v2
	s_wait_alu 0xfffd
	s_delay_alu instid0(VALU_DEP_1) | instskip(NEXT) | instid1(VALU_DEP_1)
	v_div_fmas_f32 v0, v0, v1, v3
	v_div_fixup_f32 v0, v0, v8, v7
.LBB23_21:
	s_mul_i32 s0, s15, 0x70
	s_wait_alu 0xfffe
	s_ashr_i32 s1, s0, 31
	s_wait_alu 0xfffe
	s_lshl_b64 s[0:1], s[0:1], 2
	s_wait_alu 0xfffe
	s_add_nc_u64 s[0:1], s[12:13], s[0:1]
	global_store_b32 v5, v0, s[0:1]
	s_endpgm
	.section	.rodata,"a",@progbits
	.p2align	6, 0x0
	.amdhsa_kernel _ZL26flash_attn_combine_resultsILi112EEvPKfPK15HIP_vector_typeIfLj2EEPfi
		.amdhsa_group_segment_fixed_size 0
		.amdhsa_private_segment_fixed_size 0
		.amdhsa_kernarg_size 288
		.amdhsa_user_sgpr_count 2
		.amdhsa_user_sgpr_dispatch_ptr 0
		.amdhsa_user_sgpr_queue_ptr 0
		.amdhsa_user_sgpr_kernarg_segment_ptr 1
		.amdhsa_user_sgpr_dispatch_id 0
		.amdhsa_user_sgpr_private_segment_size 0
		.amdhsa_wavefront_size32 1
		.amdhsa_uses_dynamic_stack 0
		.amdhsa_enable_private_segment 0
		.amdhsa_system_sgpr_workgroup_id_x 1
		.amdhsa_system_sgpr_workgroup_id_y 1
		.amdhsa_system_sgpr_workgroup_id_z 1
		.amdhsa_system_sgpr_workgroup_info 0
		.amdhsa_system_vgpr_workitem_id 0
		.amdhsa_next_free_vgpr 55
		.amdhsa_next_free_sgpr 19
		.amdhsa_reserve_vcc 1
		.amdhsa_float_round_mode_32 0
		.amdhsa_float_round_mode_16_64 0
		.amdhsa_float_denorm_mode_32 3
		.amdhsa_float_denorm_mode_16_64 3
		.amdhsa_fp16_overflow 0
		.amdhsa_workgroup_processor_mode 1
		.amdhsa_memory_ordered 1
		.amdhsa_forward_progress 1
		.amdhsa_inst_pref_size 21
		.amdhsa_round_robin_scheduling 0
		.amdhsa_exception_fp_ieee_invalid_op 0
		.amdhsa_exception_fp_denorm_src 0
		.amdhsa_exception_fp_ieee_div_zero 0
		.amdhsa_exception_fp_ieee_overflow 0
		.amdhsa_exception_fp_ieee_underflow 0
		.amdhsa_exception_fp_ieee_inexact 0
		.amdhsa_exception_int_div_zero 0
	.end_amdhsa_kernel
	.section	.text._ZL26flash_attn_combine_resultsILi112EEvPKfPK15HIP_vector_typeIfLj2EEPfi,"axG",@progbits,_ZL26flash_attn_combine_resultsILi112EEvPKfPK15HIP_vector_typeIfLj2EEPfi,comdat
.Lfunc_end23:
	.size	_ZL26flash_attn_combine_resultsILi112EEvPKfPK15HIP_vector_typeIfLj2EEPfi, .Lfunc_end23-_ZL26flash_attn_combine_resultsILi112EEvPKfPK15HIP_vector_typeIfLj2EEPfi
                                        ; -- End function
	.set _ZL26flash_attn_combine_resultsILi112EEvPKfPK15HIP_vector_typeIfLj2EEPfi.num_vgpr, 55
	.set _ZL26flash_attn_combine_resultsILi112EEvPKfPK15HIP_vector_typeIfLj2EEPfi.num_agpr, 0
	.set _ZL26flash_attn_combine_resultsILi112EEvPKfPK15HIP_vector_typeIfLj2EEPfi.numbered_sgpr, 19
	.set _ZL26flash_attn_combine_resultsILi112EEvPKfPK15HIP_vector_typeIfLj2EEPfi.num_named_barrier, 0
	.set _ZL26flash_attn_combine_resultsILi112EEvPKfPK15HIP_vector_typeIfLj2EEPfi.private_seg_size, 0
	.set _ZL26flash_attn_combine_resultsILi112EEvPKfPK15HIP_vector_typeIfLj2EEPfi.uses_vcc, 1
	.set _ZL26flash_attn_combine_resultsILi112EEvPKfPK15HIP_vector_typeIfLj2EEPfi.uses_flat_scratch, 0
	.set _ZL26flash_attn_combine_resultsILi112EEvPKfPK15HIP_vector_typeIfLj2EEPfi.has_dyn_sized_stack, 0
	.set _ZL26flash_attn_combine_resultsILi112EEvPKfPK15HIP_vector_typeIfLj2EEPfi.has_recursion, 0
	.set _ZL26flash_attn_combine_resultsILi112EEvPKfPK15HIP_vector_typeIfLj2EEPfi.has_indirect_call, 0
	.section	.AMDGPU.csdata,"",@progbits
; Kernel info:
; codeLenInByte = 2608
; TotalNumSgprs: 21
; NumVgprs: 55
; ScratchSize: 0
; MemoryBound: 0
; FloatMode: 240
; IeeeMode: 1
; LDSByteSize: 0 bytes/workgroup (compile time only)
; SGPRBlocks: 0
; VGPRBlocks: 6
; NumSGPRsForWavesPerEU: 21
; NumVGPRsForWavesPerEU: 55
; Occupancy: 16
; WaveLimiterHint : 0
; COMPUTE_PGM_RSRC2:SCRATCH_EN: 0
; COMPUTE_PGM_RSRC2:USER_SGPR: 2
; COMPUTE_PGM_RSRC2:TRAP_HANDLER: 0
; COMPUTE_PGM_RSRC2:TGID_X_EN: 1
; COMPUTE_PGM_RSRC2:TGID_Y_EN: 1
; COMPUTE_PGM_RSRC2:TGID_Z_EN: 1
; COMPUTE_PGM_RSRC2:TIDIG_COMP_CNT: 0
	.section	.text._ZL18flash_attn_ext_f16ILi128ELi128ELi32ELi2ELb0ELb0EEvPKcS1_S1_S1_S1_PKiPfP15HIP_vector_typeIfLj2EEffffjfiS5_IjLj3EEiiiiiiiiiiiliiliiiiil,"axG",@progbits,_ZL18flash_attn_ext_f16ILi128ELi128ELi32ELi2ELb0ELb0EEvPKcS1_S1_S1_S1_PKiPfP15HIP_vector_typeIfLj2EEffffjfiS5_IjLj3EEiiiiiiiiiiiliiliiiiil,comdat
	.globl	_ZL18flash_attn_ext_f16ILi128ELi128ELi32ELi2ELb0ELb0EEvPKcS1_S1_S1_S1_PKiPfP15HIP_vector_typeIfLj2EEffffjfiS5_IjLj3EEiiiiiiiiiiiliiliiiiil ; -- Begin function _ZL18flash_attn_ext_f16ILi128ELi128ELi32ELi2ELb0ELb0EEvPKcS1_S1_S1_S1_PKiPfP15HIP_vector_typeIfLj2EEffffjfiS5_IjLj3EEiiiiiiiiiiiliiliiiiil
	.p2align	8
	.type	_ZL18flash_attn_ext_f16ILi128ELi128ELi32ELi2ELb0ELb0EEvPKcS1_S1_S1_S1_PKiPfP15HIP_vector_typeIfLj2EEffffjfiS5_IjLj3EEiiiiiiiiiiiliiliiiiil,@function
_ZL18flash_attn_ext_f16ILi128ELi128ELi32ELi2ELb0ELb0EEvPKcS1_S1_S1_S1_PKiPfP15HIP_vector_typeIfLj2EEffffjfiS5_IjLj3EEiiiiiiiiiiiliiliiiiil: ; @_ZL18flash_attn_ext_f16ILi128ELi128ELi32ELi2ELb0ELb0EEvPKcS1_S1_S1_S1_PKiPfP15HIP_vector_typeIfLj2EEffffjfiS5_IjLj3EEiiiiiiiiiiiliiliiiiil
; %bb.0:
	s_mov_b64 s[10:11], s[0:1]
	s_clause 0x1
	s_load_b64 s[0:1], s[0:1], 0x80
	s_load_b128 s[24:27], s[10:11], 0x64
	s_mov_b32 s22, ttmp9
	s_mov_b32 s23, 0
                                        ; implicit-def: $vgpr255 : SGPR spill to VGPR lane
	s_mov_b64 s[58:59], s[10:11]
	s_wait_kmcnt 0x0
	s_abs_i32 s2, s1
	s_abs_i32 s5, s25
	s_cvt_f32_u32 s3, s2
	s_sub_co_i32 s4, 0, s2
	s_delay_alu instid0(SALU_CYCLE_2) | instskip(NEXT) | instid1(TRANS32_DEP_1)
	v_rcp_iflag_f32_e32 v1, s3
	v_readfirstlane_b32 s3, v1
	s_mul_f32 s3, s3, 0x4f7ffffe
	s_wait_alu 0xfffe
	s_delay_alu instid0(SALU_CYCLE_2) | instskip(SKIP_1) | instid1(SALU_CYCLE_2)
	s_cvt_u32_f32 s3, s3
	s_wait_alu 0xfffe
	s_mul_i32 s4, s4, s3
	s_delay_alu instid0(SALU_CYCLE_1) | instskip(NEXT) | instid1(SALU_CYCLE_1)
	s_mul_hi_u32 s4, s3, s4
	s_add_co_i32 s3, s3, s4
	s_xor_b32 s4, s25, s1
	s_wait_alu 0xfffe
	s_mul_hi_u32 s3, s5, s3
	s_ashr_i32 s4, s4, 31
	s_wait_alu 0xfffe
	s_mul_i32 s6, s3, s2
	s_delay_alu instid0(SALU_CYCLE_1)
	s_sub_co_i32 s5, s5, s6
	s_add_co_i32 s6, s3, 1
	s_sub_co_i32 s7, s5, s2
	s_cmp_ge_u32 s5, s2
	s_cselect_b32 s3, s6, s3
	s_cselect_b32 s5, s7, s5
	s_wait_alu 0xfffe
	s_add_co_i32 s6, s3, 1
	s_cmp_ge_u32 s5, s2
	s_cselect_b32 s2, s6, s3
	s_add_co_i32 s0, s0, 63
	s_wait_alu 0xfffe
	s_xor_b32 s2, s2, s4
	s_add_co_i32 s3, s24, 31
	s_ashr_i32 s5, s0, 31
	s_wait_alu 0xfffe
	s_sub_co_i32 s94, s2, s4
	s_lshr_b32 s6, s3, 5
	s_lshr_b32 s2, s5, 26
	s_add_co_i32 s3, s94, 1
	s_wait_alu 0xfffe
	s_add_co_i32 s0, s0, s2
	s_lshr_b32 s2, s3, 31
	s_ashr_i32 s99, s0, 6
	s_wait_alu 0xfffe
	s_add_co_i32 s3, s3, s2
	s_mul_i32 s96, s6, s99
	s_wait_alu 0xfffe
	s_ashr_i32 s0, s3, 1
	v_writelane_b32 v255, s6, 0
	s_mul_i32 s97, s96, s0
	s_mov_b32 s0, s23
	s_mul_i32 s98, s97, s1
	s_delay_alu instid0(SALU_CYCLE_1)
	s_mul_i32 s2, s98, s26
	s_wait_alu 0xfffe
	s_ashr_i32 s3, s2, 31
	s_wait_alu 0xfffe
	s_mul_u64 s[8:9], s[2:3], s[22:23]
	s_load_b32 s22, s[10:11], 0xd0
	s_mov_b32 s1, s9
	s_delay_alu instid0(SALU_CYCLE_1)
	s_cmp_lg_u64 s[0:1], 0
	s_wait_kmcnt 0x0
	s_add_nc_u64 s[4:5], s[22:23], 0
	s_cbranch_scc0 .LBB24_425
; %bb.1:
	s_xor_b64 s[10:11], s[4:5], 0
	s_mov_b32 s13, s23
	s_cvt_f32_u32 s0, s10
	s_cvt_f32_u32 s1, s11
	s_sub_nc_u64 s[6:7], 0, s[10:11]
	s_mov_b32 s17, s23
	s_delay_alu instid0(SALU_CYCLE_1) | instskip(NEXT) | instid1(SALU_CYCLE_3)
	s_fmamk_f32 s0, s1, 0x4f800000, s0
	v_s_rcp_f32 s0, s0
	s_delay_alu instid0(TRANS32_DEP_1) | instskip(SKIP_1) | instid1(SALU_CYCLE_2)
	s_mul_f32 s0, s0, 0x5f7ffffc
	s_wait_alu 0xfffe
	s_mul_f32 s1, s0, 0x2f800000
	s_wait_alu 0xfffe
	s_delay_alu instid0(SALU_CYCLE_2) | instskip(SKIP_1) | instid1(SALU_CYCLE_2)
	s_trunc_f32 s1, s1
	s_wait_alu 0xfffe
	s_fmamk_f32 s0, s1, 0xcf800000, s0
	s_cvt_u32_f32 s1, s1
	s_wait_alu 0xfffe
	s_delay_alu instid0(SALU_CYCLE_1) | instskip(SKIP_1) | instid1(SALU_CYCLE_2)
	s_cvt_u32_f32 s0, s0
	s_wait_alu 0xfffe
	s_mul_u64 s[14:15], s[6:7], s[0:1]
	s_delay_alu instid0(SALU_CYCLE_1)
	s_mul_hi_u32 s19, s0, s15
	s_mul_i32 s18, s0, s15
	s_mul_hi_u32 s12, s0, s14
	s_mul_i32 s20, s1, s14
	s_add_nc_u64 s[12:13], s[12:13], s[18:19]
	s_mul_hi_u32 s16, s1, s14
	s_mul_hi_u32 s21, s1, s15
	s_add_co_u32 s12, s12, s20
	s_add_co_ci_u32 s16, s13, s16
	s_mul_i32 s14, s1, s15
	s_add_co_ci_u32 s15, s21, 0
	s_delay_alu instid0(SALU_CYCLE_1) | instskip(SKIP_3) | instid1(SALU_CYCLE_1)
	s_add_nc_u64 s[12:13], s[16:17], s[14:15]
	s_mov_b32 s15, s23
	s_add_co_u32 s0, s0, s12
	s_cselect_b32 s12, -1, 0
	s_cmp_lg_u32 s12, 0
	s_add_co_ci_u32 s1, s1, s13
	s_mov_b32 s13, s23
	s_wait_alu 0xfffe
	s_mul_u64 s[6:7], s[6:7], s[0:1]
	s_wait_alu 0xfffe
	s_mul_hi_u32 s17, s0, s7
	s_mul_i32 s16, s0, s7
	s_mul_hi_u32 s12, s0, s6
	s_mul_i32 s18, s1, s6
	s_add_nc_u64 s[12:13], s[12:13], s[16:17]
	s_mul_hi_u32 s14, s1, s6
	s_mul_hi_u32 s19, s1, s7
	s_mul_i32 s6, s1, s7
	s_add_co_u32 s7, s12, s18
	s_add_co_ci_u32 s14, s13, s14
	s_add_co_ci_u32 s7, s19, 0
	s_mov_b32 s13, s23
	s_wait_alu 0xfffe
	s_add_nc_u64 s[6:7], s[14:15], s[6:7]
	s_wait_alu 0xfffe
	s_add_co_u32 s14, s0, s6
	s_cselect_b32 s0, -1, 0
	s_wait_alu 0xfffe
	s_cmp_lg_u32 s0, 0
	s_add_co_ci_u32 s18, s1, s7
	s_ashr_i32 s0, s9, 31
	s_wait_alu 0xfffe
	s_mov_b32 s1, s0
	s_wait_alu 0xfffe
	s_add_nc_u64 s[6:7], s[8:9], s[0:1]
	s_wait_alu 0xfffe
	s_xor_b64 s[6:7], s[6:7], s[0:1]
	s_wait_alu 0xfffe
	s_mul_hi_u32 s17, s6, s18
	s_mul_i32 s16, s6, s18
	s_mul_hi_u32 s12, s6, s14
	s_mul_hi_u32 s19, s7, s14
	s_mul_i32 s14, s7, s14
	s_add_nc_u64 s[12:13], s[12:13], s[16:17]
	s_mul_hi_u32 s9, s7, s18
	s_add_co_u32 s12, s12, s14
	s_add_co_ci_u32 s14, s13, s19
	s_mul_i32 s16, s7, s18
	s_add_co_ci_u32 s17, s9, 0
	s_delay_alu instid0(SALU_CYCLE_1) | instskip(NEXT) | instid1(SALU_CYCLE_1)
	s_add_nc_u64 s[12:13], s[14:15], s[16:17]
	s_mul_u64 s[14:15], s[10:11], s[12:13]
	s_delay_alu instid0(SALU_CYCLE_1)
	s_sub_co_u32 s6, s6, s14
	s_cselect_b32 s9, -1, 0
	s_sub_co_i32 s14, s7, s15
	s_cmp_lg_u32 s9, 0
	s_sub_co_ci_u32 s14, s14, s11
	s_wait_alu 0xfffe
	s_sub_co_u32 s16, s6, s10
	s_cselect_b32 s17, -1, 0
	s_delay_alu instid0(SALU_CYCLE_1) | instskip(SKIP_1) | instid1(SALU_CYCLE_1)
	s_cmp_lg_u32 s17, 0
	s_sub_co_ci_u32 s14, s14, 0
	s_cmp_ge_u32 s14, s11
	s_cselect_b32 s18, -1, 0
	s_cmp_ge_u32 s16, s10
	s_add_nc_u64 s[16:17], s[12:13], 1
	s_cselect_b32 s19, -1, 0
	s_cmp_eq_u32 s14, s11
	s_cselect_b32 s14, s19, s18
	s_add_nc_u64 s[18:19], s[12:13], 2
	s_cmp_lg_u32 s14, 0
	s_cselect_b32 s14, s18, s16
	s_cselect_b32 s16, s19, s17
	s_cmp_lg_u32 s9, 0
	s_sub_co_ci_u32 s7, s7, s15
	s_wait_alu 0xfffe
	s_cmp_ge_u32 s7, s11
	s_cselect_b32 s9, -1, 0
	s_cmp_ge_u32 s6, s10
	s_cselect_b32 s6, -1, 0
	s_cmp_eq_u32 s7, s11
	s_wait_alu 0xfffe
	s_cselect_b32 s6, s6, s9
	s_wait_alu 0xfffe
	s_cmp_lg_u32 s6, 0
	s_cselect_b32 s7, s16, s13
	s_cselect_b32 s6, s14, s12
	s_xor_b64 s[0:1], s[0:1], 0
	s_wait_alu 0xfffe
	s_xor_b64 s[6:7], s[6:7], s[0:1]
	s_wait_alu 0xfffe
	s_sub_nc_u64 s[48:49], s[6:7], s[0:1]
	s_load_b64 s[46:47], s[58:59], 0x74
	v_cvt_f32_u32_e32 v1, s22
	s_and_not1_b32 vcc_lo, exec_lo, s23
	s_cbranch_vccnz .LBB24_3
.LBB24_2:
	s_delay_alu instid0(VALU_DEP_1) | instskip(SKIP_1) | instid1(TRANS32_DEP_1)
	v_rcp_iflag_f32_e32 v2, v1
	s_sub_co_i32 s1, 0, s22
	v_mul_f32_e32 v2, 0x4f7ffffe, v2
	s_delay_alu instid0(VALU_DEP_1) | instskip(NEXT) | instid1(VALU_DEP_1)
	v_cvt_u32_f32_e32 v2, v2
	v_readfirstlane_b32 s0, v2
	s_wait_alu 0xfffe
	s_mul_i32 s1, s1, s0
	s_wait_alu 0xfffe
	s_mul_hi_u32 s1, s0, s1
	s_wait_alu 0xfffe
	s_add_co_i32 s0, s0, s1
	s_wait_alu 0xfffe
	s_mul_hi_u32 s0, s8, s0
	s_wait_alu 0xfffe
	s_mul_i32 s1, s0, s22
	s_add_co_i32 s6, s0, 1
	s_wait_alu 0xfffe
	s_sub_co_i32 s1, s8, s1
	s_wait_alu 0xfffe
	s_sub_co_i32 s7, s1, s22
	s_cmp_ge_u32 s1, s22
	s_cselect_b32 s0, s6, s0
	s_wait_alu 0xfffe
	s_cselect_b32 s1, s7, s1
	s_add_co_i32 s6, s0, 1
	s_wait_alu 0xfffe
	s_cmp_ge_u32 s1, s22
	s_cselect_b32 s48, s6, s0
.LBB24_3:
	s_add_co_i32 s8, ttmp9, 1
	s_mov_b32 s9, 0
	s_delay_alu instid0(SALU_CYCLE_1)
	s_mul_u64 s[2:3], s[2:3], s[8:9]
	s_mov_b32 s0, s9
	s_wait_alu 0xfffe
	s_mov_b32 s1, s3
	s_wait_alu 0xfffe
	s_cmp_lg_u64 s[0:1], 0
	s_cbranch_scc0 .LBB24_426
; %bb.4:
	s_xor_b64 s[4:5], s[4:5], 0
	s_delay_alu instid0(SALU_CYCLE_1) | instskip(SKIP_3) | instid1(SALU_CYCLE_1)
	s_cvt_f32_u32 s0, s4
	s_cvt_f32_u32 s1, s5
	s_sub_nc_u64 s[6:7], 0, s[4:5]
	s_wait_alu 0xfffe
	s_fmamk_f32 s0, s1, 0x4f800000, s0
	s_wait_alu 0xfffe
	s_delay_alu instid0(SALU_CYCLE_2) | instskip(NEXT) | instid1(TRANS32_DEP_1)
	v_s_rcp_f32 s0, s0
	s_mul_f32 s0, s0, 0x5f7ffffc
	s_wait_alu 0xfffe
	s_delay_alu instid0(SALU_CYCLE_2) | instskip(SKIP_1) | instid1(SALU_CYCLE_2)
	s_mul_f32 s1, s0, 0x2f800000
	s_wait_alu 0xfffe
	s_trunc_f32 s1, s1
	s_wait_alu 0xfffe
	s_delay_alu instid0(SALU_CYCLE_2) | instskip(SKIP_2) | instid1(SALU_CYCLE_1)
	s_fmamk_f32 s0, s1, 0xcf800000, s0
	s_cvt_u32_f32 s1, s1
	s_wait_alu 0xfffe
	s_cvt_u32_f32 s0, s0
	s_wait_alu 0xfffe
	s_delay_alu instid0(SALU_CYCLE_2) | instskip(NEXT) | instid1(SALU_CYCLE_1)
	s_mul_u64 s[10:11], s[6:7], s[0:1]
	s_mul_hi_u32 s13, s0, s11
	s_mul_i32 s12, s0, s11
	s_mul_hi_u32 s8, s0, s10
	s_mul_i32 s15, s1, s10
	s_add_nc_u64 s[12:13], s[8:9], s[12:13]
	s_mul_hi_u32 s14, s1, s10
	s_mul_hi_u32 s16, s1, s11
	s_add_co_u32 s8, s12, s15
	s_add_co_ci_u32 s8, s13, s14
	s_mul_i32 s10, s1, s11
	s_add_co_ci_u32 s11, s16, 0
	s_delay_alu instid0(SALU_CYCLE_1) | instskip(NEXT) | instid1(SALU_CYCLE_1)
	s_add_nc_u64 s[10:11], s[8:9], s[10:11]
	s_add_co_u32 s0, s0, s10
	s_cselect_b32 s8, -1, 0
	s_delay_alu instid0(SALU_CYCLE_1)
	s_cmp_lg_u32 s8, 0
	s_add_co_ci_u32 s1, s1, s11
	s_wait_alu 0xfffe
	s_mul_u64 s[6:7], s[6:7], s[0:1]
	s_wait_alu 0xfffe
	s_mul_hi_u32 s11, s0, s7
	s_mul_i32 s10, s0, s7
	s_mul_hi_u32 s8, s0, s6
	s_mul_i32 s13, s1, s6
	s_add_nc_u64 s[10:11], s[8:9], s[10:11]
	s_mul_hi_u32 s12, s1, s6
	s_mul_hi_u32 s14, s1, s7
	s_mul_i32 s6, s1, s7
	s_add_co_u32 s7, s10, s13
	s_add_co_ci_u32 s8, s11, s12
	s_add_co_ci_u32 s7, s14, 0
	s_wait_alu 0xfffe
	s_add_nc_u64 s[6:7], s[8:9], s[6:7]
	s_wait_alu 0xfffe
	s_add_co_u32 s12, s0, s6
	s_cselect_b32 s0, -1, 0
	s_wait_alu 0xfffe
	s_cmp_lg_u32 s0, 0
	s_add_co_ci_u32 s13, s1, s7
	s_ashr_i32 s0, s3, 31
	s_wait_alu 0xfffe
	s_mov_b32 s1, s0
	s_wait_alu 0xfffe
	s_add_nc_u64 s[6:7], s[2:3], s[0:1]
	s_wait_alu 0xfffe
	s_xor_b64 s[6:7], s[6:7], s[0:1]
	s_wait_alu 0xfffe
	s_mul_hi_u32 s11, s6, s13
	s_mul_i32 s10, s6, s13
	s_mul_hi_u32 s8, s6, s12
	s_mul_i32 s15, s7, s12
	s_add_nc_u64 s[10:11], s[8:9], s[10:11]
	s_mul_hi_u32 s14, s7, s12
	s_mul_hi_u32 s3, s7, s13
	s_add_co_u32 s8, s10, s15
	s_add_co_ci_u32 s8, s11, s14
	s_mul_i32 s12, s7, s13
	s_wait_alu 0xfffe
	s_add_co_ci_u32 s13, s3, 0
	s_delay_alu instid0(SALU_CYCLE_1) | instskip(NEXT) | instid1(SALU_CYCLE_1)
	s_add_nc_u64 s[10:11], s[8:9], s[12:13]
	s_mul_u64 s[12:13], s[4:5], s[10:11]
	s_delay_alu instid0(SALU_CYCLE_1)
	s_sub_co_u32 s3, s6, s12
	s_cselect_b32 s6, -1, 0
	s_sub_co_i32 s8, s7, s13
	s_wait_alu 0xfffe
	s_cmp_lg_u32 s6, 0
	s_sub_co_ci_u32 s8, s8, s5
	s_sub_co_u32 s12, s3, s4
	s_cselect_b32 s14, -1, 0
	s_delay_alu instid0(SALU_CYCLE_1) | instskip(SKIP_2) | instid1(SALU_CYCLE_1)
	s_cmp_lg_u32 s14, 0
	s_add_nc_u64 s[14:15], s[10:11], 1
	s_sub_co_ci_u32 s8, s8, 0
	s_cmp_ge_u32 s8, s5
	s_cselect_b32 s16, -1, 0
	s_cmp_ge_u32 s12, s4
	s_cselect_b32 s12, -1, 0
	s_cmp_eq_u32 s8, s5
	s_cselect_b32 s8, s12, s16
	s_add_nc_u64 s[16:17], s[10:11], 2
	s_cmp_lg_u32 s8, 0
	s_cselect_b32 s8, s16, s14
	s_cselect_b32 s12, s17, s15
	s_cmp_lg_u32 s6, 0
	s_sub_co_ci_u32 s6, s7, s13
	s_wait_alu 0xfffe
	s_cmp_ge_u32 s6, s5
	s_cselect_b32 s7, -1, 0
	s_cmp_ge_u32 s3, s4
	s_cselect_b32 s3, -1, 0
	s_cmp_eq_u32 s6, s5
	s_wait_alu 0xfffe
	s_cselect_b32 s3, s3, s7
	s_wait_alu 0xfffe
	s_cmp_lg_u32 s3, 0
	s_cselect_b32 s5, s12, s11
	s_cselect_b32 s4, s8, s10
	s_xor_b64 s[0:1], s[0:1], 0
	s_wait_alu 0xfffe
	s_xor_b64 s[4:5], s[4:5], s[0:1]
	s_delay_alu instid0(SALU_CYCLE_1)
	s_sub_nc_u64 s[54:55], s[4:5], s[0:1]
	s_load_b64 s[36:37], s[58:59], 0x5c
	s_and_not1_b32 vcc_lo, exec_lo, s9
	s_cbranch_vccnz .LBB24_6
.LBB24_5:
	v_rcp_iflag_f32_e32 v1, v1
	s_sub_co_i32 s1, 0, s22
	s_delay_alu instid0(TRANS32_DEP_1) | instskip(NEXT) | instid1(VALU_DEP_1)
	v_mul_f32_e32 v1, 0x4f7ffffe, v1
	v_cvt_u32_f32_e32 v1, v1
	s_delay_alu instid0(VALU_DEP_1)
	v_readfirstlane_b32 s0, v1
	s_wait_alu 0xfffe
	s_mul_i32 s1, s1, s0
	s_wait_alu 0xfffe
	s_mul_hi_u32 s1, s0, s1
	s_wait_alu 0xfffe
	s_add_co_i32 s0, s0, s1
	s_wait_alu 0xfffe
	s_mul_hi_u32 s0, s2, s0
	s_wait_alu 0xfffe
	s_mul_i32 s1, s0, s22
	s_wait_alu 0xfffe
	s_sub_co_i32 s1, s2, s1
	s_add_co_i32 s2, s0, 1
	s_wait_alu 0xfffe
	s_sub_co_i32 s3, s1, s22
	s_cmp_ge_u32 s1, s22
	s_cselect_b32 s0, s2, s0
	s_wait_alu 0xfffe
	s_cselect_b32 s1, s3, s1
	s_add_co_i32 s2, s0, 1
	s_wait_alu 0xfffe
	s_cmp_ge_u32 s1, s22
	s_cselect_b32 s54, s2, s0
.LBB24_6:
	s_clause 0x3
	s_load_b32 s1, s[58:59], 0x40
	s_load_b64 s[44:45], s[58:59], 0x8c
	s_load_b128 s[28:31], s[58:59], 0x98
	s_load_b64 s[2:3], s[58:59], 0xa8
	v_writelane_b32 v255, s22, 1
	s_abs_i32 s49, s99
	s_ashr_i32 s7, s27, 3
	s_cvt_f32_u32 s0, s49
	s_sub_co_i32 s4, 0, s49
	v_writelane_b32 v255, s23, 2
	s_wait_kmcnt 0x0
	s_ashr_i32 s50, s46, 3
	s_wait_alu 0xfffe
	v_rcp_iflag_f32_e32 v1, s0
	s_ashr_i32 s0, s48, 31
	s_ashr_i32 s55, s99, 31
	s_load_b512 s[8:23], s[58:59], 0x0
	v_bfe_u32 v149, v0, 10, 10
	v_and_b32_e32 v229, 0x3ff, v0
	v_bfe_u32 v113, v0, 10, 1
	v_lshrrev_b32_e32 v114, 10, v0
	s_mov_b32 s57, 0
	v_add_nc_u32_e32 v193, 4, v149
	s_ashr_i32 s26, s44, 2
	s_ashr_i32 s34, s30, 2
	v_writelane_b32 v255, s2, 3
	v_add_nc_u32_e32 v220, 8, v149
	v_add_nc_u32_e32 v237, 12, v149
	;; [unrolled: 1-line block ×4, first 2 shown]
	v_writelane_b32 v255, s3, 4
	s_clause 0x1
	s_load_b64 s[60:61], s[58:59], 0xb8
	s_load_b64 s[2:3], s[58:59], 0xc8
	v_add_nc_u32_e32 v246, 24, v149
	v_add_nc_u32_e32 v232, 28, v149
	;; [unrolled: 1-line block ×10, first 2 shown]
	s_mov_b32 s53, s57
	s_wait_kmcnt 0x0
	s_ashr_i32 s38, s61, 1
	v_writelane_b32 v255, s2, 5
	v_writelane_b32 v255, s3, 6
	v_readfirstlane_b32 s2, v1
	s_abs_i32 s3, s48
	v_mul_u32_u24_e32 v1, 0x110, v149
	v_writelane_b32 v255, s50, 7
	s_mul_f32 s2, s2, 0x4f7ffffe
	scratch_store_b32 off, v1, off offset:296 ; 4-byte Folded Spill
	v_mov_b32_e32 v1, v229
	s_wait_alu 0xfffe
	s_cvt_u32_f32 s2, s2
	v_writelane_b32 v255, s60, 8
	s_clause 0x3
	scratch_store_b64 off, v[1:2], off offset:272
	scratch_store_b32 off, v149, off offset:304
	scratch_store_b32 off, v220, off offset:308
	;; [unrolled: 1-line block ×3, first 2 shown]
	s_wait_alu 0xfffe
	s_mul_i32 s4, s4, s2
	v_writelane_b32 v255, s61, 9
	s_mul_hi_u32 s4, s2, s4
	s_delay_alu instid0(SALU_CYCLE_1) | instskip(NEXT) | instid1(SALU_CYCLE_1)
	s_add_co_i32 s52, s2, s4
	s_mul_hi_u32 s2, s3, s52
	s_wait_alu 0xfffe
	s_mul_i32 s2, s2, s49
	s_wait_alu 0xfffe
	s_sub_co_i32 s2, s3, s2
	s_wait_alu 0xfffe
	s_sub_co_i32 s3, s2, s49
	s_cmp_ge_u32 s2, s49
	s_wait_alu 0xfffe
	s_cselect_b32 s2, s3, s2
	s_wait_alu 0xfffe
	s_sub_co_i32 s3, s2, s49
	s_cmp_ge_u32 s2, s49
	s_wait_alu 0xfffe
	s_cselect_b32 s2, s3, s2
	s_sub_co_i32 s3, s54, s48
	s_wait_alu 0xfffe
	s_xor_b32 s2, s2, s0
	s_wait_alu 0xfffe
	s_sub_co_i32 s95, s2, s0
	s_delay_alu instid0(SALU_CYCLE_1)
	s_add_co_i32 s3, s3, s95
	s_wait_alu 0xfffe
	s_min_i32 s33, s99, s3
	s_cmp_gt_i32 s54, s48
	s_cselect_b32 s0, -1, 0
	s_cmp_le_i32 s54, s48
	s_cselect_b32 s2, -1, 0
	s_cmp_gt_i32 s99, s3
	s_cselect_b32 s3, -1, 0
	s_wait_alu 0xfffe
	s_or_b32 s2, s3, s2
	s_wait_alu 0xfffe
	s_and_b32 vcc_lo, exec_lo, s2
	s_cvt_f16_f32 s2, s1
	s_wait_alu 0xfffe
	s_delay_alu instid0(SALU_CYCLE_2)
	v_writelane_b32 v255, s2, 10
	s_cbranch_vccnz .LBB24_356
; %bb.7:
	v_lshlrev_b32_e32 v34, 4, v149
	s_cmp_eq_u64 s[16:17], 0
	v_bfe_u32 v24, v0, 1, 9
	v_or_b32_e32 v35, 12, v229
	v_bfe_u32 v1, v0, 4, 6
	v_and_or_b32 v8, v0, 14, v34
	v_lshlrev_b32_e32 v234, 2, v229
	s_cselect_b32 s1, -1, 0
	s_cmp_lg_u64 s[18:19], 0
	s_wait_alu 0xfffe
	v_writelane_b32 v255, s1, 11
	v_lshrrev_b32_e32 v38, 1, v8
	s_cselect_b32 s1, -1, 0
	s_abs_i32 s101, s98
	v_and_b32_e32 v37, 56, v24
	v_and_b32_e32 v35, 0x7c, v35
	v_mad_u32_u24 v38, 0x90, v38, 0
	v_lshl_add_u32 v4, v149, 1, v1
	v_and_b32_e32 v36, 60, v234
	s_cvt_f32_u32 s40, s101
	v_dual_mov_b32 v116, 0 :: v_dual_and_b32 v33, 15, v0
	v_and_b32_e32 v30, 0x1fe, v24
	v_lshl_add_u32 v208, v37, 1, v38
	v_add_nc_u32_e32 v191, v38, v35
	s_abs_i32 s102, s97
	v_rcp_iflag_f32_e32 v38, s40
	v_mul_u32_u24_e32 v32, 0x110, v4
	v_lshlrev_b32_e32 v39, 2, v36
	s_cvt_f32_u32 s41, s102
	v_and_b32_e32 v35, 1, v0
	s_abs_i32 s103, s96
	s_abs_i32 s104, s60
	v_or_b32_e32 v41, 7, v30
	v_lshl_add_u32 v122, v33, 2, 0
	v_add3_u32 v233, 0, v32, v39
	s_wait_alu 0xfffe
	v_rcp_iflag_f32_e32 v39, s41
	s_cvt_f32_u32 s41, s103
	s_cvt_f32_u32 s43, s104
	v_or_b32_e32 v40, 6, v30
	scratch_store_b32 off, v35, off offset:288 ; 4-byte Folded Spill
	v_or_b32_e32 v35, v34, v229
	v_mul_u32_u24_e32 v121, 0x110, v41
	v_mad_u32_u24 v222, 0x110, v41, v122
	s_wait_alu 0xfffe
	v_rcp_iflag_f32_e32 v41, s41
	v_readfirstlane_b32 s41, v38
	v_rcp_iflag_f32_e32 v38, s43
	s_lshl_b32 s56, ttmp9, 6
	v_mul_u32_u24_e32 v120, 0x110, v40
	v_mad_u32_u24 v212, 0x110, v40, v122
	v_lshlrev_b32_e32 v40, 3, v35
	s_lshl_b64 s[4:5], s[56:57], 3
	v_and_b32_e32 v2, 0x70, v0
	v_bfe_u32 v0, v0, 10, 4
	s_add_nc_u64 s[4:5], s[22:23], s[4:5]
	v_readfirstlane_b32 s43, v39
	v_add_co_u32 v39, s4, s4, v40
	v_mad_u32_u24 v185, 0x110, v37, v122
	s_wait_alu 0xf1ff
	v_add_co_ci_u32_e64 v40, null, s5, 0, s4
	v_lshl_add_u32 v123, v37, 2, 0
	v_or_b32_e32 v34, v34, v33
	v_and_or_b32 v37, 0xf0, v250, v0
	v_readfirstlane_b32 s5, v38
	v_and_or_b32 v38, 0xf0, v49, v0
	v_and_or_b32 v0, 0xf0, v45, v0
	v_mul_u32_u24_e32 v124, 0x110, v34
	v_mad_u32_u24 v34, 0x110, v37, 0
	v_mul_lo_u32 v1, s26, v4
	v_mad_u32_u24 v37, 0x110, v38, 0
	v_mad_u32_u24 v38, 0x110, v0, 0
	v_mul_u32_u24_e32 v0, 0x110, v35
	v_mul_u32_u24_e32 v6, 0x110, v33
	v_mad_u32_u24 v50, 0x110, v149, 0
	v_writelane_b32 v255, s1, 12
	s_lshl_b32 s1, s26, 3
	v_add_nc_u32_e32 v0, 0, v0
	v_add3_u32 v172, 0, v6, v2
	v_ashrrev_i32_e32 v2, 31, v1
	s_movk_i32 s6, 0x440
	s_wait_alu 0xfffe
	v_add_nc_u32_e32 v3, s1, v1
	scratch_store_b32 off, v0, off offset:624 ; 4-byte Folded Spill
	v_add_nc_u32_e32 v0, 0x440, v50
	v_lshlrev_b64_e32 v[125:126], 2, v[1:2]
	v_mad_u32_u24 v1, 0x110, v149, s6
	s_movk_i32 s3, 0x880
	v_add_nc_u32_e32 v7, s1, v3
	scratch_store_b32 off, v0, off offset:764 ; 4-byte Folded Spill
	v_add_nc_u32_e32 v0, v0, v234
	s_clause 0x1
	scratch_store_b64 off, v[39:40], off offset:612
	scratch_store_b32 off, v1, off offset:364
	v_add_nc_u32_e32 v1, 0x880, v50
	s_movk_i32 s30, 0xcc0
	scratch_store_b32 off, v0, off offset:284 ; 4-byte Folded Spill
	s_wait_alu 0xfffe
	v_mad_u32_u24 v0, 0x110, v149, s3
	v_add_nc_u32_e32 v2, 0xcc0, v50
	s_clause 0x1
	scratch_store_b32 off, v0, off offset:376
	scratch_store_b32 off, v1, off offset:768
	v_add_nc_u32_e32 v0, v1, v234
	v_mad_u32_u24 v1, 0x110, v149, s30
	s_movk_i32 s0, 0x1100
	v_add_nc_u32_e32 v9, s1, v7
	s_clause 0x1
	scratch_store_b32 off, v0, off offset:292
	scratch_store_b32 off, v2, off offset:780
	v_add_nc_u32_e32 v0, v2, v234
	v_add_nc_u32_e32 v2, v34, v234
	scratch_store_b32 off, v1, off offset:384 ; 4-byte Folded Spill
	s_wait_alu 0xfffe
	v_mad_u32_u24 v1, 0x110, v149, s0
	v_add_nc_u32_e32 v13, s1, v9
	s_movk_i32 s42, 0x1540
	s_clause 0x2
	scratch_store_b32 off, v2, off offset:772
	scratch_store_b32 off, v0, off offset:300
	scratch_store_b32 off, v1, off offset:392
	v_add_nc_u32_e32 v1, 0x440, v0
	v_add_nc_u32_e32 v17, s1, v13
	;; [unrolled: 1-line block ×3, first 2 shown]
	v_mul_lo_u32 v5, s34, v4
	v_ashrrev_i32_e32 v4, 31, v3
	scratch_store_b32 off, v1, off offset:396 ; 4-byte Folded Spill
	s_wait_alu 0xfffe
	v_mad_u32_u24 v1, 0x110, v149, s42
	v_add_nc_u32_e32 v21, s1, v17
	scratch_store_b32 off, v2, off offset:812 ; 4-byte Folded Spill
	v_add_nc_u32_e32 v2, v2, v234
	v_lshlrev_b64_e32 v[156:157], 2, v[3:4]
	scratch_store_b32 off, v1, off offset:404 ; 4-byte Folded Spill
	v_add_nc_u32_e32 v1, 0x880, v0
	v_add_nc_u32_e32 v25, s1, v21
	s_movk_i32 s1, 0x1980
	v_add_nc_u32_e32 v3, 0x3fc0, v50
	v_ashrrev_i32_e32 v6, 31, v5
	scratch_store_b32 off, v1, off offset:408 ; 4-byte Folded Spill
	s_wait_alu 0xfffe
	v_mad_u32_u24 v1, 0x110, v149, s1
	s_and_b32 s100, 0xffff, s2
	s_lshl_b32 s2, s34, 3
	v_lshlrev_b64_e32 v[146:147], 2, v[5:6]
	s_wait_alu 0xfffe
	v_add_nc_u32_e32 v11, s2, v5
	scratch_store_b32 off, v1, off offset:416 ; 4-byte Folded Spill
	v_add_nc_u32_e32 v1, 0xcc0, v0
	v_ashrrev_i32_e32 v8, 31, v7
	v_ashrrev_i32_e32 v10, 31, v9
	;; [unrolled: 1-line block ×3, first 2 shown]
	v_add_nc_u32_e32 v15, s2, v11
	scratch_store_b32 off, v1, off offset:420 ; 4-byte Folded Spill
	v_add_nc_u32_e32 v1, 0x1100, v0
	v_lshlrev_b64_e32 v[158:159], 2, v[7:8]
	v_lshlrev_b64_e32 v[150:151], 2, v[11:12]
	v_ashrrev_i32_e32 v16, 31, v15
	v_add_nc_u32_e32 v19, s2, v15
	scratch_store_b32 off, v1, off offset:432 ; 4-byte Folded Spill
	v_add_nc_u32_e32 v1, 0x1540, v0
	v_lshlrev_b64_e32 v[160:161], 2, v[9:10]
	v_lshlrev_b64_e32 v[152:153], 2, v[15:16]
	v_ashrrev_i32_e32 v20, 31, v19
	v_add_nc_u32_e32 v23, s2, v19
	scratch_store_b32 off, v1, off offset:440 ; 4-byte Folded Spill
	v_add_nc_u32_e32 v1, 0x1980, v0
	v_ashrrev_i32_e32 v14, 31, v13
	v_lshlrev_b64_e32 v[177:178], 2, v[19:20]
	v_ashrrev_i32_e32 v24, 31, v23
	v_add_nc_u32_e32 v27, s2, v23
	scratch_store_b32 off, v1, off offset:448 ; 4-byte Folded Spill
	v_add_nc_u32_e32 v1, 0x1dc0, v0
	v_lshlrev_b64_e32 v[162:163], 2, v[13:14]
	v_lshlrev_b64_e32 v[179:180], 2, v[23:24]
	v_ashrrev_i32_e32 v28, 31, v27
	v_add_nc_u32_e32 v29, s2, v27
	scratch_store_b32 off, v1, off offset:456 ; 4-byte Folded Spill
	v_add_nc_u32_e32 v1, 0x2200, v0
	v_ashrrev_i32_e32 v18, 31, v17
	v_lshlrev_b64_e32 v[181:182], 2, v[27:28]
	v_ashrrev_i32_e32 v30, 31, v29
	v_add_nc_u32_e32 v31, s2, v29
	scratch_store_b32 off, v1, off offset:464 ; 4-byte Folded Spill
	v_add_nc_u32_e32 v1, 0x2640, v0
	v_lshlrev_b64_e32 v[175:176], 2, v[17:18]
	v_lshlrev_b64_e32 v[183:184], 2, v[29:30]
	v_ashrrev_i32_e32 v32, 31, v31
	v_ashrrev_i32_e32 v22, 31, v21
	scratch_store_b32 off, v1, off offset:472 ; 4-byte Folded Spill
	v_add_nc_u32_e32 v1, 0x2a80, v0
	s_mul_f32 s41, s41, 0x4f7ffffe
	v_lshlrev_b64_e32 v[187:188], 2, v[31:32]
	v_lshlrev_b64_e32 v[230:231], 2, v[21:22]
	s_sub_co_i32 s44, 0, s101
	scratch_store_b32 off, v1, off offset:480 ; 4-byte Folded Spill
	v_add_nc_u32_e32 v1, 0x2ec0, v0
	v_add_nc_u32_e32 v0, 0x3300, v0
	s_wait_alu 0xfffe
	s_cvt_u32_f32 s41, s41
	s_ashr_i32 s51, s98, 31
	v_ashrrev_i32_e32 v26, 31, v25
	scratch_store_b32 off, v1, off offset:488 ; 4-byte Folded Spill
	v_add_nc_u32_e32 v1, 0x1540, v50
	scratch_store_b32 off, v34, off offset:788 ; 4-byte Folded Spill
	s_wait_alu 0xfffe
	s_mul_i32 s44, s44, s41
	v_writelane_b32 v255, s51, 13
	s_mul_hi_u32 s44, s41, s44
	scratch_store_b32 off, v1, off offset:796 ; 4-byte Folded Spill
	v_add_nc_u32_e32 v1, v1, v234
	scratch_store_b32 off, v0, off offset:496 ; 4-byte Folded Spill
	v_add_nc_u32_e32 v0, 0x1980, v50
	s_add_co_i32 s60, s41, s44
	s_mov_b32 s61, s57
	v_lshlrev_b64_e32 v[235:236], 2, v[25:26]
	s_wait_alu 0xfffe
	v_writelane_b32 v255, s60, 14
	scratch_store_b32 off, v0, off offset:804 ; 4-byte Folded Spill
	v_add_nc_u32_e32 v0, v0, v234
	scratch_store_b32 off, v1, off offset:784 ; 4-byte Folded Spill
	v_add_nc_u32_e32 v1, 0x2640, v50
	s_mul_f32 s43, s43, 0x4f7ffffe
	v_readfirstlane_b32 s4, v41
	s_clause 0x2
	scratch_store_b32 off, v0, off offset:792
	scratch_store_b32 off, v2, off offset:800
	;; [unrolled: 1-line block ×3, first 2 shown]
	v_add_nc_u32_e32 v2, v37, v234
	v_add_nc_u32_e32 v0, 0x2a80, v50
	s_clause 0x1
	scratch_store_b32 off, v2, off offset:808
	scratch_store_b32 off, v1, off offset:828
	v_add_nc_u32_e32 v1, v1, v234
	scratch_store_b32 off, v0, off offset:836 ; 4-byte Folded Spill
	v_add_nc_u32_e32 v0, v0, v234
	scratch_store_b32 off, v50, off offset:620 ; 4-byte Folded Spill
	;; [unrolled: 2-line block ×4, first 2 shown]
	v_add_nc_u32_e32 v0, 0x3740, v50
	s_wait_alu 0xfffe
	s_cvt_u32_f32 s43, s43
	v_writelane_b32 v255, s61, 15
	scratch_store_b32 off, v1, off offset:844 ; 4-byte Folded Spill
	v_add_nc_u32_e32 v1, v1, v234
	s_clause 0x1
	scratch_store_b32 off, v1, off offset:832
	scratch_store_b32 off, v38, off offset:852
	v_add_nc_u32_e32 v1, v38, v234
	s_clause 0x1
	scratch_store_b32 off, v1, off offset:840
	scratch_store_b32 off, v0, off offset:860
	;; [unrolled: 4-line block ×4, first 2 shown]
	v_add_nc_u32_e32 v0, v3, v234
	s_sub_co_i32 s41, 0, s102
	s_ashr_i32 s44, s97, 31
	s_wait_alu 0xfffe
	s_mul_i32 s41, s41, s43
	s_mul_f32 s4, s4, 0x4f7ffffe
	scratch_store_b32 off, v0, off offset:864 ; 4-byte Folded Spill
	v_add_nc_u32_e32 v0, 32, v229
	v_writelane_b32 v255, s44, 16
	s_wait_alu 0xfffe
	s_mul_hi_u32 s41, s43, s41
	s_mul_f32 s5, s5, 0x4f7ffffe
	v_mad_co_u64_u32 v[218:219], null, v113, s50, v[229:230]
	scratch_store_b32 off, v0, off offset:868 ; 4-byte Folded Spill
	v_add_co_u32 v0, vcc_lo, s12, v146
	s_wait_alu 0xfffe
	s_add_co_i32 s60, s43, s41
	s_cvt_u32_f32 s4, s4
	s_ashr_i32 s41, s96, 31
	scratch_store_b32 off, v0, off offset:636 ; 4-byte Folded Spill
	v_add_co_ci_u32_e64 v0, null, s13, v147, vcc_lo
	v_lshlrev_b32_e32 v115, 1, v229
	s_wait_alu 0xfffe
	v_writelane_b32 v255, s41, 17
	s_sub_co_i32 s41, 0, s103
	scratch_store_b32 off, v0, off offset:640 ; 4-byte Folded Spill
	v_add_co_u32 v0, vcc_lo, s12, v150
	s_cvt_u32_f32 s5, s5
	s_wait_alu 0xfffe
	s_mul_i32 s41, s41, s4
	s_sub_co_i32 s43, 0, s104
	scratch_store_b32 off, v0, off offset:644 ; 4-byte Folded Spill
	s_wait_alu 0xfffd
	v_add_co_ci_u32_e64 v0, null, s13, v151, vcc_lo
	v_mul_u32_u24_e32 v117, 0x90, v149
	s_movk_i32 s40, 0x1dc0
	v_mad_u32_u24 v119, 0x1100, v149, v172
	scratch_store_b32 off, v0, off offset:648 ; 4-byte Folded Spill
	v_add_co_u32 v0, vcc_lo, s12, v152
	s_wait_alu 0xfffe
	s_mul_hi_u32 s41, s4, s41
	s_mul_i32 s43, s43, s5
	v_add_nc_u32_e32 v118, 0, v234
	scratch_store_b32 off, v0, off offset:652 ; 4-byte Folded Spill
	s_wait_alu 0xfffd
	v_add_co_ci_u32_e64 v0, null, s13, v153, vcc_lo
	v_add_nc_u32_e32 v128, 0x880, v233
	v_add_nc_u32_e32 v228, 0x1100, v233
	;; [unrolled: 1-line block ×3, first 2 shown]
	scratch_store_b32 off, v0, off offset:656 ; 4-byte Folded Spill
	v_add_co_u32 v0, vcc_lo, s12, v177
	v_add_nc_u32_e32 v252, 0x2200, v233
	v_add_nc_u32_e32 v190, 0x2a80, v233
	;; [unrolled: 1-line block ×3, first 2 shown]
	scratch_store_b32 off, v0, off offset:660 ; 4-byte Folded Spill
	s_wait_alu 0xfffd
	v_add_co_ci_u32_e64 v0, null, s13, v178, vcc_lo
	v_add_nc_u32_e32 v225, 0x3b80, v233
	v_add_nc_u32_e32 v205, 32, v208
	;; [unrolled: 1-line block ×3, first 2 shown]
	scratch_store_b32 off, v0, off offset:664 ; 4-byte Folded Spill
	v_add_co_u32 v0, vcc_lo, s12, v179
	v_add_nc_u32_e32 v173, 64, v208
	v_add_nc_u32_e32 v174, 0x48, v208
	v_cmp_gt_u32_e64 s2, 16, v229
	scratch_store_b32 off, v0, off offset:668 ; 4-byte Folded Spill
	s_wait_alu 0xfffd
	v_add_co_ci_u32_e64 v0, null, s13, v180, vcc_lo
	v_lshlrev_b32_e32 v167, 4, v33
	v_lshlrev_b32_e32 v247, 2, v36
	v_add_nc_u32_e32 v209, 0x60, v208
	scratch_store_b32 off, v0, off offset:672 ; 4-byte Folded Spill
	v_add_co_u32 v0, vcc_lo, s12, v181
	v_bfe_u32 v127, v114, 1, 9
	v_add_nc_u32_e32 v148, v50, v234
	v_lshrrev_b32_e32 v164, 1, v193
	scratch_store_b32 off, v0, off offset:676 ; 4-byte Folded Spill
	s_wait_alu 0xfffd
	v_add_co_ci_u32_e64 v0, null, s13, v182, vcc_lo
	v_lshrrev_b32_e32 v168, 1, v220
	v_lshrrev_b32_e32 v186, 1, v237
	;; [unrolled: 1-line block ×3, first 2 shown]
	scratch_store_b32 off, v0, off offset:680 ; 4-byte Folded Spill
	v_add_co_u32 v0, vcc_lo, s12, v183
	v_lshrrev_b32_e32 v194, 1, v248
	v_lshrrev_b32_e32 v195, 1, v246
	;; [unrolled: 1-line block ×3, first 2 shown]
	scratch_store_b32 off, v0, off offset:684 ; 4-byte Folded Spill
	s_wait_alu 0xfffd
	v_add_co_ci_u32_e64 v0, null, s13, v184, vcc_lo
	v_mad_u32_u24 v197, 0x110, v149, s40
	v_lshrrev_b32_e32 v206, 1, v49
	v_lshrrev_b32_e32 v207, 1, v48
	scratch_store_b32 off, v0, off offset:688 ; 4-byte Folded Spill
	v_add_co_u32 v0, vcc_lo, s12, v187
	v_lshrrev_b32_e32 v210, 1, v47
	v_lshrrev_b32_e32 v192, 1, v46
	;; [unrolled: 1-line block ×3, first 2 shown]
	scratch_store_b32 off, v0, off offset:692 ; 4-byte Folded Spill
	s_wait_alu 0xfffd
	v_add_co_ci_u32_e64 v0, null, s13, v188, vcc_lo
	v_lshrrev_b32_e32 v214, 1, v44
	v_lshrrev_b32_e32 v215, 1, v43
	;; [unrolled: 1-line block ×3, first 2 shown]
	scratch_store_b32 off, v0, off offset:696 ; 4-byte Folded Spill
	v_add_co_u32 v0, vcc_lo, s10, v125
	v_mbcnt_lo_u32_b32 v217, -1, 0
	s_ashr_i32 s39, s38, 31
	s_ashr_i32 s27, s26, 31
	scratch_store_b32 off, v0, off offset:700 ; 4-byte Folded Spill
	s_wait_alu 0xfffd
	v_add_co_ci_u32_e64 v0, null, s11, v126, vcc_lo
	s_ashr_i32 s35, s34, 31
	s_wait_alu 0xfffe
	s_add_co_i32 s62, s4, s41
	s_mul_hi_u32 s4, s5, s43
	scratch_store_b32 off, v0, off offset:704 ; 4-byte Folded Spill
	v_add_co_u32 v0, vcc_lo, s10, v156
	s_mul_i32 s100, s100, 0x10001
	s_mov_b32 s61, s57
	s_mov_b32 s63, s57
	scratch_store_b32 off, v0, off offset:708 ; 4-byte Folded Spill
	s_wait_alu 0xfffd
	v_add_co_ci_u32_e64 v0, null, s11, v157, vcc_lo
	s_wait_alu 0xfffe
	s_add_co_i32 s64, s5, s4
	s_mov_b32 s65, s57
	s_lshl_b64 s[66:67], s[38:39], 1
	scratch_store_b32 off, v0, off offset:712 ; 4-byte Folded Spill
	v_add_co_u32 v0, vcc_lo, s10, v158
	s_lshl_b64 s[68:69], s[34:35], 8
	s_lshl_b64 s[70:71], s[26:27], 8
	scratch_store_b32 off, v0, off offset:716 ; 4-byte Folded Spill
	s_wait_alu 0xfffd
	v_add_co_ci_u32_e64 v0, null, s11, v159, vcc_lo
	scratch_store_b32 off, v0, off offset:720 ; 4-byte Folded Spill
	v_add_co_u32 v0, vcc_lo, s10, v160
	scratch_store_b32 off, v0, off offset:724 ; 4-byte Folded Spill
	s_wait_alu 0xfffd
	v_add_co_ci_u32_e64 v0, null, s11, v161, vcc_lo
	scratch_store_b32 off, v0, off offset:728 ; 4-byte Folded Spill
	v_add_co_u32 v0, vcc_lo, s10, v162
	;; [unrolled: 5-line block ×5, first 2 shown]
	scratch_store_b32 off, v0, off offset:756 ; 4-byte Folded Spill
	s_wait_alu 0xfffd
	v_add_co_ci_u32_e64 v0, null, s11, v236, vcc_lo
	scratch_store_b32 off, v0, off offset:760 ; 4-byte Folded Spill
	v_mov_b32_e32 v0, v113
	s_clause 0x1f
	scratch_store_b64 off, v[0:1], off offset:312
	scratch_store_b32 off, v114, off offset:320
	scratch_store_b32 off, v115, off offset:324
	scratch_store_b32 off, v117, off
	scratch_store_b32 off, v119, off offset:328
	scratch_store_b32 off, v120, off offset:332
	;; [unrolled: 1-line block ×6, first 2 shown]
	scratch_store_b64 off, v[146:147], off offset:8
	scratch_store_b64 off, v[150:151], off offset:16
	;; [unrolled: 1-line block ×14, first 2 shown]
	scratch_store_b32 off, v127, off offset:352
	scratch_store_b32 off, v148, off offset:356
	;; [unrolled: 1-line block ×8, first 2 shown]
	s_clause 0x9
	scratch_store_b32 off, v196, off offset:424
	scratch_store_b32 off, v197, off offset:428
	;; [unrolled: 1-line block ×10, first 2 shown]
	v_mov_b32_e32 v0, v218
	s_clause 0x6
	scratch_store_b64 off, v[0:1], off offset:500
	scratch_store_b32 off, v208, off offset:4
	scratch_store_b64 off, v[235:236], off offset:120
	scratch_store_b64 off, v[230:231], off offset:628
	scratch_store_b32 off, v191, off offset:256
	scratch_store_b32 off, v209, off offset:260
	;; [unrolled: 1-line block ×3, first 2 shown]
	s_branch .LBB24_9
.LBB24_8:                               ;   in Loop: Header=BB24_9 Depth=1
	s_wait_alu 0xfffe
	s_or_b32 exec_lo, exec_lo, s0
	s_add_co_i32 s3, s48, s99
	s_mov_b32 s95, 0
	s_wait_alu 0xfffe
	s_abs_i32 s56, s3
	s_delay_alu instid0(SALU_CYCLE_1)
	s_mul_u64 s[0:1], s[56:57], s[52:53]
	s_wait_alu 0xfffe
	s_mul_i32 s0, s1, s49
	s_ashr_i32 s1, s3, 31
	s_wait_alu 0xfffe
	s_sub_co_i32 s0, s56, s0
	s_wait_alu 0xfffe
	s_sub_co_i32 s4, s0, s49
	s_cmp_ge_u32 s0, s49
	s_wait_alu 0xfffe
	s_cselect_b32 s0, s4, s0
	s_wait_alu 0xfffe
	s_sub_co_i32 s4, s0, s49
	s_cmp_ge_u32 s0, s49
	s_wait_alu 0xfffe
	s_cselect_b32 s0, s4, s0
	s_wait_alu 0xfffe
	s_xor_b32 s0, s0, s1
	s_wait_alu 0xfffe
	s_sub_co_i32 s0, s1, s0
	s_wait_alu 0xfffe
	s_add_co_i32 s48, s3, s0
	s_delay_alu instid0(SALU_CYCLE_1)
	s_sub_co_i32 s1, s54, s48
	s_wait_alu 0xfffe
	s_min_i32 s33, s99, s1
	s_cmp_gt_i32 s54, s48
	s_cselect_b32 s0, -1, 0
	s_cmp_le_i32 s99, s1
	s_cselect_b32 s1, -1, 0
	s_wait_alu 0xfffe
	s_and_b32 s1, s1, s0
	s_wait_alu 0xfffe
	s_and_b32 vcc_lo, exec_lo, s1
	s_wait_alu 0xfffe
	s_cbranch_vccz .LBB24_356
.LBB24_9:                               ; =>This Loop Header: Depth=1
                                        ;     Child Loop BB24_80 Depth 2
                                        ;     Child Loop BB24_250 Depth 2
	v_readlane_b32 s0, v255, 14
	v_readlane_b32 s1, v255, 15
	s_abs_i32 s56, s48
	v_readlane_b32 s4, v255, 13
	v_readlane_b32 s6, v255, 16
	s_mul_u64 s[0:1], s[56:57], s[0:1]
	s_ashr_i32 s0, s48, 31
	s_wait_alu 0xfffe
	s_mul_i32 s3, s1, s101
	s_xor_b32 s0, s0, s4
	s_wait_alu 0xfffe
	s_sub_co_i32 s3, s56, s3
	s_add_co_i32 s4, s1, 1
	s_wait_alu 0xfffe
	s_sub_co_i32 s5, s3, s101
	s_cmp_ge_u32 s3, s101
	s_cselect_b32 s1, s4, s1
	s_wait_alu 0xfffe
	s_cselect_b32 s3, s5, s3
	s_add_co_i32 s4, s1, 1
	s_wait_alu 0xfffe
	s_cmp_ge_u32 s3, s101
	s_cselect_b32 s1, s4, s1
	s_wait_alu 0xfffe
	s_xor_b32 s1, s1, s0
	s_wait_alu 0xfffe
	s_sub_co_i32 s4, s1, s0
	s_wait_alu 0xfffe
	s_mul_i32 s0, s4, s98
	s_wait_alu 0xfffe
	s_sub_co_i32 s3, s48, s0
	s_wait_alu 0xfffe
	s_abs_i32 s56, s3
	s_delay_alu instid0(SALU_CYCLE_1)
	s_mul_u64 s[0:1], s[56:57], s[60:61]
	s_ashr_i32 s0, s3, 31
	s_wait_alu 0xfffe
	s_mul_i32 s5, s1, s102
	s_xor_b32 s0, s0, s6
	s_wait_alu 0xfffe
	s_sub_co_i32 s5, s56, s5
	s_add_co_i32 s6, s1, 1
	s_wait_alu 0xfffe
	s_sub_co_i32 s30, s5, s102
	s_cmp_ge_u32 s5, s102
	s_cselect_b32 s1, s6, s1
	s_wait_alu 0xfffe
	s_cselect_b32 s5, s30, s5
	s_add_co_i32 s6, s1, 1
	s_wait_alu 0xfffe
	s_cmp_ge_u32 s5, s102
	s_cselect_b32 s1, s6, s1
	v_readlane_b32 s6, v255, 17
	s_wait_alu 0xfffe
	s_xor_b32 s1, s1, s0
	s_wait_alu 0xfffe
	s_sub_co_i32 s0, s1, s0
	s_wait_alu 0xfffe
	s_mul_i32 s1, s0, s97
	s_wait_alu 0xfffe
	s_sub_co_i32 s3, s3, s1
	s_wait_alu 0xfffe
	s_abs_i32 s56, s3
	s_ashr_i32 s1, s3, 31
	s_mul_u64 s[40:41], s[56:57], s[62:63]
	s_wait_alu 0xfffe
	s_xor_b32 s1, s1, s6
	s_mul_i32 s5, s41, s103
	s_add_co_i32 s6, s41, 1
	s_wait_alu 0xfffe
	s_sub_co_i32 s5, s56, s5
	s_wait_alu 0xfffe
	s_sub_co_i32 s30, s5, s103
	s_cmp_ge_u32 s5, s103
	s_cselect_b32 s6, s6, s41
	s_wait_alu 0xfffe
	s_cselect_b32 s5, s30, s5
	s_add_co_i32 s30, s6, 1
	s_wait_alu 0xfffe
	s_cmp_ge_u32 s5, s103
	s_cselect_b32 s5, s30, s6
	s_wait_alu 0xfffe
	s_xor_b32 s5, s5, s1
	s_wait_alu 0xfffe
	s_sub_co_i32 s1, s5, s1
	s_wait_alu 0xfffe
	s_mul_i32 s5, s1, s96
	s_wait_alu 0xfffe
	s_sub_co_i32 s3, s3, s5
	s_wait_alu 0xfffe
	s_abs_i32 s56, s3
	s_ashr_i32 s3, s3, 31
	s_mul_u64 s[40:41], s[56:57], s[52:53]
	s_wait_alu 0xfffe
	s_xor_b32 s3, s3, s55
	s_mul_i32 s5, s41, s49
	s_add_co_i32 s6, s41, 1
	s_wait_alu 0xfffe
	s_sub_co_i32 s5, s56, s5
	s_wait_alu 0xfffe
	s_sub_co_i32 s30, s5, s49
	s_cmp_ge_u32 s5, s49
	s_cselect_b32 s6, s6, s41
	s_wait_alu 0xfffe
	s_cselect_b32 s5, s30, s5
	s_add_co_i32 s30, s6, 1
	s_wait_alu 0xfffe
	s_cmp_ge_u32 s5, s49
	s_cselect_b32 s5, s30, s6
	v_readlane_b32 s6, v255, 12
	s_wait_alu 0xfffe
	s_xor_b32 s5, s5, s3
	s_wait_alu 0xfffe
	s_sub_co_i32 s67, s5, s3
	s_and_not1_b32 vcc_lo, exec_lo, s6
	s_wait_alu 0xfffe
	s_cbranch_vccnz .LBB24_11
; %bb.10:                               ;   in Loop: Header=BB24_9 Depth=1
	v_readlane_b32 s3, v255, 0
	s_mul_i32 s3, s4, s3
	s_wait_alu 0xfffe
	s_add_co_i32 s40, s67, s3
	s_wait_alu 0xfffe
	s_ashr_i32 s41, s40, 31
	s_wait_alu 0xfffe
	s_lshl_b64 s[40:41], s[40:41], 2
	s_wait_alu 0xfffe
	s_add_nc_u64 s[40:41], s[18:19], s[40:41]
	global_load_b32 v0, v116, s[40:41]
	s_wait_loadcnt 0x0
	v_readfirstlane_b32 s3, v0
	s_ashr_i32 s5, s3, 31
	s_wait_alu 0xfffe
	s_lshr_b32 s5, s5, 26
	s_wait_alu 0xfffe
	s_add_co_i32 s3, s3, s5
	s_wait_alu 0xfffe
	s_ashr_i32 s3, s3, 6
	s_wait_alu 0xfffe
	s_min_i32 s33, s33, s3
.LBB24_11:                              ;   in Loop: Header=BB24_9 Depth=1
	s_abs_i32 s56, s4
	s_mul_i32 s3, s0, s94
	s_lshl_b32 s6, s1, 1
	s_mul_u64 s[50:51], s[56:57], s[64:65]
	s_wait_alu 0xfffe
	s_add_co_i32 s40, s6, s3
	s_mul_i32 s1, s51, s104
	s_load_b64 s[50:51], s[58:59], 0xc8
	s_mul_i32 s42, s4, s47
	s_mul_i32 s72, s40, s46
	;; [unrolled: 1-line block ×3, first 2 shown]
	s_sub_co_i32 s1, s56, s1
	s_wait_alu 0xfffe
	s_ashr_i32 s43, s42, 31
	s_ashr_i32 s73, s72, 31
	;; [unrolled: 1-line block ×4, first 2 shown]
	s_sub_co_i32 s3, s1, s104
	s_cmp_ge_u32 s1, s104
	s_wait_alu 0xfffe
	s_add_nc_u64 s[42:43], s[8:9], s[42:43]
	s_cselect_b32 s1, s3, s1
	s_mul_u64 s[84:85], s[28:29], s[4:5]
	s_wait_alu 0xfffe
	s_sub_co_i32 s3, s1, s104
	s_cmp_ge_u32 s1, s104
	s_add_nc_u64 s[90:91], s[42:43], s[72:73]
	s_wait_alu 0xfffe
	s_cselect_b32 s1, s3, s1
	s_add_nc_u64 s[42:43], s[10:11], s[84:85]
	s_wait_alu 0xfffe
	s_xor_b32 s1, s1, s5
	s_add_nc_u64 s[78:79], s[42:43], s[82:83]
	s_wait_alu 0xfffe
	s_sub_co_i32 s42, s1, s5
	s_mul_i32 s3, s24, s25
	s_wait_alu 0xfffe
	s_ashr_i32 s43, s42, 31
	s_mul_i32 s3, s3, s4
	s_wait_kmcnt 0x0
	s_wait_alu 0xfffe
	s_mul_u64 s[42:43], s[50:51], s[42:43]
	s_load_b64 s[50:51], s[58:59], 0xa8
	s_add_co_i32 s1, s40, s3
	s_ashr_i32 s41, s40, 31
	v_readlane_b32 s3, v255, 11
	s_wait_alu 0xfffe
	s_lshl_b32 s56, s1, 6
	s_mul_i32 s88, s0, s31
	s_lshl_b64 s[0:1], s[40:41], 2
	v_or_b32_e32 v145, s6, v113
	s_add_nc_u64 s[80:81], s[14:15], s[42:43]
	s_lshl_b64 s[42:43], s[56:57], 3
	s_ashr_i32 s89, s88, 31
	s_wait_alu 0xfffe
	s_add_nc_u64 s[0:1], s[16:17], s[0:1]
	s_and_b32 s3, s3, exec_lo
	s_add_nc_u64 s[72:73], s[20:21], s[42:43]
	s_wait_alu 0xfffe
	s_cselect_b32 s75, 0, s1
	s_cselect_b32 s74, 0, s0
	s_cmp_lg_u32 s95, 0
	s_wait_kmcnt 0x0
	s_mul_u64 s[86:87], s[50:51], s[4:5]
	s_wait_alu 0xfffe
	s_add_nc_u64 s[4:5], s[12:13], s[86:87]
	s_wait_alu 0xfffe
	s_add_nc_u64 s[76:77], s[4:5], s[88:89]
	s_cbranch_scc0 .LBB24_82
; %bb.12:                               ;   in Loop: Header=BB24_9 Depth=1
	s_lshl_b32 s0, s67, 5
	v_cmp_le_i32_e64 s4, s94, v145
	s_wait_alu 0xfffe
	v_add_nc_u32_e32 v169, s0, v127
	v_cmp_gt_i32_e32 vcc_lo, s94, v145
	s_delay_alu instid0(VALU_DEP_2)
	v_cmp_le_i32_e64 s3, s24, v169
	s_or_b32 s1, s3, s4
	s_wait_alu 0xfffe
	s_and_saveexec_b32 s3, s1
	s_wait_alu 0xfffe
	s_xor_b32 s1, exec_lo, s3
	s_cbranch_execz .LBB24_14
; %bb.13:                               ;   in Loop: Header=BB24_9 Depth=1
	scratch_load_b32 v0, off, off offset:296 ; 4-byte Folded Reload
	s_wait_loadcnt 0x0
	v_add_nc_u32_e32 v0, v118, v0
	ds_store_2addr_b32 v0, v116, v116 offset1:32
.LBB24_14:                              ;   in Loop: Header=BB24_9 Depth=1
	s_wait_alu 0xfffe
	s_and_not1_saveexec_b32 s1, s1
	s_cbranch_execz .LBB24_16
; %bb.15:                               ;   in Loop: Header=BB24_9 Depth=1
	v_mad_co_u64_u32 v[0:1], null, v169, s7, v[218:219]
	s_delay_alu instid0(VALU_DEP_1) | instskip(NEXT) | instid1(VALU_DEP_1)
	v_ashrrev_i32_e32 v1, 31, v0
	v_lshlrev_b64_e32 v[0:1], 3, v[0:1]
	s_delay_alu instid0(VALU_DEP_1) | instskip(SKIP_1) | instid1(VALU_DEP_2)
	v_add_co_u32 v0, s3, s90, v0
	s_wait_alu 0xf1ff
	v_add_co_ci_u32_e64 v1, null, s91, v1, s3
	s_clause 0x1
	global_load_b64 v[2:3], v[0:1], off
	global_load_b64 v[0:1], v[0:1], off offset:256
	s_wait_loadcnt 0x1
	v_cvt_f16_f32_e32 v2, v2
	v_cvt_f16_f32_e32 v3, v3
	s_wait_loadcnt 0x0
	v_cvt_f16_f32_e32 v0, v0
	v_cvt_f16_f32_e32 v1, v1
	s_delay_alu instid0(VALU_DEP_3) | instskip(NEXT) | instid1(VALU_DEP_2)
	v_pack_b32_f16 v2, v2, v3
	v_pack_b32_f16 v0, v0, v1
	s_delay_alu instid0(VALU_DEP_2) | instskip(NEXT) | instid1(VALU_DEP_2)
	v_pk_mul_f16 v1, v2, s100
	v_pk_mul_f16 v0, v0, s100
	ds_store_2addr_b32 v148, v1, v0 offset1:32
.LBB24_16:                              ;   in Loop: Header=BB24_9 Depth=1
	s_wait_alu 0xfffe
	s_or_b32 exec_lo, exec_lo, s1
	v_add_nc_u32_e32 v199, s0, v164
	s_xor_b32 s1, vcc_lo, -1
	s_delay_alu instid0(VALU_DEP_1)
	v_cmp_le_i32_e64 s3, s24, v199
	s_wait_alu 0xfffe
	s_or_b32 s3, s3, s1
	s_wait_alu 0xfffe
	s_and_saveexec_b32 s4, s3
	s_wait_alu 0xfffe
	s_xor_b32 s3, exec_lo, s4
	s_cbranch_execz .LBB24_18
; %bb.17:                               ;   in Loop: Header=BB24_9 Depth=1
	scratch_load_b32 v0, off, off offset:364 ; 4-byte Folded Reload
	s_wait_loadcnt 0x0
	v_add_nc_u32_e32 v0, v118, v0
	ds_store_2addr_b32 v0, v116, v116 offset1:32
.LBB24_18:                              ;   in Loop: Header=BB24_9 Depth=1
	s_wait_alu 0xfffe
	s_and_not1_saveexec_b32 s3, s3
	s_cbranch_execz .LBB24_20
; %bb.19:                               ;   in Loop: Header=BB24_9 Depth=1
	v_mad_co_u64_u32 v[0:1], null, v199, s7, v[218:219]
	s_delay_alu instid0(VALU_DEP_1) | instskip(NEXT) | instid1(VALU_DEP_1)
	v_ashrrev_i32_e32 v1, 31, v0
	v_lshlrev_b64_e32 v[0:1], 3, v[0:1]
	s_delay_alu instid0(VALU_DEP_1) | instskip(SKIP_1) | instid1(VALU_DEP_2)
	v_add_co_u32 v0, vcc_lo, s90, v0
	s_wait_alu 0xfffd
	v_add_co_ci_u32_e64 v1, null, s91, v1, vcc_lo
	s_clause 0x1
	global_load_b64 v[2:3], v[0:1], off
	global_load_b64 v[0:1], v[0:1], off offset:256
	s_wait_loadcnt 0x1
	v_cvt_f16_f32_e32 v2, v2
	v_cvt_f16_f32_e32 v3, v3
	s_wait_loadcnt 0x0
	v_cvt_f16_f32_e32 v0, v0
	v_cvt_f16_f32_e32 v1, v1
	s_delay_alu instid0(VALU_DEP_3) | instskip(NEXT) | instid1(VALU_DEP_2)
	v_pack_b32_f16 v2, v2, v3
	v_pack_b32_f16 v0, v0, v1
	s_delay_alu instid0(VALU_DEP_2)
	v_pk_mul_f16 v1, v2, s100
	scratch_load_b32 v2, off, off offset:284 ; 4-byte Folded Reload
	v_pk_mul_f16 v0, v0, s100
	s_wait_loadcnt 0x0
	ds_store_2addr_b32 v2, v1, v0 offset1:32
.LBB24_20:                              ;   in Loop: Header=BB24_9 Depth=1
	s_wait_alu 0xfffe
	s_or_b32 exec_lo, exec_lo, s3
	v_add_nc_u32_e32 v198, s0, v168
	s_delay_alu instid0(VALU_DEP_1)
	v_cmp_le_i32_e32 vcc_lo, s24, v198
	s_or_b32 s3, vcc_lo, s1
	s_wait_alu 0xfffe
	s_and_saveexec_b32 s4, s3
	s_wait_alu 0xfffe
	s_xor_b32 s3, exec_lo, s4
	s_cbranch_execz .LBB24_22
; %bb.21:                               ;   in Loop: Header=BB24_9 Depth=1
	scratch_load_b32 v0, off, off offset:376 ; 4-byte Folded Reload
	s_wait_loadcnt 0x0
	v_add_nc_u32_e32 v0, v118, v0
	ds_store_2addr_b32 v0, v116, v116 offset1:32
.LBB24_22:                              ;   in Loop: Header=BB24_9 Depth=1
	s_wait_alu 0xfffe
	s_and_not1_saveexec_b32 s3, s3
	s_cbranch_execz .LBB24_24
; %bb.23:                               ;   in Loop: Header=BB24_9 Depth=1
	v_mad_co_u64_u32 v[0:1], null, v198, s7, v[218:219]
	s_delay_alu instid0(VALU_DEP_1) | instskip(NEXT) | instid1(VALU_DEP_1)
	v_ashrrev_i32_e32 v1, 31, v0
	v_lshlrev_b64_e32 v[0:1], 3, v[0:1]
	s_delay_alu instid0(VALU_DEP_1) | instskip(SKIP_1) | instid1(VALU_DEP_2)
	v_add_co_u32 v0, vcc_lo, s90, v0
	s_wait_alu 0xfffd
	v_add_co_ci_u32_e64 v1, null, s91, v1, vcc_lo
	s_clause 0x1
	global_load_b64 v[2:3], v[0:1], off
	global_load_b64 v[0:1], v[0:1], off offset:256
	s_wait_loadcnt 0x1
	v_cvt_f16_f32_e32 v2, v2
	v_cvt_f16_f32_e32 v3, v3
	s_wait_loadcnt 0x0
	v_cvt_f16_f32_e32 v0, v0
	v_cvt_f16_f32_e32 v1, v1
	s_delay_alu instid0(VALU_DEP_3) | instskip(NEXT) | instid1(VALU_DEP_2)
	v_pack_b32_f16 v2, v2, v3
	v_pack_b32_f16 v0, v0, v1
	s_delay_alu instid0(VALU_DEP_2)
	v_pk_mul_f16 v1, v2, s100
	scratch_load_b32 v2, off, off offset:292 ; 4-byte Folded Reload
	v_pk_mul_f16 v0, v0, s100
	s_wait_loadcnt 0x0
	ds_store_2addr_b32 v2, v1, v0 offset1:32
.LBB24_24:                              ;   in Loop: Header=BB24_9 Depth=1
	s_wait_alu 0xfffe
	s_or_b32 exec_lo, exec_lo, s3
	v_add_nc_u32_e32 v166, s0, v186
	s_delay_alu instid0(VALU_DEP_1)
	v_cmp_le_i32_e32 vcc_lo, s24, v166
	s_or_b32 s3, vcc_lo, s1
	;; [unrolled: 48-line block ×6, first 2 shown]
	s_wait_alu 0xfffe
	s_and_saveexec_b32 s4, s3
	s_wait_alu 0xfffe
	s_xor_b32 s3, exec_lo, s4
; %bb.41:                               ;   in Loop: Header=BB24_9 Depth=1
	v_add_nc_u32_e32 v0, v118, v197
	ds_store_2addr_b32 v0, v116, v116 offset1:32
; %bb.42:                               ;   in Loop: Header=BB24_9 Depth=1
	s_wait_alu 0xfffe
	s_and_not1_saveexec_b32 s3, s3
	s_cbranch_execz .LBB24_44
; %bb.43:                               ;   in Loop: Header=BB24_9 Depth=1
	v_mad_co_u64_u32 v[0:1], null, v154, s7, v[218:219]
	s_delay_alu instid0(VALU_DEP_1) | instskip(NEXT) | instid1(VALU_DEP_1)
	v_ashrrev_i32_e32 v1, 31, v0
	v_lshlrev_b64_e32 v[0:1], 3, v[0:1]
	s_delay_alu instid0(VALU_DEP_1) | instskip(SKIP_1) | instid1(VALU_DEP_2)
	v_add_co_u32 v0, vcc_lo, s90, v0
	s_wait_alu 0xfffd
	v_add_co_ci_u32_e64 v1, null, s91, v1, vcc_lo
	s_clause 0x1
	global_load_b64 v[2:3], v[0:1], off
	global_load_b64 v[0:1], v[0:1], off offset:256
	s_wait_loadcnt 0x1
	v_cvt_f16_f32_e32 v2, v2
	v_cvt_f16_f32_e32 v3, v3
	s_wait_loadcnt 0x0
	v_cvt_f16_f32_e32 v0, v0
	v_cvt_f16_f32_e32 v1, v1
	s_delay_alu instid0(VALU_DEP_3) | instskip(NEXT) | instid1(VALU_DEP_2)
	v_pack_b32_f16 v2, v2, v3
	v_pack_b32_f16 v0, v0, v1
	s_delay_alu instid0(VALU_DEP_2)
	v_pk_mul_f16 v1, v2, s100
	scratch_load_b32 v2, off, off offset:432 ; 4-byte Folded Reload
	v_pk_mul_f16 v0, v0, s100
	s_wait_loadcnt 0x0
	ds_store_2addr_b32 v2, v1, v0 offset1:32
.LBB24_44:                              ;   in Loop: Header=BB24_9 Depth=1
	s_wait_alu 0xfffe
	s_or_b32 exec_lo, exec_lo, s3
	v_add_nc_u32_e32 v223, s0, v206
	s_delay_alu instid0(VALU_DEP_1)
	v_cmp_le_i32_e32 vcc_lo, s24, v223
	s_or_b32 s3, vcc_lo, s1
	s_wait_alu 0xfffe
	s_and_saveexec_b32 s4, s3
	s_wait_alu 0xfffe
	s_xor_b32 s3, exec_lo, s4
; %bb.45:                               ;   in Loop: Header=BB24_9 Depth=1
	v_add_nc_u32_e32 v0, v118, v197
	s_delay_alu instid0(VALU_DEP_1)
	v_add_nc_u32_e32 v0, 0x400, v0
	ds_store_2addr_b32 v0, v116, v116 offset0:16 offset1:48
; %bb.46:                               ;   in Loop: Header=BB24_9 Depth=1
	s_wait_alu 0xfffe
	s_and_not1_saveexec_b32 s3, s3
	s_cbranch_execz .LBB24_48
; %bb.47:                               ;   in Loop: Header=BB24_9 Depth=1
	v_mad_co_u64_u32 v[0:1], null, v223, s7, v[218:219]
	s_delay_alu instid0(VALU_DEP_1) | instskip(NEXT) | instid1(VALU_DEP_1)
	v_ashrrev_i32_e32 v1, 31, v0
	v_lshlrev_b64_e32 v[0:1], 3, v[0:1]
	s_delay_alu instid0(VALU_DEP_1) | instskip(SKIP_1) | instid1(VALU_DEP_2)
	v_add_co_u32 v0, vcc_lo, s90, v0
	s_wait_alu 0xfffd
	v_add_co_ci_u32_e64 v1, null, s91, v1, vcc_lo
	s_clause 0x1
	global_load_b64 v[2:3], v[0:1], off
	global_load_b64 v[0:1], v[0:1], off offset:256
	s_wait_loadcnt 0x1
	v_cvt_f16_f32_e32 v2, v2
	v_cvt_f16_f32_e32 v3, v3
	s_wait_loadcnt 0x0
	v_cvt_f16_f32_e32 v0, v0
	v_cvt_f16_f32_e32 v1, v1
	s_delay_alu instid0(VALU_DEP_3) | instskip(NEXT) | instid1(VALU_DEP_2)
	v_pack_b32_f16 v2, v2, v3
	v_pack_b32_f16 v0, v0, v1
	s_delay_alu instid0(VALU_DEP_2)
	v_pk_mul_f16 v1, v2, s100
	scratch_load_b32 v2, off, off offset:440 ; 4-byte Folded Reload
	v_pk_mul_f16 v0, v0, s100
	s_wait_loadcnt 0x0
	ds_store_2addr_b32 v2, v1, v0 offset1:32
.LBB24_48:                              ;   in Loop: Header=BB24_9 Depth=1
	s_wait_alu 0xfffe
	s_or_b32 exec_lo, exec_lo, s3
	v_add_nc_u32_e32 v226, s0, v207
	s_delay_alu instid0(VALU_DEP_1)
	v_cmp_le_i32_e32 vcc_lo, s24, v226
	s_or_b32 s3, vcc_lo, s1
	s_wait_alu 0xfffe
	s_and_saveexec_b32 s4, s3
	s_wait_alu 0xfffe
	s_xor_b32 s3, exec_lo, s4
; %bb.49:                               ;   in Loop: Header=BB24_9 Depth=1
	v_add_nc_u32_e32 v0, v118, v197
	s_delay_alu instid0(VALU_DEP_1)
	v_add_nc_u32_e32 v0, 0x800, v0
	ds_store_2addr_b32 v0, v116, v116 offset0:32 offset1:64
	;; [unrolled: 47-line block ×8, first 2 shown]
; %bb.74:                               ;   in Loop: Header=BB24_9 Depth=1
	s_wait_alu 0xfffe
	s_and_not1_saveexec_b32 s1, s1
	s_cbranch_execz .LBB24_76
; %bb.75:                               ;   in Loop: Header=BB24_9 Depth=1
	v_mad_co_u64_u32 v[0:1], null, v129, s7, v[218:219]
	s_delay_alu instid0(VALU_DEP_1) | instskip(NEXT) | instid1(VALU_DEP_1)
	v_ashrrev_i32_e32 v1, 31, v0
	v_lshlrev_b64_e32 v[0:1], 3, v[0:1]
	s_delay_alu instid0(VALU_DEP_1) | instskip(SKIP_1) | instid1(VALU_DEP_2)
	v_add_co_u32 v0, vcc_lo, s90, v0
	s_wait_alu 0xfffd
	v_add_co_ci_u32_e64 v1, null, s91, v1, vcc_lo
	s_clause 0x1
	global_load_b64 v[2:3], v[0:1], off
	global_load_b64 v[0:1], v[0:1], off offset:256
	s_wait_loadcnt 0x1
	v_cvt_f16_f32_e32 v2, v2
	v_cvt_f16_f32_e32 v3, v3
	s_wait_loadcnt 0x0
	v_cvt_f16_f32_e32 v0, v0
	v_cvt_f16_f32_e32 v1, v1
	s_delay_alu instid0(VALU_DEP_3) | instskip(NEXT) | instid1(VALU_DEP_2)
	v_pack_b32_f16 v2, v2, v3
	v_pack_b32_f16 v0, v0, v1
	s_delay_alu instid0(VALU_DEP_2)
	v_pk_mul_f16 v1, v2, s100
	scratch_load_b32 v2, off, off offset:496 ; 4-byte Folded Reload
	v_pk_mul_f16 v0, v0, s100
	s_wait_loadcnt 0x0
	ds_store_2addr_b32 v2, v1, v0 offset1:32
.LBB24_76:                              ;   in Loop: Header=BB24_9 Depth=1
	s_wait_alu 0xfffe
	s_or_b32 exec_lo, exec_lo, s1
	s_wait_storecnt_dscnt 0x0
	s_barrier_signal -1
	s_barrier_wait -1
	global_inv scope:SCOPE_SE
	ds_load_b128 v[56:59], v119
	ds_load_b128 v[60:63], v119 offset:32
	ds_load_b128 v[52:55], v119 offset:64
	ds_load_b128 v[48:51], v119 offset:96
	ds_load_b128 v[44:47], v119 offset:128
	ds_load_b128 v[40:43], v119 offset:160
	ds_load_b128 v[36:39], v119 offset:192
	ds_load_b128 v[32:35], v119 offset:224
	v_add_nc_u32_e32 v8, s0, v149
	v_add_nc_u32_e32 v9, s0, v193
	;; [unrolled: 1-line block ×8, first 2 shown]
	v_mul_hi_u32 v15, s36, v8
	v_mul_hi_u32 v14, s36, v9
	;; [unrolled: 1-line block ×8, first 2 shown]
	s_add_co_i32 s0, s33, -1
	s_mov_b32 s1, -1
	s_wait_alu 0xfffe
	s_cmp_lt_i32 s95, s0
	s_wait_loadcnt_dscnt 0x0
	s_barrier_signal -1
	s_barrier_wait -1
	global_inv scope:SCOPE_SE
                                        ; implicit-def: $vgpr92_vgpr93
                                        ; implicit-def: $vgpr249
                                        ; implicit-def: $vgpr251
                                        ; implicit-def: $vgpr94_vgpr95
                                        ; implicit-def: $vgpr135_vgpr136
                                        ; implicit-def: $vgpr137_vgpr138
                                        ; implicit-def: $vgpr141_vgpr142
                                        ; implicit-def: $vgpr143_vgpr144
                                        ; implicit-def: $vgpr139_vgpr140
                                        ; implicit-def: $vgpr133_vgpr134
	s_cbranch_scc1 .LBB24_78
; %bb.77:                               ;   in Loop: Header=BB24_9 Depth=1
	v_dual_mov_b32 v251, 32 :: v_dual_add_nc_u32 v16, v8, v15
	v_add_nc_u32_e32 v17, v9, v14
	v_add_nc_u32_e32 v18, v5, v13
	;; [unrolled: 1-line block ×3, first 2 shown]
	s_delay_alu instid0(VALU_DEP_4)
	v_lshrrev_b32_e32 v16, s37, v16
	v_add_nc_u32_e32 v20, v3, v11
	v_lshrrev_b32_e32 v17, s37, v17
	v_lshrrev_b32_e32 v18, s37, v18
	v_add_nc_u32_e32 v21, v2, v10
	v_mul_lo_u32 v16, v16, s24
	v_lshrrev_b32_e32 v19, s37, v19
	v_mul_lo_u32 v17, v17, s24
	v_mul_lo_u32 v18, v18, s24
	v_add_nc_u32_e32 v22, v1, v7
	v_add_nc_u32_e32 v23, v0, v6
	v_lshrrev_b32_e32 v20, s37, v20
	v_lshrrev_b32_e32 v21, s37, v21
	v_sub_nc_u32_e32 v16, v8, v16
	v_mul_lo_u32 v19, v19, s24
	v_sub_nc_u32_e32 v17, v9, v17
	v_xor_b32_e32 v249, 16, v217
	s_mov_b32 s1, 0
	v_mad_co_i64_i32 v[92:93], null, v16, s38, 0
	s_delay_alu instid0(VALU_DEP_3)
	v_mad_co_i64_i32 v[94:95], null, v17, s38, 0
	v_sub_nc_u32_e32 v16, v5, v18
	v_mul_lo_u32 v17, v20, s24
	v_mul_lo_u32 v18, v21, s24
	v_lshrrev_b32_e32 v20, s37, v22
	v_lshrrev_b32_e32 v21, s37, v23
	v_mad_co_i64_i32 v[135:136], null, v16, s38, 0
	v_sub_nc_u32_e32 v16, v4, v19
	s_delay_alu instid0(VALU_DEP_4) | instskip(NEXT) | instid1(VALU_DEP_4)
	v_mul_lo_u32 v19, v20, s24
	v_mul_lo_u32 v20, v21, s24
	v_sub_nc_u32_e32 v17, v3, v17
	s_delay_alu instid0(VALU_DEP_4) | instskip(SKIP_1) | instid1(VALU_DEP_3)
	v_mad_co_i64_i32 v[137:138], null, v16, s38, 0
	v_sub_nc_u32_e32 v16, v2, v18
	v_mad_co_i64_i32 v[141:142], null, v17, s38, 0
	v_sub_nc_u32_e32 v17, v1, v19
	v_sub_nc_u32_e32 v18, v0, v20
	s_delay_alu instid0(VALU_DEP_4) | instskip(NEXT) | instid1(VALU_DEP_3)
	v_mad_co_i64_i32 v[143:144], null, v16, s38, 0
	v_mad_co_i64_i32 v[139:140], null, v17, s38, 0
	s_delay_alu instid0(VALU_DEP_3)
	v_mad_co_i64_i32 v[133:134], null, v18, s38, 0
.LBB24_78:                              ;   in Loop: Header=BB24_9 Depth=1
	s_wait_alu 0xfffe
	s_and_not1_b32 vcc_lo, exec_lo, s1
	s_wait_alu 0xfffe
	s_cbranch_vccnz .LBB24_83
; %bb.79:                               ;   in Loop: Header=BB24_9 Depth=1
	scratch_load_b32 v202, off, off offset:4 ; 4-byte Folded Reload
	v_dual_mov_b32 v251, 32 :: v_dual_add_nc_u32 v14, v9, v14
	v_dual_mov_b32 v253, v217 :: v_dual_add_nc_u32 v12, v4, v12
	v_dual_mov_b32 v203, v250 :: v_dual_mov_b32 v250, v248
	s_delay_alu instid0(VALU_DEP_3) | instskip(SKIP_1) | instid1(VALU_DEP_4)
	v_lshrrev_b32_e32 v14, s37, v14
	v_dual_mov_b32 v248, v246 :: v_dual_add_nc_u32 v15, v8, v15
	v_lshrrev_b32_e32 v12, s37, v12
	v_add_nc_u32_e32 v6, v0, v6
	s_delay_alu instid0(VALU_DEP_4) | instskip(SKIP_2) | instid1(VALU_DEP_4)
	v_mul_lo_u32 v14, v14, s24
	v_dual_mov_b32 v246, v232 :: v_dual_add_nc_u32 v13, v5, v13
	v_lshrrev_b32_e32 v15, s37, v15
	v_lshrrev_b32_e32 v6, s37, v6
	v_add_nc_u32_e32 v7, v1, v7
	v_dual_mov_b32 v208, 0 :: v_dual_add_nc_u32 v11, v3, v11
	v_sub_nc_u32_e32 v9, v9, v14
	v_mul_lo_u32 v15, v15, s24
	v_lshrrev_b32_e32 v13, s37, v13
	s_delay_alu instid0(VALU_DEP_4)
	v_lshrrev_b32_e32 v11, s37, v11
	v_mov_b32_e32 v211, 0xfeffffff
	v_mad_co_i64_i32 v[94:95], null, v9, s38, 0
	v_mul_lo_u32 v9, v12, s24
	v_mul_lo_u32 v13, v13, s24
	v_sub_nc_u32_e32 v8, v8, v15
	v_xor_b32_e32 v249, 16, v217
	v_dual_mov_b32 v229, v220 :: v_dual_mov_b32 v254, v237
	v_dual_mov_b32 v18, v208 :: v_dual_mov_b32 v19, v208
	v_sub_nc_u32_e32 v4, v4, v9
	v_mad_co_i64_i32 v[92:93], null, v8, s38, 0
	v_add_nc_u32_e32 v8, v2, v10
	v_sub_nc_u32_e32 v5, v5, v13
	s_delay_alu instid0(VALU_DEP_4) | instskip(SKIP_1) | instid1(VALU_DEP_4)
	v_mad_co_i64_i32 v[137:138], null, v4, s38, 0
	v_mul_lo_u32 v4, v6, s24
	v_lshrrev_b32_e32 v8, s37, v8
	v_mul_lo_u32 v10, v11, s24
	v_mad_co_i64_i32 v[135:136], null, v5, s38, 0
	v_cmp_gt_i32_e32 vcc_lo, 32, v249
	s_delay_alu instid0(VALU_DEP_4)
	v_mul_lo_u32 v5, v8, s24
	v_lshlrev_b32_e32 v16, 1, v115
	v_sub_nc_u32_e32 v0, v0, v4
	v_mov_b32_e32 v4, 0
	v_lshrrev_b32_e32 v7, s37, v7
	v_sub_nc_u32_e32 v3, v3, v10
	v_dual_mov_b32 v8, 0 :: v_dual_mov_b32 v9, v208
	v_sub_nc_u32_e32 v2, v2, v5
	s_delay_alu instid0(VALU_DEP_4) | instskip(NEXT) | instid1(VALU_DEP_4)
	v_mul_lo_u32 v7, v7, s24
	v_mad_co_i64_i32 v[141:142], null, v3, s38, 0
	v_mad_co_i64_i32 v[133:134], null, v0, s38, 0
	s_delay_alu instid0(VALU_DEP_4) | instskip(SKIP_4) | instid1(VALU_DEP_3)
	v_mad_co_i64_i32 v[143:144], null, v2, s38, 0
	v_dual_mov_b32 v0, 0 :: v_dual_mov_b32 v3, v208
	v_sub_nc_u32_e32 v1, v1, v7
	v_dual_mov_b32 v2, v208 :: v_dual_mov_b32 v5, v4
	v_dual_mov_b32 v6, v4 :: v_dual_mov_b32 v7, v4
	v_mad_co_i64_i32 v[139:140], null, v1, s38, 0
	s_wait_alu 0xfffd
	v_cndmask_b32_e32 v1, v217, v249, vcc_lo
	v_add_co_u32 v192, s1, s80, v16
	s_wait_alu 0xf1ff
	v_add_co_ci_u32_e64 v193, null, s81, 0, s1
	s_delay_alu instid0(VALU_DEP_3)
	v_dual_mov_b32 v1, v208 :: v_dual_lshlrev_b32 v98, 2, v1
	v_dual_mov_b32 v10, v208 :: v_dual_mov_b32 v11, v208
	v_dual_mov_b32 v12, v4 :: v_dual_mov_b32 v13, v4
	;; [unrolled: 1-line block ×10, first 2 shown]
	s_lshl_b32 s92, s95, 6
	s_wait_loadcnt 0x0
	v_add_nc_u32_e32 v232, 0x68, v202
.LBB24_80:                              ;   Parent Loop BB24_9 Depth=1
                                        ; =>  This Inner Loop Header: Depth=2
	s_ashr_i32 s93, s92, 31
	v_lshlrev_b64_e32 v[64:65], 1, v[92:93]
	s_lshl_b64 s[4:5], s[92:93], 1
	v_lshlrev_b64_e32 v[66:67], 1, v[94:95]
	s_wait_alu 0xfffe
	v_add_co_u32 v80, vcc_lo, v192, s4
	s_wait_alu 0xfffd
	v_add_co_ci_u32_e64 v81, null, s5, v193, vcc_lo
	v_lshlrev_b64_e32 v[68:69], 1, v[135:136]
	s_delay_alu instid0(VALU_DEP_3)
	v_add_co_u32 v64, vcc_lo, v80, v64
	v_lshlrev_b64_e32 v[70:71], 1, v[137:138]
	s_wait_alu 0xfffd
	v_add_co_ci_u32_e64 v65, null, v81, v65, vcc_lo
	v_add_co_u32 v66, vcc_lo, v80, v66
	v_lshlrev_b64_e32 v[72:73], 1, v[141:142]
	s_wait_alu 0xfffd
	v_add_co_ci_u32_e64 v67, null, v81, v67, vcc_lo
	;; [unrolled: 4-line block ×5, first 2 shown]
	v_add_co_u32 v74, vcc_lo, v80, v74
	s_wait_alu 0xfffd
	v_add_co_ci_u32_e64 v75, null, v81, v75, vcc_lo
	v_add_co_u32 v76, vcc_lo, v80, v76
	s_wait_alu 0xfffd
	v_add_co_ci_u32_e64 v77, null, v81, v77, vcc_lo
	;; [unrolled: 3-line block ×3, first 2 shown]
	s_clause 0x7
	global_load_b32 v64, v[64:65], off
	global_load_b32 v65, v[66:67], off
	;; [unrolled: 1-line block ×8, first 2 shown]
	v_add_nc_u32_e32 v72, v118, v117
	v_mov_b32_e32 v206, v173
	s_mul_u64 s[4:5], s[92:93], s[26:27]
	s_add_co_i32 s95, s95, 1
	s_wait_alu 0xfffe
	s_lshl_b64 s[4:5], s[4:5], 2
	v_add_nc_u32_e32 v73, 0x4400, v72
	s_wait_alu 0xfffe
	s_add_nc_u64 s[4:5], s[78:79], s[4:5]
	v_mov_b32_e32 v207, v174
	v_mov_b32_e32 v201, v234
	s_wait_loadcnt 0x6
	ds_store_2addr_b32 v73, v64, v65 offset1:144
	v_add_nc_u32_e32 v64, 0x4800, v72
	s_wait_loadcnt 0x4
	ds_store_2addr_b32 v64, v66, v67 offset0:32 offset1:176
	v_add_nc_u32_e32 v64, 0x4c00, v72
	s_wait_loadcnt 0x2
	ds_store_2addr_b32 v64, v68, v69 offset0:64 offset1:208
	;; [unrolled: 3-line block ×3, first 2 shown]
	s_wait_alu 0xfffe
	v_add_co_u32 v64, vcc_lo, s4, v125
	s_wait_alu 0xfffd
	v_add_co_ci_u32_e64 v65, null, s5, v126, vcc_lo
	s_delay_alu instid0(VALU_DEP_2) | instskip(SKIP_1) | instid1(VALU_DEP_2)
	v_add_co_u32 v64, vcc_lo, v64, v247
	s_wait_alu 0xfffd
	v_add_co_ci_u32_e64 v65, null, 0, v65, vcc_lo
	v_add_co_u32 v66, vcc_lo, s4, v156
	s_wait_alu 0xfffd
	v_add_co_ci_u32_e64 v67, null, s5, v157, vcc_lo
	s_delay_alu instid0(VALU_DEP_2) | instskip(SKIP_1) | instid1(VALU_DEP_2)
	v_add_co_u32 v68, vcc_lo, v66, v247
	s_wait_alu 0xfffd
	v_add_co_ci_u32_e64 v69, null, 0, v67, vcc_lo
	s_clause 0x1
	global_load_b128 v[64:67], v[64:65], off
	global_load_b128 v[68:71], v[68:69], off
	s_wait_loadcnt 0x1
	ds_store_b128 v233, v[64:67]
	s_wait_loadcnt 0x0
	ds_store_b128 v128, v[68:71]
	v_add_co_u32 v64, vcc_lo, s4, v158
	s_wait_alu 0xfffd
	v_add_co_ci_u32_e64 v65, null, s5, v159, vcc_lo
	s_delay_alu instid0(VALU_DEP_2) | instskip(SKIP_1) | instid1(VALU_DEP_2)
	v_add_co_u32 v64, vcc_lo, v64, v247
	s_wait_alu 0xfffd
	v_add_co_ci_u32_e64 v65, null, 0, v65, vcc_lo
	v_add_co_u32 v66, vcc_lo, s4, v160
	s_wait_alu 0xfffd
	v_add_co_ci_u32_e64 v67, null, s5, v161, vcc_lo
	s_delay_alu instid0(VALU_DEP_2) | instskip(SKIP_1) | instid1(VALU_DEP_2)
	v_add_co_u32 v68, vcc_lo, v66, v247
	s_wait_alu 0xfffd
	v_add_co_ci_u32_e64 v69, null, 0, v67, vcc_lo
	s_clause 0x1
	global_load_b128 v[64:67], v[64:65], off
	global_load_b128 v[68:71], v[68:69], off
	s_wait_loadcnt 0x1
	ds_store_b128 v228, v[64:67]
	s_wait_loadcnt 0x0
	ds_store_b128 v132, v[68:71]
	;; [unrolled: 21-line block ×3, first 2 shown]
	v_add_co_u32 v64, vcc_lo, s4, v230
	s_wait_alu 0xfffd
	v_add_co_ci_u32_e64 v65, null, s5, v231, vcc_lo
	s_delay_alu instid0(VALU_DEP_2) | instskip(SKIP_1) | instid1(VALU_DEP_2)
	v_add_co_u32 v64, vcc_lo, v64, v247
	s_wait_alu 0xfffd
	v_add_co_ci_u32_e64 v65, null, 0, v65, vcc_lo
	v_add_co_u32 v66, vcc_lo, s4, v235
	s_wait_alu 0xfffd
	v_add_co_ci_u32_e64 v67, null, s5, v236, vcc_lo
	s_mul_u64 s[4:5], s[92:93], s[34:35]
	v_add_co_u32 v68, vcc_lo, v66, v247
	s_wait_alu 0xfffd
	v_add_co_ci_u32_e64 v69, null, 0, v67, vcc_lo
	s_clause 0x1
	global_load_b128 v[64:67], v[64:65], off
	global_load_b128 v[68:71], v[68:69], off
	s_wait_alu 0xfffe
	s_lshl_b64 s[4:5], s[4:5], 2
	s_add_co_i32 s92, s92, 64
	s_wait_alu 0xfffe
	s_add_nc_u64 s[4:5], s[76:77], s[4:5]
	s_cmp_lt_i32 s95, s0
	s_wait_loadcnt 0x1
	ds_store_b128 v165, v[64:67]
	s_wait_loadcnt 0x0
	ds_store_b128 v225, v[68:71]
	s_wait_dscnt 0x0
	s_barrier_signal -1
	s_barrier_wait -1
	global_inv scope:SCOPE_SE
	ds_load_b128 v[72:75], v172
	ds_load_b128 v[76:79], v172 offset:32
	s_wait_dscnt 0x1
	v_wmma_f32_16x16x16_f16 v[64:71], v[72:75], v[56:59], 0
	s_wait_dscnt 0x0
	s_delay_alu instid0(VALU_DEP_1)
	v_wmma_f32_16x16x16_f16 v[64:71], v[76:79], v[60:63], v[64:71]
	ds_load_b128 v[72:75], v172 offset:64
	ds_load_b128 v[76:79], v172 offset:96
	s_wait_dscnt 0x1
	v_wmma_f32_16x16x16_f16 v[64:71], v[72:75], v[52:55], v[64:71]
	s_wait_dscnt 0x0
	s_delay_alu instid0(VALU_DEP_1)
	v_wmma_f32_16x16x16_f16 v[64:71], v[76:79], v[48:51], v[64:71]
	ds_load_b128 v[72:75], v172 offset:128
	;; [unrolled: 7-line block ×3, first 2 shown]
	ds_load_b128 v[76:79], v172 offset:224
	s_wait_dscnt 0x1
	v_wmma_f32_16x16x16_f16 v[64:71], v[72:75], v[36:39], v[64:71]
	s_wait_dscnt 0x0
	s_delay_alu instid0(VALU_DEP_1)
	v_wmma_f32_16x16x16_f16 v[64:71], v[76:79], v[32:35], v[64:71]
	v_add_nc_u32_e32 v84, 0x4400, v202
	v_add_nc_u32_e32 v86, 0x4400, v205
	ds_load_b128 v[72:75], v172 offset:4352
	ds_load_b128 v[76:79], v172 offset:4384
	;; [unrolled: 1-line block ×24, first 2 shown]
	s_wait_loadcnt_dscnt 0x0
	s_barrier_signal -1
	s_barrier_wait -1
	global_inv scope:SCOPE_SE
	ds_load_2addr_b32 v[84:85], v84 offset1:1
	ds_load_2addr_b32 v[96:97], v86 offset1:1
	ds_load_b32 v86, v191 offset:17408
	ds_load_b32 v89, v202 offset:17416
	v_add_nc_u32_e32 v205, 32, v202
	s_wait_dscnt 0x3
	v_cvt_f32_f16_e32 v87, v84
	v_lshrrev_b32_e32 v84, 16, v84
	v_cvt_f32_f16_e32 v88, v85
	v_lshrrev_b32_e32 v85, 16, v85
	s_wait_dscnt 0x0
	v_cvt_f32_f16_e32 v90, v89
	v_lshrrev_b32_e32 v89, 16, v89
	v_lshrrev_b32_e32 v91, 16, v86
	v_cvt_f32_f16_e32 v99, v86
	v_cvt_f32_f16_e32 v86, v84
	v_cvt_f32_f16_e64 v164, v85
	v_cvt_f32_f16_e32 v89, v89
	v_cvt_f32_f16_e64 v168, v91
	s_delay_alu instid0(VALU_DEP_4)
	v_dual_add_f32 v84, v64, v87 :: v_dual_add_f32 v85, v65, v86
	v_add_f32_e32 v86, v66, v88
	v_add_f32_e32 v87, v67, v164
	v_dual_add_f32 v91, v68, v90 :: v_dual_add_f32 v90, v69, v89
	v_dual_add_f32 v89, v70, v99 :: v_dual_add_f32 v88, v71, v168
	v_wmma_f32_16x16x16_f16 v[64:71], v[72:75], v[56:59], 0
	v_add_nc_u32_e32 v72, 0x4400, v221
	s_delay_alu instid0(VALU_DEP_2) | instskip(SKIP_1) | instid1(VALU_DEP_2)
	v_wmma_f32_16x16x16_f16 v[64:71], v[76:79], v[60:63], v[64:71]
	v_add_nc_u32_e32 v78, 0x4400, v209
	v_wmma_f32_16x16x16_f16 v[64:71], v[80:83], v[52:55], v[64:71]
	v_cvt_f32_f16_e32 v80, v96
	v_lshrrev_b32_e32 v81, 16, v96
	v_cvt_f32_f16_e32 v82, v97
	v_lshrrev_b32_e32 v83, 16, v97
	v_wmma_f32_16x16x16_f16 v[64:71], v[101:104], v[48:51], v[64:71]
	s_delay_alu instid0(VALU_DEP_4) | instskip(NEXT) | instid1(VALU_DEP_3)
	v_cvt_f32_f16_e32 v81, v81
	v_cvt_f32_f16_e32 v83, v83
	s_delay_alu instid0(VALU_DEP_3) | instskip(NEXT) | instid1(VALU_DEP_1)
	v_wmma_f32_16x16x16_f16 v[64:71], v[160:163], v[44:47], v[64:71]
	v_wmma_f32_16x16x16_f16 v[64:71], v[173:176], v[40:43], v[64:71]
	v_mov_b32_e32 v173, v206
	s_delay_alu instid0(VALU_DEP_2) | instskip(NEXT) | instid1(VALU_DEP_2)
	v_wmma_f32_16x16x16_f16 v[64:71], v[213:216], v[36:39], v[64:71]
	v_add_nc_u32_e32 v74, 0x4400, v173
	s_delay_alu instid0(VALU_DEP_2) | instskip(NEXT) | instid1(VALU_DEP_1)
	v_wmma_f32_16x16x16_f16 v[64:71], v[217:220], v[32:35], v[64:71]
	v_dual_mov_b32 v174, v207 :: v_dual_add_f32 v215, v64, v80
	s_delay_alu instid0(VALU_DEP_1)
	v_add_nc_u32_e32 v76, 0x4400, v174
	ds_load_2addr_b32 v[72:73], v72 offset1:1
	ds_load_2addr_b32 v[74:75], v74 offset1:1
	;; [unrolled: 1-line block ×4, first 2 shown]
	v_dual_add_f32 v216, v65, v81 :: v_dual_add_f32 v217, v66, v82
	v_add_f32_e32 v218, v67, v83
	s_wait_dscnt 0x3
	v_cvt_f32_f16_e32 v96, v72
	v_lshrrev_b32_e32 v72, 16, v72
	v_lshrrev_b32_e32 v97, 16, v73
	v_cvt_f32_f16_e32 v73, v73
	s_wait_dscnt 0x1
	v_cvt_f32_f16_e32 v80, v76
	v_add_f32_e32 v200, v68, v96
	v_cvt_f32_f16_e32 v72, v72
	v_cvt_f32_f16_e32 v97, v97
	v_add_f32_e32 v220, v70, v73
	v_lshrrev_b32_e32 v73, 16, v74
	v_lshrrev_b32_e32 v76, 16, v76
	v_add_f32_e32 v221, v69, v72
	v_add_f32_e32 v219, v71, v97
	v_wmma_f32_16x16x16_f16 v[64:71], v[105:108], v[56:59], 0
	v_cvt_f32_f16_e32 v72, v74
	v_cvt_f32_f16_e32 v74, v75
	v_lshrrev_b32_e32 v75, 16, v75
	s_delay_alu instid0(VALU_DEP_4)
	v_wmma_f32_16x16x16_f16 v[64:71], v[109:112], v[60:63], v[64:71]
	v_lshrrev_b32_e32 v81, 16, v77
	v_cvt_f32_f16_e32 v77, v77
	v_cvt_f32_f16_e32 v73, v73
	;; [unrolled: 1-line block ×3, first 2 shown]
	v_wmma_f32_16x16x16_f16 v[64:71], v[113:116], v[52:55], v[64:71]
	v_cvt_f32_f16_e32 v76, v76
	v_cvt_f32_f16_e32 v81, v81
	v_add_nc_u32_e32 v96, 0x400, v185
	s_delay_alu instid0(VALU_DEP_4) | instskip(NEXT) | instid1(VALU_DEP_1)
	v_wmma_f32_16x16x16_f16 v[64:71], v[117:120], v[48:51], v[64:71]
	v_wmma_f32_16x16x16_f16 v[64:71], v[181:184], v[44:47], v[64:71]
	s_clause 0x1
	scratch_load_b64 v[183:184], off, off offset:56
	scratch_load_b64 v[181:182], off, off offset:48
	v_wmma_f32_16x16x16_f16 v[64:71], v[194:197], v[40:43], v[64:71]
	s_delay_alu instid0(VALU_DEP_1) | instskip(NEXT) | instid1(VALU_DEP_1)
	v_wmma_f32_16x16x16_f16 v[64:71], v[242:245], v[36:39], v[64:71]
	v_wmma_f32_16x16x16_f16 v[64:71], v[146:149], v[32:35], v[64:71]
	scratch_load_b64 v[146:147], off, off offset:8 ; 8-byte Folded Reload
	v_mov_b32_e32 v148, v209
	v_dual_add_f32 v160, v64, v72 :: v_dual_add_f32 v161, v65, v73
	v_add_f32_e32 v163, v66, v74
	v_dual_add_f32 v175, v67, v75 :: v_dual_add_f32 v206, v68, v80
	v_dual_add_f32 v197, v69, v76 :: v_dual_add_f32 v196, v70, v77
	v_add_f32_e32 v176, v71, v81
	v_wmma_f32_16x16x16_f16 v[64:71], v[121:124], v[56:59], 0
	v_add_nc_u32_e32 v72, 0x4400, v232
	s_wait_dscnt 0x0
	v_lshrrev_b32_e32 v75, 16, v78
	v_cvt_f32_f16_e32 v74, v78
	v_wmma_f32_16x16x16_f16 v[64:71], v[125:128], v[60:63], v[64:71]
	v_lshrrev_b32_e32 v77, 16, v79
	v_cvt_f32_f16_e32 v76, v79
	v_cvt_f32_f16_e32 v75, v75
	v_add_nc_u32_e32 v128, 0x880, v233
	v_wmma_f32_16x16x16_f16 v[64:71], v[156:159], v[52:55], v[64:71]
	v_cvt_f32_f16_e32 v77, v77
	s_delay_alu instid0(VALU_DEP_2)
	v_wmma_f32_16x16x16_f16 v[64:71], v[177:180], v[48:51], v[64:71]
	s_clause 0x1
	scratch_load_b64 v[179:180], off, off offset:40
	scratch_load_b64 v[177:178], off, off offset:32
	v_wmma_f32_16x16x16_f16 v[64:71], v[234:237], v[44:47], v[64:71]
	scratch_load_b64 v[235:236], off, off offset:120 ; 8-byte Folded Reload
	v_mov_b32_e32 v234, v201
	v_wmma_f32_16x16x16_f16 v[64:71], v[238:241], v[40:43], v[64:71]
	s_delay_alu instid0(VALU_DEP_1)
	v_wmma_f32_16x16x16_f16 v[64:71], v[150:153], v[36:39], v[64:71]
	s_clause 0x1
	scratch_load_b64 v[152:153], off, off offset:24
	scratch_load_b64 v[150:151], off, off offset:16
	ds_load_2addr_b32 v[72:73], v72 offset1:1
	v_wmma_f32_16x16x16_f16 v[64:71], v[186:189], v[32:35], v[64:71]
	scratch_load_b64 v[187:188], off, off offset:64 ; 8-byte Folded Reload
	v_dual_add_f32 v99, v64, v74 :: v_dual_add_f32 v164, v65, v75
	v_dual_add_f32 v168, v66, v76 :: v_dual_add_f32 v157, v67, v77
	s_wait_dscnt 0x0
	v_cvt_f32_f16_e32 v78, v72
	v_lshrrev_b32_e32 v72, 16, v72
	v_lshrrev_b32_e32 v79, 16, v73
	v_cvt_f32_f16_e32 v73, v73
	s_delay_alu instid0(VALU_DEP_4) | instskip(NEXT) | instid1(VALU_DEP_4)
	v_add_f32_e32 v159, v68, v78
	v_cvt_f32_f16_e32 v72, v72
	s_delay_alu instid0(VALU_DEP_4) | instskip(NEXT) | instid1(VALU_DEP_2)
	v_cvt_f32_f16_e32 v79, v79
	v_dual_add_f32 v194, v70, v73 :: v_dual_add_f32 v195, v69, v72
	s_delay_alu instid0(VALU_DEP_2)
	v_add_f32_e32 v158, v71, v79
	s_wait_loadcnt 0x6
	s_wait_alu 0xfffe
	v_add_co_u32 v64, vcc_lo, s4, v146
	s_wait_alu 0xfffd
	v_add_co_ci_u32_e64 v65, null, s5, v147, vcc_lo
	s_delay_alu instid0(VALU_DEP_2) | instskip(SKIP_1) | instid1(VALU_DEP_2)
	v_add_co_u32 v64, vcc_lo, v64, v247
	s_wait_alu 0xfffd
	v_add_co_ci_u32_e64 v65, null, 0, v65, vcc_lo
	s_wait_loadcnt 0x1
	v_add_co_u32 v66, vcc_lo, s4, v150
	s_wait_alu 0xfffd
	v_add_co_ci_u32_e64 v67, null, s5, v151, vcc_lo
	s_delay_alu instid0(VALU_DEP_2) | instskip(SKIP_1) | instid1(VALU_DEP_2)
	v_add_co_u32 v68, vcc_lo, v66, v247
	s_wait_alu 0xfffd
	v_add_co_ci_u32_e64 v69, null, 0, v67, vcc_lo
	s_clause 0x1
	global_load_b128 v[64:67], v[64:65], off
	global_load_b128 v[68:71], v[68:69], off
	s_wait_loadcnt 0x1
	ds_store_b128 v233, v[64:67]
	s_wait_loadcnt 0x0
	ds_store_b128 v128, v[68:71]
	v_add_co_u32 v64, vcc_lo, s4, v152
	s_wait_alu 0xfffd
	v_add_co_ci_u32_e64 v65, null, s5, v153, vcc_lo
	s_delay_alu instid0(VALU_DEP_2) | instskip(SKIP_1) | instid1(VALU_DEP_2)
	v_add_co_u32 v64, vcc_lo, v64, v247
	s_wait_alu 0xfffd
	v_add_co_ci_u32_e64 v65, null, 0, v65, vcc_lo
	v_add_co_u32 v66, vcc_lo, s4, v177
	s_wait_alu 0xfffd
	v_add_co_ci_u32_e64 v67, null, s5, v178, vcc_lo
	s_delay_alu instid0(VALU_DEP_2) | instskip(SKIP_1) | instid1(VALU_DEP_2)
	v_add_co_u32 v68, vcc_lo, v66, v247
	s_wait_alu 0xfffd
	v_add_co_ci_u32_e64 v69, null, 0, v67, vcc_lo
	s_clause 0x1
	global_load_b128 v[64:67], v[64:65], off
	global_load_b128 v[68:71], v[68:69], off
	s_wait_loadcnt 0x1
	ds_store_b128 v228, v[64:67]
	s_wait_loadcnt 0x0
	ds_store_b128 v132, v[68:71]
	v_add_co_u32 v64, vcc_lo, s4, v179
	s_wait_alu 0xfffd
	v_add_co_ci_u32_e64 v65, null, s5, v180, vcc_lo
	s_delay_alu instid0(VALU_DEP_2) | instskip(SKIP_1) | instid1(VALU_DEP_2)
	v_add_co_u32 v64, vcc_lo, v64, v247
	s_wait_alu 0xfffd
	v_add_co_ci_u32_e64 v65, null, 0, v65, vcc_lo
	;; [unrolled: 21-line block ×3, first 2 shown]
	v_add_co_u32 v66, vcc_lo, s4, v187
	s_wait_alu 0xfffd
	v_add_co_ci_u32_e64 v67, null, s5, v188, vcc_lo
	s_delay_alu instid0(VALU_DEP_2) | instskip(SKIP_1) | instid1(VALU_DEP_2)
	v_add_co_u32 v68, vcc_lo, v66, v247
	s_wait_alu 0xfffd
	v_add_co_ci_u32_e64 v69, null, 0, v67, vcc_lo
	s_clause 0x1
	global_load_b128 v[64:67], v[64:65], off
	global_load_b128 v[68:71], v[68:69], off
	s_wait_loadcnt 0x1
	ds_store_b128 v165, v[64:67]
	s_wait_loadcnt 0x0
	ds_store_b128 v225, v[68:71]
	s_wait_dscnt 0x0
	s_barrier_signal -1
	s_barrier_wait -1
	global_inv scope:SCOPE_SE
	ds_load_2addr_b32 v[64:65], v96 offset0:16 offset1:32
	ds_load_2addr_b32 v[68:69], v96 offset0:84 offset1:100
	ds_load_2addr_b32 v[71:72], v212 offset1:16
	ds_load_2addr_b32 v[75:76], v222 offset1:16
	s_wait_dscnt 0x2
	v_perm_b32 v74, v69, v65, 0x7060302
	v_perm_b32 v78, v69, v65, 0x5040100
	s_wait_dscnt 0x0
	v_perm_b32 v67, v75, v71, 0x7060302
	v_perm_b32 v71, v75, v71, 0x5040100
	;; [unrolled: 1-line block ×4, first 2 shown]
	ds_load_2addr_b32 v[76:77], v185 offset0:136 offset1:152
	ds_load_2addr_b32 v[80:81], v185 offset0:204 offset1:220
	v_perm_b32 v66, v68, v64, 0x7060302
	v_perm_b32 v70, v68, v64, 0x5040100
	s_wait_dscnt 0x0
	v_perm_b32 v65, v80, v76, 0x7060302
	v_perm_b32 v69, v80, v76, 0x5040100
	;; [unrolled: 1-line block ×4, first 2 shown]
	ds_load_2addr_b32 v[80:81], v185 offset1:16
	ds_load_2addr_b32 v[82:83], v185 offset0:68 offset1:84
	s_wait_dscnt 0x0
	v_perm_b32 v64, v82, v80, 0x7060302
	v_perm_b32 v68, v82, v80, 0x5040100
	;; [unrolled: 1-line block ×4, first 2 shown]
	ds_load_2addr_b32 v[80:81], v96 offset0:48 offset1:64
	ds_load_2addr_b32 v[96:97], v96 offset0:116 offset1:132
	;; [unrolled: 1-line block ×4, first 2 shown]
	s_wait_dscnt 0x2
	v_perm_b32 v82, v96, v80, 0x7060302
	v_perm_b32 v103, v96, v80, 0x5040100
	v_perm_b32 v107, v97, v81, 0x7060302
	v_perm_b32 v111, v97, v81, 0x5040100
	ds_load_2addr_b32 v[96:97], v185 offset0:168 offset1:184
	ds_load_2addr_b32 v[109:110], v185 offset0:236 offset1:252
	s_wait_dscnt 0x2
	v_perm_b32 v108, v105, v102, 0x7060302
	v_perm_b32 v112, v105, v102, 0x5040100
	;; [unrolled: 1-line block ×4, first 2 shown]
	s_wait_dscnt 0x0
	v_perm_b32 v81, v109, v96, 0x7060302
	v_perm_b32 v102, v109, v96, 0x5040100
	;; [unrolled: 1-line block ×4, first 2 shown]
	ds_load_2addr_b32 v[96:97], v185 offset0:32 offset1:48
	ds_load_2addr_b32 v[113:114], v185 offset0:100 offset1:116
	s_wait_dscnt 0x0
	v_perm_b32 v80, v113, v96, 0x7060302
	v_perm_b32 v101, v113, v96, 0x5040100
	;; [unrolled: 1-line block ×4, first 2 shown]
	v_dual_mov_b32 v113, v211 :: v_dual_add_f32 v96, 0x40051340, v84
	v_dual_add_f32 v97, 0x40051340, v85 :: v_dual_add_f32 v114, 0x40051340, v87
	s_delay_alu instid0(VALU_DEP_1) | instskip(SKIP_1) | instid1(VALU_DEP_1)
	v_max3_num_f32 v96, v113, v96, v97
	v_add_f32_e32 v97, 0x40051340, v86
	v_max3_num_f32 v96, v96, v97, v114
	v_dual_add_f32 v97, 0x40051340, v91 :: v_dual_add_f32 v114, 0x40051340, v90
	s_delay_alu instid0(VALU_DEP_1) | instskip(SKIP_1) | instid1(VALU_DEP_1)
	v_max3_num_f32 v96, v96, v97, v114
	v_dual_add_f32 v97, 0x40051340, v89 :: v_dual_add_f32 v114, 0x40051340, v88
	v_max3_num_f32 v96, v96, v97, v114
	v_dual_add_f32 v97, 0x40051340, v215 :: v_dual_add_f32 v114, 0x40051340, v216
	s_delay_alu instid0(VALU_DEP_1) | instskip(SKIP_1) | instid1(VALU_DEP_1)
	v_max3_num_f32 v96, v96, v97, v114
	v_dual_add_f32 v97, 0x40051340, v217 :: v_dual_add_f32 v114, 0x40051340, v218
	;; [unrolled: 5-line block ×3, first 2 shown]
	v_max3_num_f32 v96, v96, v97, v114
	v_dual_add_f32 v97, 0x40051340, v160 :: v_dual_add_f32 v114, 0x40051340, v161
	s_delay_alu instid0(VALU_DEP_1) | instskip(SKIP_2) | instid1(VALU_DEP_1)
	v_max3_num_f32 v96, v96, v97, v114
	v_add_f32_e32 v97, 0x40051340, v163
	v_add_f32_e32 v114, 0x40051340, v175
	v_max3_num_f32 v96, v96, v97, v114
	v_dual_add_f32 v97, 0x40051340, v206 :: v_dual_add_f32 v114, 0x40051340, v197
	s_delay_alu instid0(VALU_DEP_1) | instskip(SKIP_2) | instid1(VALU_DEP_1)
	v_max3_num_f32 v96, v96, v97, v114
	v_add_f32_e32 v97, 0x40051340, v196
	v_add_f32_e32 v114, 0x40051340, v176
	v_max3_num_f32 v96, v96, v97, v114
	v_dual_add_f32 v97, 0x40051340, v99 :: v_dual_add_f32 v114, 0x40051340, v164
	s_delay_alu instid0(VALU_DEP_1) | instskip(SKIP_1) | instid1(VALU_DEP_1)
	v_max3_num_f32 v96, v96, v97, v114
	v_dual_add_f32 v97, 0x40051340, v168 :: v_dual_add_f32 v114, 0x40051340, v157
	v_max3_num_f32 v96, v96, v97, v114
	v_add_f32_e32 v97, 0x40051340, v159
	v_add_f32_e32 v114, 0x40051340, v195
	s_delay_alu instid0(VALU_DEP_1) | instskip(SKIP_2) | instid1(VALU_DEP_1)
	v_max3_num_f32 v96, v96, v97, v114
	v_add_f32_e32 v97, 0x40051340, v194
	v_add_f32_e32 v114, 0x40051340, v158
	v_max3_num_f32 v96, v96, v97, v114
	ds_bpermute_b32 v97, v98, v96
	s_wait_dscnt 0x0
	v_max_num_f32_e32 v97, v97, v97
	s_delay_alu instid0(VALU_DEP_1) | instskip(NEXT) | instid1(VALU_DEP_1)
	v_max_num_f32_e32 v211, v96, v97
	v_sub_f32_e32 v91, v91, v211
	v_sub_f32_e32 v89, v89, v211
	;; [unrolled: 1-line block ×5, first 2 shown]
	v_mul_f32_e32 v96, 0x3fb8aa3b, v91
	v_cmp_ngt_f32_e64 s3, 0xc2ce8ed0, v89
	v_cmp_ngt_f32_e64 s5, 0xc2ce8ed0, v91
	v_cmp_ngt_f32_e64 s4, 0xc2ce8ed0, v88
	v_sub_f32_e32 v86, v86, v211
	v_fma_f32 v97, 0x3fb8aa3b, v91, -v96
	v_rndne_f32_e32 v114, v96
	v_sub_f32_e32 v85, v85, v211
	s_delay_alu instid0(VALU_DEP_2) | instskip(SKIP_1) | instid1(VALU_DEP_2)
	v_dual_fmac_f32 v97, 0x32a5705f, v91 :: v_dual_sub_f32 v96, v96, v114
	v_cvt_i32_f32_e32 v114, v114
	v_dual_add_f32 v96, v96, v97 :: v_dual_mul_f32 v97, 0x3fb8aa3b, v90
	s_delay_alu instid0(VALU_DEP_1) | instskip(SKIP_1) | instid1(VALU_DEP_2)
	v_fma_f32 v115, 0x3fb8aa3b, v90, -v97
	v_rndne_f32_e32 v116, v97
	v_fmac_f32_e32 v115, 0x32a5705f, v90
	s_delay_alu instid0(VALU_DEP_2) | instskip(SKIP_1) | instid1(VALU_DEP_1)
	v_sub_f32_e32 v97, v97, v116
	v_exp_f32_e32 v96, v96
	v_add_f32_e32 v97, v97, v115
	v_mul_f32_e32 v115, 0x3fb8aa3b, v89
	v_cmp_ngt_f32_e32 vcc_lo, 0xc2ce8ed0, v90
	s_delay_alu instid0(VALU_DEP_3) | instskip(NEXT) | instid1(VALU_DEP_2)
	v_exp_f32_e32 v97, v97
	v_fma_f32 v117, 0x3fb8aa3b, v89, -v115
	v_rndne_f32_e32 v118, v115
	s_delay_alu instid0(TRANS32_DEP_2) | instskip(NEXT) | instid1(VALU_DEP_3)
	v_ldexp_f32 v96, v96, v114
	v_fmac_f32_e32 v117, 0x32a5705f, v89
	s_delay_alu instid0(VALU_DEP_3) | instskip(SKIP_1) | instid1(VALU_DEP_2)
	v_sub_f32_e32 v115, v115, v118
	v_cvt_i32_f32_e32 v114, v118
	v_add_f32_e32 v115, v115, v117
	s_delay_alu instid0(VALU_DEP_1) | instskip(NEXT) | instid1(TRANS32_DEP_1)
	v_exp_f32_e32 v115, v115
	v_ldexp_f32 v114, v115, v114
	v_cvt_i32_f32_e32 v115, v116
	s_delay_alu instid0(VALU_DEP_1) | instskip(SKIP_1) | instid1(VALU_DEP_1)
	v_ldexp_f32 v97, v97, v115
	v_mul_f32_e32 v117, 0x3fb8aa3b, v88
	v_fma_f32 v119, 0x3fb8aa3b, v88, -v117
	v_rndne_f32_e32 v120, v117
	s_delay_alu instid0(VALU_DEP_2) | instskip(NEXT) | instid1(VALU_DEP_2)
	v_fmac_f32_e32 v119, 0x32a5705f, v88
	v_sub_f32_e32 v117, v117, v120
	v_cvt_i32_f32_e32 v115, v120
	s_delay_alu instid0(VALU_DEP_2) | instskip(NEXT) | instid1(VALU_DEP_1)
	v_add_f32_e32 v117, v117, v119
	v_exp_f32_e32 v116, v117
	s_delay_alu instid0(TRANS32_DEP_1)
	v_ldexp_f32 v115, v116, v115
	s_wait_alu 0xfffd
	v_cndmask_b32_e32 v116, 0, v97, vcc_lo
	v_cmp_nlt_f32_e32 vcc_lo, 0x42b17218, v90
	s_wait_alu 0xf1ff
	v_cndmask_b32_e64 v90, 0, v114, s3
	v_cmp_nlt_f32_e64 s3, 0x42b17218, v89
	v_cndmask_b32_e64 v89, 0, v115, s4
	v_cmp_nlt_f32_e64 s4, 0x42b17218, v88
	;; [unrolled: 2-line block ×3, first 2 shown]
	s_wait_alu 0xf1ff
	v_cndmask_b32_e64 v96, 0x7f800000, v90, s3
	s_wait_alu 0xfffd
	v_cndmask_b32_e32 v186, 0x7f800000, v116, vcc_lo
	v_cndmask_b32_e64 v97, 0x7f800000, v89, s4
	v_cmp_ngt_f32_e32 vcc_lo, 0xc2ce8ed0, v87
	v_cndmask_b32_e64 v162, 0x7f800000, v88, s5
	v_cvt_f16_f32_e32 v89, v96
	v_cvt_f16_f32_e64 v91, v186
	v_cvt_f16_f32_e32 v90, v97
	v_sub_f32_e32 v99, v99, v211
	v_cvt_f16_f32_e64 v88, v162
	s_delay_alu instid0(VALU_DEP_3) | instskip(SKIP_1) | instid1(VALU_DEP_3)
	v_pack_b32_f16 v89, v89, v90
	v_mul_f32_e32 v90, 0x3fb8aa3b, v87
	v_pack_b32_f16 v88, v88, v91
	s_delay_alu instid0(VALU_DEP_2) | instskip(SKIP_1) | instid1(VALU_DEP_1)
	v_fma_f32 v91, 0x3fb8aa3b, v87, -v90
	v_rndne_f32_e32 v114, v90
	v_dual_fmac_f32 v91, 0x32a5705f, v87 :: v_dual_sub_f32 v90, v90, v114
	v_cvt_i32_f32_e32 v114, v114
	s_delay_alu instid0(VALU_DEP_2) | instskip(NEXT) | instid1(VALU_DEP_1)
	v_dual_add_f32 v90, v90, v91 :: v_dual_mul_f32 v91, 0x3fb8aa3b, v86
	v_fma_f32 v115, 0x3fb8aa3b, v86, -v91
	v_rndne_f32_e32 v116, v91
	s_delay_alu instid0(VALU_DEP_2) | instskip(NEXT) | instid1(VALU_DEP_2)
	v_fmac_f32_e32 v115, 0x32a5705f, v86
	v_sub_f32_e32 v91, v91, v116
	v_exp_f32_e32 v90, v90
	s_delay_alu instid0(VALU_DEP_1) | instskip(NEXT) | instid1(VALU_DEP_1)
	v_add_f32_e32 v91, v91, v115
	v_exp_f32_e32 v91, v91
	s_delay_alu instid0(TRANS32_DEP_2) | instskip(SKIP_2) | instid1(VALU_DEP_2)
	v_ldexp_f32 v90, v90, v114
	v_cvt_i32_f32_e32 v114, v116
	s_wait_alu 0xfffd
	v_cndmask_b32_e32 v90, 0, v90, vcc_lo
	v_cmp_nlt_f32_e32 vcc_lo, 0x42b17218, v87
	s_delay_alu instid0(TRANS32_DEP_1) | instid1(VALU_DEP_3)
	v_ldexp_f32 v91, v91, v114
	s_wait_alu 0xfffd
	s_delay_alu instid0(VALU_DEP_3) | instskip(SKIP_2) | instid1(VALU_DEP_1)
	v_cndmask_b32_e32 v209, 0x7f800000, v90, vcc_lo
	v_cmp_ngt_f32_e64 s3, 0xc2ce8ed0, v86
	s_wait_alu 0xf1ff
	v_cndmask_b32_e64 v87, 0, v91, s3
	v_cmp_nlt_f32_e64 s3, 0x42b17218, v86
	s_wait_alu 0xf1ff
	s_delay_alu instid0(VALU_DEP_1) | instskip(SKIP_1) | instid1(VALU_DEP_2)
	v_cndmask_b32_e64 v207, 0x7f800000, v87, s3
	v_cvt_f16_f32_e64 v87, v209
	v_cvt_f16_f32_e64 v86, v207
	s_delay_alu instid0(VALU_DEP_1) | instskip(SKIP_1) | instid1(VALU_DEP_1)
	v_pack_b32_f16 v87, v86, v87
	v_mul_f32_e32 v86, 0x3fb8aa3b, v85
	v_fma_f32 v90, 0x3fb8aa3b, v85, -v86
	v_rndne_f32_e32 v91, v86
	s_delay_alu instid0(VALU_DEP_2) | instskip(NEXT) | instid1(VALU_DEP_2)
	v_fmac_f32_e32 v90, 0x32a5705f, v85
	v_sub_f32_e32 v86, v86, v91
	v_cvt_i32_f32_e32 v91, v91
	s_delay_alu instid0(VALU_DEP_2) | instskip(SKIP_1) | instid1(VALU_DEP_2)
	v_add_f32_e32 v86, v86, v90
	v_cmp_ngt_f32_e32 vcc_lo, 0xc2ce8ed0, v85
	v_exp_f32_e32 v86, v86
	s_delay_alu instid0(TRANS32_DEP_1) | instskip(SKIP_1) | instid1(VALU_DEP_1)
	v_ldexp_f32 v86, v86, v91
	s_wait_alu 0xfffd
	v_cndmask_b32_e32 v86, 0, v86, vcc_lo
	v_cmp_nlt_f32_e32 vcc_lo, 0x42b17218, v85
	s_wait_alu 0xfffd
	s_delay_alu instid0(VALU_DEP_2) | instskip(NEXT) | instid1(VALU_DEP_1)
	v_dual_sub_f32 v84, v84, v211 :: v_dual_cndmask_b32 v213, 0x7f800000, v86
	v_mul_f32_e32 v90, 0x3fb8aa3b, v84
	v_cmp_ngt_f32_e64 s3, 0xc2ce8ed0, v84
	s_delay_alu instid0(VALU_DEP_2) | instskip(SKIP_1) | instid1(VALU_DEP_2)
	v_fma_f32 v114, 0x3fb8aa3b, v84, -v90
	v_rndne_f32_e32 v115, v90
	v_fmac_f32_e32 v114, 0x32a5705f, v84
	s_delay_alu instid0(VALU_DEP_2) | instskip(SKIP_1) | instid1(VALU_DEP_2)
	v_sub_f32_e32 v90, v90, v115
	v_cvt_i32_f32_e32 v91, v115
	v_add_f32_e32 v90, v90, v114
	s_delay_alu instid0(VALU_DEP_1) | instskip(NEXT) | instid1(TRANS32_DEP_1)
	v_exp_f32_e32 v90, v90
	v_ldexp_f32 v90, v90, v91
	s_wait_alu 0xf1ff
	s_delay_alu instid0(VALU_DEP_1) | instskip(SKIP_2) | instid1(VALU_DEP_1)
	v_cndmask_b32_e64 v85, 0, v90, s3
	v_cmp_nlt_f32_e64 s3, 0x42b17218, v84
	s_wait_alu 0xf1ff
	v_cndmask_b32_e64 v210, 0x7f800000, v85, s3
	v_cvt_f16_f32_e64 v85, v213
	s_delay_alu instid0(VALU_DEP_2) | instskip(NEXT) | instid1(VALU_DEP_1)
	v_cvt_f16_f32_e64 v84, v210
	v_pack_b32_f16 v86, v84, v85
	v_sub_f32_e32 v84, v113, v211
	s_delay_alu instid0(VALU_DEP_1) | instskip(SKIP_1) | instid1(VALU_DEP_2)
	v_mul_f32_e32 v85, 0x3fb8aa3b, v84
	v_cmp_ngt_f32_e32 vcc_lo, 0xc2ce8ed0, v84
	v_fma_f32 v90, 0x3fb8aa3b, v84, -v85
	v_rndne_f32_e32 v91, v85
	s_delay_alu instid0(VALU_DEP_1) | instskip(NEXT) | instid1(VALU_DEP_1)
	v_dual_fmac_f32 v90, 0x32a5705f, v84 :: v_dual_sub_f32 v85, v85, v91
	v_add_f32_e32 v85, v85, v90
	v_cvt_i32_f32_e32 v90, v91
	s_delay_alu instid0(VALU_DEP_2) | instskip(NEXT) | instid1(TRANS32_DEP_1)
	v_exp_f32_e32 v85, v85
	v_ldexp_f32 v85, v85, v90
	s_wait_alu 0xfffd
	s_delay_alu instid0(VALU_DEP_1) | instskip(SKIP_2) | instid1(VALU_DEP_2)
	v_cndmask_b32_e32 v85, 0, v85, vcc_lo
	v_cmp_nlt_f32_e32 vcc_lo, 0x42b17218, v84
	s_wait_alu 0xfffd
	v_cndmask_b32_e32 v85, 0x7f800000, v85, vcc_lo
	v_cmp_le_f32_e32 vcc_lo, 0xc1a00000, v84
	s_wait_alu 0xfffd
	s_delay_alu instid0(VALU_DEP_2) | instskip(NEXT) | instid1(VALU_DEP_1)
	v_cndmask_b32_e32 v214, 0, v85, vcc_lo
	v_cvt_f16_f32_e64 v84, v214
	s_delay_alu instid0(VALU_DEP_1) | instskip(NEXT) | instid1(VALU_DEP_1)
	v_and_b32_e32 v84, 0xffff, v84
	v_mul_u32_u24_e32 v84, 0x10001, v84
	s_delay_alu instid0(VALU_DEP_1)
	v_pk_mul_f16 v28, v28, v84
	v_pk_mul_f16 v29, v29, v84
	;; [unrolled: 1-line block ×32, first 2 shown]
	v_wmma_f16_16x16x16_f16 v[28:31], v[68:71], v[86:89], v[28:31]
	v_wmma_f16_16x16x16_f16 v[20:23], v[64:67], v[86:89], v[20:23]
	;; [unrolled: 1-line block ×8, first 2 shown]
	v_add_nc_u32_e32 v89, 0x1400, v185
	v_add_nc_u32_e32 v80, 0x1000, v212
	;; [unrolled: 1-line block ×3, first 2 shown]
	ds_load_2addr_b32 v[64:65], v89 offset0:80 offset1:96
	ds_load_2addr_b32 v[68:69], v89 offset0:148 offset1:164
	;; [unrolled: 1-line block ×4, first 2 shown]
	v_add_nc_u32_e32 v107, 0x1000, v185
	s_wait_dscnt 0x2
	v_perm_b32 v70, v69, v65, 0x7060302
	v_perm_b32 v66, v68, v64, 0x7060302
	s_wait_dscnt 0x0
	v_perm_b32 v67, v73, v71, 0x7060302
	v_perm_b32 v104, v73, v71, 0x5040100
	;; [unrolled: 1-line block ×4, first 2 shown]
	ds_load_2addr_b32 v[72:73], v107 offset0:200 offset1:216
	ds_load_2addr_b32 v[76:77], v89 offset0:12 offset1:28
	v_perm_b32 v74, v69, v65, 0x5040100
	v_perm_b32 v103, v68, v64, 0x5040100
	s_wait_dscnt 0x0
	v_perm_b32 v65, v76, v72, 0x7060302
	v_perm_b32 v102, v76, v72, 0x5040100
	;; [unrolled: 1-line block ×4, first 2 shown]
	ds_load_2addr_b32 v[76:77], v107 offset0:64 offset1:80
	ds_load_2addr_b32 v[78:79], v107 offset0:132 offset1:148
	s_wait_dscnt 0x0
	v_perm_b32 v64, v78, v76, 0x7060302
	v_perm_b32 v101, v78, v76, 0x5040100
	;; [unrolled: 1-line block ×4, first 2 shown]
	ds_load_2addr_b32 v[76:77], v80 offset0:96 offset1:112
	ds_load_2addr_b32 v[80:81], v81 offset0:96 offset1:112
	;; [unrolled: 1-line block ×4, first 2 shown]
	s_wait_dscnt 0x2
	v_perm_b32 v91, v81, v77, 0x5040100
	v_perm_b32 v79, v80, v76, 0x7060302
	s_wait_dscnt 0x0
	v_perm_b32 v86, v88, v85, 0x7060302
	v_perm_b32 v90, v88, v85, 0x5040100
	ds_load_2addr_b32 v[88:89], v89 offset0:44 offset1:60
	ds_load_2addr_b32 v[105:106], v107 offset0:232 offset1:248
	v_perm_b32 v78, v87, v84, 0x7060302
	v_perm_b32 v82, v87, v84, 0x5040100
	;; [unrolled: 1-line block ×4, first 2 shown]
	s_wait_dscnt 0x0
	v_perm_b32 v77, v88, v105, 0x7060302
	v_perm_b32 v81, v88, v105, 0x5040100
	;; [unrolled: 1-line block ×4, first 2 shown]
	ds_load_2addr_b32 v[105:106], v107 offset0:96 offset1:112
	ds_load_2addr_b32 v[107:108], v107 offset0:164 offset1:180
	s_wait_dscnt 0x0
	v_perm_b32 v76, v107, v105, 0x7060302
	v_perm_b32 v80, v107, v105, 0x5040100
	v_sub_f32_e32 v105, v200, v211
	v_perm_b32 v84, v108, v106, 0x7060302
	v_perm_b32 v88, v108, v106, 0x5040100
	s_delay_alu instid0(VALU_DEP_3) | instskip(SKIP_1) | instid1(VALU_DEP_2)
	v_mul_f32_e32 v106, 0x3fb8aa3b, v105
	v_cmp_ngt_f32_e64 s5, 0xc2ce8ed0, v105
	v_fma_f32 v107, 0x3fb8aa3b, v105, -v106
	v_rndne_f32_e32 v108, v106
	s_delay_alu instid0(VALU_DEP_1) | instskip(SKIP_1) | instid1(VALU_DEP_2)
	v_dual_fmac_f32 v107, 0x32a5705f, v105 :: v_dual_sub_f32 v106, v106, v108
	v_cvt_i32_f32_e32 v108, v108
	v_add_f32_e32 v106, v106, v107
	v_sub_f32_e32 v107, v221, v211
	s_delay_alu instid0(VALU_DEP_1) | instskip(SKIP_1) | instid1(VALU_DEP_2)
	v_mul_f32_e32 v109, 0x3fb8aa3b, v107
	v_cmp_ngt_f32_e32 vcc_lo, 0xc2ce8ed0, v107
	v_fma_f32 v110, 0x3fb8aa3b, v107, -v109
	v_rndne_f32_e32 v111, v109
	s_delay_alu instid0(VALU_DEP_2) | instskip(NEXT) | instid1(VALU_DEP_2)
	v_fmac_f32_e32 v110, 0x32a5705f, v107
	v_sub_f32_e32 v109, v109, v111
	v_cvt_i32_f32_e32 v111, v111
	s_delay_alu instid0(VALU_DEP_2) | instskip(NEXT) | instid1(VALU_DEP_1)
	v_dual_add_f32 v109, v109, v110 :: v_dual_sub_f32 v110, v220, v211
	v_exp_f32_e32 v109, v109
	s_delay_alu instid0(VALU_DEP_1) | instskip(NEXT) | instid1(VALU_DEP_1)
	v_mul_f32_e32 v112, 0x3fb8aa3b, v110
	v_fma_f32 v113, 0x3fb8aa3b, v110, -v112
	v_rndne_f32_e32 v114, v112
	s_delay_alu instid0(TRANS32_DEP_1) | instskip(NEXT) | instid1(VALU_DEP_3)
	v_ldexp_f32 v109, v109, v111
	v_fmac_f32_e32 v113, 0x32a5705f, v110
	s_wait_alu 0xfffd
	s_delay_alu instid0(VALU_DEP_2) | instskip(SKIP_1) | instid1(VALU_DEP_2)
	v_dual_sub_f32 v112, v112, v114 :: v_dual_cndmask_b32 v109, 0, v109
	v_cmp_nlt_f32_e32 vcc_lo, 0x42b17218, v107
	v_dual_add_f32 v112, v112, v113 :: v_dual_sub_f32 v113, v219, v211
	s_wait_alu 0xfffd
	s_delay_alu instid0(VALU_DEP_3) | instskip(NEXT) | instid1(VALU_DEP_2)
	v_cndmask_b32_e32 v221, 0x7f800000, v109, vcc_lo
	v_exp_f32_e32 v112, v112
	s_delay_alu instid0(VALU_DEP_2) | instskip(SKIP_3) | instid1(VALU_DEP_3)
	v_mul_f32_e32 v115, 0x3fb8aa3b, v113
	v_exp_f32_e32 v106, v106
	v_cmp_ngt_f32_e64 s4, 0xc2ce8ed0, v113
	v_cvt_f16_f32_e64 v109, v221
	v_fma_f32 v116, 0x3fb8aa3b, v113, -v115
	v_rndne_f32_e32 v117, v115
	s_delay_alu instid0(VALU_DEP_2) | instskip(NEXT) | instid1(VALU_DEP_2)
	v_fmac_f32_e32 v116, 0x32a5705f, v113
	v_sub_f32_e32 v115, v115, v117
	s_delay_alu instid0(TRANS32_DEP_1) | instskip(SKIP_2) | instid1(VALU_DEP_4)
	v_ldexp_f32 v106, v106, v108
	v_cvt_i32_f32_e32 v108, v114
	v_cvt_i32_f32_e32 v111, v117
	v_add_f32_e32 v115, v115, v116
	v_cmp_ngt_f32_e64 s3, 0xc2ce8ed0, v110
	s_delay_alu instid0(VALU_DEP_4)
	v_ldexp_f32 v108, v112, v108
	s_wait_alu 0xf1ff
	v_cndmask_b32_e64 v106, 0, v106, s5
	v_cmp_nlt_f32_e64 s5, 0x42b17218, v105
	v_exp_f32_e32 v112, v115
	v_cndmask_b32_e64 v107, 0, v108, s3
	v_cmp_nlt_f32_e64 s3, 0x42b17218, v110
	s_wait_alu 0xf1ff
	v_cndmask_b32_e64 v220, 0x7f800000, v106, s5
	s_delay_alu instid0(VALU_DEP_2) | instskip(NEXT) | instid1(VALU_DEP_2)
	v_cndmask_b32_e64 v200, 0x7f800000, v107, s3
	v_cvt_f16_f32_e64 v105, v220
	s_delay_alu instid0(TRANS32_DEP_1) | instskip(NEXT) | instid1(VALU_DEP_3)
	v_ldexp_f32 v111, v112, v111
	v_cvt_f16_f32_e64 v106, v200
	s_delay_alu instid0(VALU_DEP_2) | instskip(SKIP_2) | instid1(VALU_DEP_1)
	v_cndmask_b32_e64 v108, 0, v111, s4
	v_cmp_nlt_f32_e64 s4, 0x42b17218, v113
	s_wait_alu 0xf1ff
	v_cndmask_b32_e64 v219, 0x7f800000, v108, s4
	s_delay_alu instid0(VALU_DEP_1) | instskip(NEXT) | instid1(VALU_DEP_1)
	v_cvt_f16_f32_e64 v107, v219
	v_pack_b32_f16 v108, v106, v107
	v_pack_b32_f16 v107, v105, v109
	v_sub_f32_e32 v105, v218, v211
	s_delay_alu instid0(VALU_DEP_1) | instskip(SKIP_1) | instid1(VALU_DEP_2)
	v_mul_f32_e32 v106, 0x3fb8aa3b, v105
	v_cmp_ngt_f32_e32 vcc_lo, 0xc2ce8ed0, v105
	v_fma_f32 v109, 0x3fb8aa3b, v105, -v106
	v_rndne_f32_e32 v110, v106
	s_delay_alu instid0(VALU_DEP_1) | instskip(SKIP_1) | instid1(VALU_DEP_2)
	v_dual_fmac_f32 v109, 0x32a5705f, v105 :: v_dual_sub_f32 v106, v106, v110
	v_cvt_i32_f32_e32 v110, v110
	v_dual_add_f32 v106, v106, v109 :: v_dual_sub_f32 v109, v217, v211
	s_delay_alu instid0(VALU_DEP_1) | instskip(NEXT) | instid1(VALU_DEP_1)
	v_exp_f32_e32 v106, v106
	v_mul_f32_e32 v111, 0x3fb8aa3b, v109
	v_cmp_ngt_f32_e64 s3, 0xc2ce8ed0, v109
	s_delay_alu instid0(VALU_DEP_2) | instskip(SKIP_1) | instid1(TRANS32_DEP_1)
	v_fma_f32 v112, 0x3fb8aa3b, v109, -v111
	v_rndne_f32_e32 v113, v111
	v_ldexp_f32 v106, v106, v110
	s_delay_alu instid0(VALU_DEP_3) | instskip(NEXT) | instid1(VALU_DEP_3)
	v_fmac_f32_e32 v112, 0x32a5705f, v109
	v_cvt_i32_f32_e32 v110, v113
	s_wait_alu 0xfffd
	s_delay_alu instid0(VALU_DEP_3) | instskip(SKIP_2) | instid1(VALU_DEP_2)
	v_cndmask_b32_e32 v106, 0, v106, vcc_lo
	v_cmp_nlt_f32_e32 vcc_lo, 0x42b17218, v105
	s_wait_alu 0xfffd
	v_dual_sub_f32 v111, v111, v113 :: v_dual_cndmask_b32 v218, 0x7f800000, v106
	s_delay_alu instid0(VALU_DEP_1) | instskip(NEXT) | instid1(VALU_DEP_2)
	v_add_f32_e32 v111, v111, v112
	v_cvt_f16_f32_e64 v106, v218
	s_delay_alu instid0(VALU_DEP_2) | instskip(NEXT) | instid1(TRANS32_DEP_1)
	v_exp_f32_e32 v111, v111
	v_ldexp_f32 v110, v111, v110
	s_wait_alu 0xf1ff
	s_delay_alu instid0(VALU_DEP_1) | instskip(SKIP_2) | instid1(VALU_DEP_1)
	v_cndmask_b32_e64 v105, 0, v110, s3
	v_cmp_nlt_f32_e64 s3, 0x42b17218, v109
	s_wait_alu 0xf1ff
	v_cndmask_b32_e64 v217, 0x7f800000, v105, s3
	s_delay_alu instid0(VALU_DEP_1) | instskip(NEXT) | instid1(VALU_DEP_1)
	v_cvt_f16_f32_e64 v105, v217
	v_pack_b32_f16 v106, v105, v106
	v_sub_f32_e32 v105, v216, v211
	s_delay_alu instid0(VALU_DEP_1) | instskip(SKIP_1) | instid1(VALU_DEP_2)
	v_mul_f32_e32 v109, 0x3fb8aa3b, v105
	v_cmp_ngt_f32_e32 vcc_lo, 0xc2ce8ed0, v105
	v_fma_f32 v110, 0x3fb8aa3b, v105, -v109
	v_rndne_f32_e32 v111, v109
	s_delay_alu instid0(VALU_DEP_1) | instskip(SKIP_1) | instid1(VALU_DEP_2)
	v_dual_fmac_f32 v110, 0x32a5705f, v105 :: v_dual_sub_f32 v109, v109, v111
	v_cvt_i32_f32_e32 v111, v111
	v_dual_add_f32 v109, v109, v110 :: v_dual_sub_f32 v110, v215, v211
	s_delay_alu instid0(VALU_DEP_1) | instskip(SKIP_1) | instid1(VALU_DEP_2)
	v_mul_f32_e32 v112, 0x3fb8aa3b, v110
	v_cmp_ngt_f32_e64 s3, 0xc2ce8ed0, v110
	v_fma_f32 v113, 0x3fb8aa3b, v110, -v112
	v_rndne_f32_e32 v114, v112
	s_delay_alu instid0(VALU_DEP_2) | instskip(NEXT) | instid1(VALU_DEP_2)
	v_fmac_f32_e32 v113, 0x32a5705f, v110
	v_sub_f32_e32 v112, v112, v114
	s_delay_alu instid0(VALU_DEP_1) | instskip(SKIP_1) | instid1(VALU_DEP_1)
	v_add_f32_e32 v112, v112, v113
	v_exp_f32_e32 v109, v109
	v_exp_f32_e32 v112, v112
	s_delay_alu instid0(TRANS32_DEP_2) | instskip(SKIP_2) | instid1(VALU_DEP_2)
	v_ldexp_f32 v109, v109, v111
	v_cvt_i32_f32_e32 v111, v114
	s_wait_alu 0xfffd
	v_cndmask_b32_e32 v109, 0, v109, vcc_lo
	s_delay_alu instid0(TRANS32_DEP_1) | instid1(VALU_DEP_2)
	v_ldexp_f32 v111, v112, v111
	v_cmp_nlt_f32_e32 vcc_lo, 0x42b17218, v105
	s_wait_alu 0xf1ff
	s_delay_alu instid0(VALU_DEP_2) | instskip(SKIP_4) | instid1(VALU_DEP_2)
	v_cndmask_b32_e64 v105, 0, v111, s3
	v_cmp_nlt_f32_e64 s3, 0x42b17218, v110
	s_wait_alu 0xfffd
	v_cndmask_b32_e32 v216, 0x7f800000, v109, vcc_lo
	s_wait_alu 0xf1ff
	v_cndmask_b32_e64 v215, 0x7f800000, v105, s3
	s_delay_alu instid0(VALU_DEP_2) | instskip(NEXT) | instid1(VALU_DEP_2)
	v_cvt_f16_f32_e64 v109, v216
	v_cvt_f16_f32_e64 v105, v215
	s_delay_alu instid0(VALU_DEP_1) | instskip(NEXT) | instid1(VALU_DEP_1)
	v_pack_b32_f16 v105, v105, v109
	v_wmma_f16_16x16x16_f16 v[4:7], v[88:91], v[105:108], v[4:7]
	v_add_nc_u32_e32 v89, 0x2400, v185
	v_wmma_f16_16x16x16_f16 v[0:3], v[84:87], v[105:108], v[0:3]
	v_add_nc_u32_e32 v84, 0x2000, v212
	v_add_nc_u32_e32 v86, 0x2000, v222
	v_wmma_f16_16x16x16_f16 v[20:23], v[64:67], v[105:108], v[20:23]
	v_wmma_f16_16x16x16_f16 v[24:27], v[72:75], v[105:108], v[24:27]
	;; [unrolled: 1-line block ×4, first 2 shown]
	ds_load_2addr_b32 v[64:65], v89 offset0:144 offset1:160
	ds_load_2addr_b32 v[68:69], v89 offset0:212 offset1:228
	;; [unrolled: 1-line block ×4, first 2 shown]
	v_wmma_f16_16x16x16_f16 v[12:15], v[80:83], v[105:108], v[12:15]
	v_wmma_f16_16x16x16_f16 v[28:31], v[101:104], v[105:108], v[28:31]
	v_add_nc_u32_e32 v107, 0x2000, v185
	s_wait_dscnt 0x2
	v_perm_b32 v74, v69, v65, 0x7060302
	v_perm_b32 v78, v69, v65, 0x5040100
	s_wait_dscnt 0x0
	v_perm_b32 v67, v75, v71, 0x7060302
	v_perm_b32 v71, v75, v71, 0x5040100
	;; [unrolled: 1-line block ×4, first 2 shown]
	ds_load_2addr_b32 v[76:77], v89 offset0:8 offset1:24
	ds_load_2addr_b32 v[80:81], v89 offset0:76 offset1:92
	v_perm_b32 v66, v68, v64, 0x7060302
	v_perm_b32 v70, v68, v64, 0x5040100
	s_wait_dscnt 0x0
	v_perm_b32 v65, v80, v76, 0x7060302
	v_perm_b32 v69, v80, v76, 0x5040100
	;; [unrolled: 1-line block ×4, first 2 shown]
	ds_load_2addr_b32 v[80:81], v107 offset0:128 offset1:144
	ds_load_2addr_b32 v[82:83], v107 offset0:196 offset1:212
	s_wait_dscnt 0x0
	v_perm_b32 v64, v82, v80, 0x7060302
	v_perm_b32 v68, v82, v80, 0x5040100
	v_add_nc_u32_e32 v80, 0x2600, v185
	v_perm_b32 v72, v83, v81, 0x7060302
	v_perm_b32 v76, v83, v81, 0x5040100
	ds_load_2addr_b32 v[80:81], v80 offset0:116 offset1:132
	ds_load_2addr_b32 v[84:85], v84 offset0:160 offset1:176
	;; [unrolled: 1-line block ×4, first 2 shown]
	s_wait_dscnt 0x1
	v_perm_b32 v91, v88, v85, 0x7060302
	s_wait_dscnt 0x0
	v_perm_b32 v82, v80, v101, 0x7060302
	v_perm_b32 v86, v80, v101, 0x5040100
	;; [unrolled: 1-line block ×4, first 2 shown]
	ds_load_2addr_b32 v[101:102], v89 offset0:40 offset1:56
	ds_load_2addr_b32 v[105:106], v89 offset0:108 offset1:124
	v_perm_b32 v104, v88, v85, 0x5040100
	v_perm_b32 v83, v87, v84, 0x7060302
	;; [unrolled: 1-line block ×3, first 2 shown]
	s_wait_dscnt 0x0
	v_perm_b32 v81, v105, v101, 0x7060302
	v_perm_b32 v85, v105, v101, 0x5040100
	;; [unrolled: 1-line block ×4, first 2 shown]
	ds_load_2addr_b32 v[105:106], v107 offset0:160 offset1:176
	ds_load_2addr_b32 v[107:108], v107 offset0:228 offset1:244
	s_wait_dscnt 0x0
	v_perm_b32 v80, v107, v105, 0x7060302
	v_perm_b32 v84, v107, v105, 0x5040100
	v_sub_f32_e32 v105, v206, v211
	v_perm_b32 v88, v108, v106, 0x7060302
	v_perm_b32 v101, v108, v106, 0x5040100
	s_delay_alu instid0(VALU_DEP_3) | instskip(SKIP_1) | instid1(VALU_DEP_2)
	v_mul_f32_e32 v106, 0x3fb8aa3b, v105
	v_cmp_ngt_f32_e64 s5, 0xc2ce8ed0, v105
	v_fma_f32 v107, 0x3fb8aa3b, v105, -v106
	v_rndne_f32_e32 v108, v106
	s_delay_alu instid0(VALU_DEP_1) | instskip(SKIP_1) | instid1(VALU_DEP_2)
	v_dual_fmac_f32 v107, 0x32a5705f, v105 :: v_dual_sub_f32 v106, v106, v108
	v_cvt_i32_f32_e32 v108, v108
	v_add_f32_e32 v106, v106, v107
	v_sub_f32_e32 v107, v197, v211
	s_delay_alu instid0(VALU_DEP_2) | instskip(NEXT) | instid1(VALU_DEP_1)
	v_exp_f32_e32 v106, v106
	v_mul_f32_e32 v109, 0x3fb8aa3b, v107
	v_cmp_ngt_f32_e32 vcc_lo, 0xc2ce8ed0, v107
	s_delay_alu instid0(VALU_DEP_2) | instskip(SKIP_1) | instid1(TRANS32_DEP_1)
	v_fma_f32 v110, 0x3fb8aa3b, v107, -v109
	v_rndne_f32_e32 v111, v109
	v_ldexp_f32 v106, v106, v108
	s_delay_alu instid0(VALU_DEP_3) | instskip(NEXT) | instid1(VALU_DEP_3)
	v_fmac_f32_e32 v110, 0x32a5705f, v107
	v_sub_f32_e32 v109, v109, v111
	v_cvt_i32_f32_e32 v111, v111
	s_wait_alu 0xf1ff
	v_cndmask_b32_e64 v106, 0, v106, s5
	v_cmp_nlt_f32_e64 s5, 0x42b17218, v105
	v_dual_add_f32 v109, v109, v110 :: v_dual_sub_f32 v110, v196, v211
	s_delay_alu instid0(VALU_DEP_1) | instskip(NEXT) | instid1(VALU_DEP_1)
	v_exp_f32_e32 v109, v109
	v_mul_f32_e32 v112, 0x3fb8aa3b, v110
	v_cmp_ngt_f32_e64 s3, 0xc2ce8ed0, v110
	s_delay_alu instid0(VALU_DEP_2) | instskip(SKIP_1) | instid1(TRANS32_DEP_1)
	v_fma_f32 v113, 0x3fb8aa3b, v110, -v112
	v_rndne_f32_e32 v114, v112
	v_ldexp_f32 v109, v109, v111
	s_delay_alu instid0(VALU_DEP_3) | instskip(NEXT) | instid1(VALU_DEP_3)
	v_fmac_f32_e32 v113, 0x32a5705f, v110
	v_sub_f32_e32 v112, v112, v114
	v_cvt_i32_f32_e32 v108, v114
	s_wait_alu 0xfffd
	v_cndmask_b32_e32 v109, 0, v109, vcc_lo
	v_cmp_nlt_f32_e32 vcc_lo, 0x42b17218, v107
	v_add_f32_e32 v112, v112, v113
	v_sub_f32_e32 v113, v176, v211
	s_wait_alu 0xfffd
	v_cndmask_b32_e32 v109, 0x7f800000, v109, vcc_lo
	s_delay_alu instid0(VALU_DEP_2) | instskip(SKIP_1) | instid1(VALU_DEP_2)
	v_mul_f32_e32 v115, 0x3fb8aa3b, v113
	v_cmp_ngt_f32_e64 s4, 0xc2ce8ed0, v113
	v_fma_f32 v116, 0x3fb8aa3b, v113, -v115
	v_rndne_f32_e32 v117, v115
	s_delay_alu instid0(VALU_DEP_2) | instskip(NEXT) | instid1(VALU_DEP_2)
	v_fmac_f32_e32 v116, 0x32a5705f, v113
	v_sub_f32_e32 v115, v115, v117
	v_cvt_i32_f32_e32 v111, v117
	s_delay_alu instid0(VALU_DEP_2) | instskip(SKIP_1) | instid1(TRANS32_DEP_1)
	v_add_f32_e32 v115, v115, v116
	v_exp_f32_e32 v112, v112
	v_ldexp_f32 v108, v112, v108
	s_delay_alu instid0(VALU_DEP_2) | instskip(SKIP_1) | instid1(VALU_DEP_1)
	v_exp_f32_e32 v112, v115
	s_wait_alu 0xf1ff
	v_cndmask_b32_e64 v107, 0, v108, s3
	v_cmp_nlt_f32_e64 s3, 0x42b17218, v110
	v_cndmask_b32_e64 v110, 0x7f800000, v106, s5
	s_delay_alu instid0(TRANS32_DEP_1) | instskip(NEXT) | instid1(VALU_DEP_2)
	v_ldexp_f32 v111, v112, v111
	v_cvt_f16_f32_e32 v105, v110
	s_delay_alu instid0(VALU_DEP_2) | instskip(SKIP_4) | instid1(VALU_DEP_3)
	v_cndmask_b32_e64 v108, 0, v111, s4
	v_cmp_nlt_f32_e64 s4, 0x42b17218, v113
	s_wait_alu 0xf1ff
	v_cndmask_b32_e64 v111, 0x7f800000, v107, s3
	v_cvt_f16_f32_e32 v113, v109
	v_cndmask_b32_e64 v112, 0x7f800000, v108, s4
	s_delay_alu instid0(VALU_DEP_3) | instskip(NEXT) | instid1(VALU_DEP_2)
	v_cvt_f16_f32_e32 v106, v111
	v_cvt_f16_f32_e32 v107, v112
	s_delay_alu instid0(VALU_DEP_1)
	v_pack_b32_f16 v108, v106, v107
	v_pack_b32_f16 v107, v105, v113
	v_sub_f32_e32 v105, v175, v211
	scratch_load_b64 v[175:176], off, off offset:112 ; 8-byte Folded Reload
	v_mul_f32_e32 v106, 0x3fb8aa3b, v105
	v_cmp_ngt_f32_e32 vcc_lo, 0xc2ce8ed0, v105
	s_delay_alu instid0(VALU_DEP_2) | instskip(SKIP_1) | instid1(VALU_DEP_1)
	v_fma_f32 v113, 0x3fb8aa3b, v105, -v106
	v_rndne_f32_e32 v114, v106
	v_dual_fmac_f32 v113, 0x32a5705f, v105 :: v_dual_sub_f32 v106, v106, v114
	v_cvt_i32_f32_e32 v114, v114
	s_delay_alu instid0(VALU_DEP_2) | instskip(NEXT) | instid1(VALU_DEP_1)
	v_dual_add_f32 v106, v106, v113 :: v_dual_sub_f32 v113, v163, v211
	v_mul_f32_e32 v115, 0x3fb8aa3b, v113
	v_cmp_ngt_f32_e64 s3, 0xc2ce8ed0, v113
	s_delay_alu instid0(VALU_DEP_2) | instskip(SKIP_1) | instid1(VALU_DEP_2)
	v_fma_f32 v116, 0x3fb8aa3b, v113, -v115
	v_rndne_f32_e32 v117, v115
	v_fmac_f32_e32 v116, 0x32a5705f, v113
	s_delay_alu instid0(VALU_DEP_2) | instskip(NEXT) | instid1(VALU_DEP_1)
	v_sub_f32_e32 v115, v115, v117
	v_add_f32_e32 v115, v115, v116
	v_exp_f32_e32 v106, v106
	s_delay_alu instid0(VALU_DEP_1) | instskip(NEXT) | instid1(TRANS32_DEP_2)
	v_exp_f32_e32 v115, v115
	v_ldexp_f32 v106, v106, v114
	v_cvt_i32_f32_e32 v114, v117
	s_wait_alu 0xfffd
	s_delay_alu instid0(VALU_DEP_2)
	v_cndmask_b32_e32 v106, 0, v106, vcc_lo
	s_delay_alu instid0(TRANS32_DEP_1) | instid1(VALU_DEP_2)
	v_ldexp_f32 v114, v115, v114
	v_cmp_nlt_f32_e32 vcc_lo, 0x42b17218, v105
	s_wait_alu 0xf1ff
	s_delay_alu instid0(VALU_DEP_2) | instskip(SKIP_4) | instid1(VALU_DEP_2)
	v_cndmask_b32_e64 v105, 0, v114, s3
	v_cmp_nlt_f32_e64 s3, 0x42b17218, v113
	s_wait_alu 0xfffd
	v_cndmask_b32_e32 v114, 0x7f800000, v106, vcc_lo
	s_wait_alu 0xf1ff
	v_cndmask_b32_e64 v113, 0x7f800000, v105, s3
	s_delay_alu instid0(VALU_DEP_2) | instskip(NEXT) | instid1(VALU_DEP_2)
	v_cvt_f16_f32_e32 v106, v114
	v_cvt_f16_f32_e32 v105, v113
	s_delay_alu instid0(VALU_DEP_1) | instskip(SKIP_1) | instid1(VALU_DEP_1)
	v_pack_b32_f16 v106, v105, v106
	v_sub_f32_e32 v105, v161, v211
	v_mul_f32_e32 v115, 0x3fb8aa3b, v105
	v_cmp_ngt_f32_e32 vcc_lo, 0xc2ce8ed0, v105
	s_delay_alu instid0(VALU_DEP_2) | instskip(SKIP_1) | instid1(VALU_DEP_2)
	v_fma_f32 v116, 0x3fb8aa3b, v105, -v115
	v_rndne_f32_e32 v117, v115
	v_fmac_f32_e32 v116, 0x32a5705f, v105
	s_delay_alu instid0(VALU_DEP_2) | instskip(SKIP_1) | instid1(VALU_DEP_2)
	v_sub_f32_e32 v115, v115, v117
	v_cvt_i32_f32_e32 v117, v117
	v_dual_add_f32 v115, v115, v116 :: v_dual_sub_f32 v116, v160, v211
	scratch_load_b64 v[160:161], off, off offset:96 ; 8-byte Folded Reload
	v_exp_f32_e32 v115, v115
	v_mul_f32_e32 v118, 0x3fb8aa3b, v116
	v_cmp_ngt_f32_e64 s3, 0xc2ce8ed0, v116
	s_delay_alu instid0(VALU_DEP_2) | instskip(SKIP_1) | instid1(TRANS32_DEP_1)
	v_fma_f32 v119, 0x3fb8aa3b, v116, -v118
	v_rndne_f32_e32 v120, v118
	v_ldexp_f32 v115, v115, v117
	s_delay_alu instid0(VALU_DEP_3) | instskip(NEXT) | instid1(VALU_DEP_3)
	v_fmac_f32_e32 v119, 0x32a5705f, v116
	v_sub_f32_e32 v118, v118, v120
	v_cvt_i32_f32_e32 v117, v120
	s_wait_alu 0xfffd
	v_cndmask_b32_e32 v115, 0, v115, vcc_lo
	v_cmp_nlt_f32_e32 vcc_lo, 0x42b17218, v105
	v_add_f32_e32 v118, v118, v119
	s_wait_alu 0xfffd
	s_delay_alu instid0(VALU_DEP_3) | instskip(NEXT) | instid1(VALU_DEP_2)
	v_cndmask_b32_e32 v115, 0x7f800000, v115, vcc_lo
	v_exp_f32_e32 v118, v118
	s_delay_alu instid0(TRANS32_DEP_1) | instskip(SKIP_1) | instid1(VALU_DEP_1)
	v_ldexp_f32 v117, v118, v117
	s_wait_alu 0xf1ff
	v_cndmask_b32_e64 v105, 0, v117, s3
	v_cmp_nlt_f32_e64 s3, 0x42b17218, v116
	v_cvt_f16_f32_e32 v117, v115
	s_wait_alu 0xf1ff
	s_delay_alu instid0(VALU_DEP_2) | instskip(NEXT) | instid1(VALU_DEP_1)
	v_cndmask_b32_e64 v116, 0x7f800000, v105, s3
	v_cvt_f16_f32_e32 v105, v116
	s_delay_alu instid0(VALU_DEP_1) | instskip(NEXT) | instid1(VALU_DEP_1)
	v_pack_b32_f16 v105, v105, v117
	v_wmma_f16_16x16x16_f16 v[28:31], v[68:71], v[105:108], v[28:31]
	v_wmma_f16_16x16x16_f16 v[20:23], v[64:67], v[105:108], v[20:23]
	;; [unrolled: 1-line block ×8, first 2 shown]
	v_add_nc_u32_e32 v107, 0x3400, v185
	v_add_nc_u32_e32 v84, 0x3800, v185
	;; [unrolled: 1-line block ×4, first 2 shown]
	ds_load_2addr_b32 v[64:65], v107 offset0:208 offset1:224
	ds_load_2addr_b32 v[68:69], v84 offset0:20 offset1:36
	;; [unrolled: 1-line block ×4, first 2 shown]
	v_add_nc_u32_e32 v108, 0x3000, v185
	s_wait_dscnt 0x2
	v_perm_b32 v74, v69, v65, 0x7060302
	v_perm_b32 v78, v69, v65, 0x5040100
	s_wait_dscnt 0x0
	v_perm_b32 v67, v75, v71, 0x7060302
	v_perm_b32 v71, v75, v71, 0x5040100
	;; [unrolled: 1-line block ×4, first 2 shown]
	ds_load_2addr_b32 v[76:77], v107 offset0:72 offset1:88
	ds_load_2addr_b32 v[80:81], v107 offset0:140 offset1:156
	v_perm_b32 v66, v68, v64, 0x7060302
	v_perm_b32 v70, v68, v64, 0x5040100
	s_wait_dscnt 0x0
	v_perm_b32 v65, v80, v76, 0x7060302
	v_perm_b32 v69, v80, v76, 0x5040100
	;; [unrolled: 1-line block ×4, first 2 shown]
	ds_load_2addr_b32 v[80:81], v108 offset0:192 offset1:208
	ds_load_2addr_b32 v[82:83], v107 offset0:4 offset1:20
	s_wait_dscnt 0x0
	v_perm_b32 v64, v82, v80, 0x7060302
	v_perm_b32 v68, v82, v80, 0x5040100
	v_add_nc_u32_e32 v80, 0x3600, v185
	v_perm_b32 v72, v83, v81, 0x7060302
	v_perm_b32 v76, v83, v81, 0x5040100
	ds_load_2addr_b32 v[80:81], v80 offset0:112 offset1:128
	ds_load_2addr_b32 v[84:85], v84 offset0:52 offset1:68
	;; [unrolled: 1-line block ×4, first 2 shown]
	s_wait_dscnt 0x2
	v_perm_b32 v90, v85, v81, 0x7060302
	v_perm_b32 v103, v85, v81, 0x5040100
	s_wait_dscnt 0x0
	v_perm_b32 v83, v101, v87, 0x7060302
	v_perm_b32 v87, v101, v87, 0x5040100
	;; [unrolled: 1-line block ×4, first 2 shown]
	ds_load_2addr_b32 v[101:102], v107 offset0:104 offset1:120
	ds_load_2addr_b32 v[105:106], v107 offset0:172 offset1:188
	v_perm_b32 v82, v84, v80, 0x7060302
	v_perm_b32 v86, v84, v80, 0x5040100
	s_wait_dscnt 0x0
	v_perm_b32 v81, v105, v101, 0x7060302
	v_perm_b32 v85, v105, v101, 0x5040100
	;; [unrolled: 1-line block ×4, first 2 shown]
	ds_load_2addr_b32 v[105:106], v108 offset0:224 offset1:240
	ds_load_2addr_b32 v[107:108], v107 offset0:36 offset1:52
	s_wait_dscnt 0x0
	v_perm_b32 v80, v107, v105, 0x7060302
	v_perm_b32 v84, v107, v105, 0x5040100
	v_sub_f32_e32 v105, v159, v211
	v_perm_b32 v88, v108, v106, 0x7060302
	v_perm_b32 v101, v108, v106, 0x5040100
	s_delay_alu instid0(VALU_DEP_3) | instskip(SKIP_1) | instid1(VALU_DEP_2)
	v_mul_f32_e32 v106, 0x3fb8aa3b, v105
	v_cmp_ngt_f32_e64 s5, 0xc2ce8ed0, v105
	v_fma_f32 v107, 0x3fb8aa3b, v105, -v106
	v_rndne_f32_e32 v108, v106
	s_delay_alu instid0(VALU_DEP_1) | instskip(SKIP_1) | instid1(VALU_DEP_2)
	v_dual_fmac_f32 v107, 0x32a5705f, v105 :: v_dual_sub_f32 v106, v106, v108
	v_cvt_i32_f32_e32 v108, v108
	v_add_f32_e32 v106, v106, v107
	v_sub_f32_e32 v107, v195, v211
	s_delay_alu instid0(VALU_DEP_2) | instskip(NEXT) | instid1(VALU_DEP_1)
	v_exp_f32_e32 v106, v106
	v_mul_f32_e32 v117, 0x3fb8aa3b, v107
	v_cmp_ngt_f32_e32 vcc_lo, 0xc2ce8ed0, v107
	s_delay_alu instid0(VALU_DEP_2) | instskip(SKIP_1) | instid1(TRANS32_DEP_1)
	v_fma_f32 v118, 0x3fb8aa3b, v107, -v117
	v_rndne_f32_e32 v119, v117
	v_ldexp_f32 v106, v106, v108
	s_delay_alu instid0(VALU_DEP_3) | instskip(NEXT) | instid1(VALU_DEP_3)
	v_fmac_f32_e32 v118, 0x32a5705f, v107
	v_sub_f32_e32 v117, v117, v119
	v_cvt_i32_f32_e32 v119, v119
	s_wait_alu 0xf1ff
	v_cndmask_b32_e64 v106, 0, v106, s5
	v_cmp_nlt_f32_e64 s5, 0x42b17218, v105
	v_dual_add_f32 v117, v117, v118 :: v_dual_sub_f32 v118, v194, v211
	s_delay_alu instid0(VALU_DEP_1) | instskip(SKIP_1) | instid1(VALU_DEP_2)
	v_mul_f32_e32 v120, 0x3fb8aa3b, v118
	v_cmp_ngt_f32_e64 s3, 0xc2ce8ed0, v118
	v_fma_f32 v121, 0x3fb8aa3b, v118, -v120
	v_rndne_f32_e32 v122, v120
	s_delay_alu instid0(VALU_DEP_2) | instskip(NEXT) | instid1(VALU_DEP_2)
	v_fmac_f32_e32 v121, 0x32a5705f, v118
	v_sub_f32_e32 v120, v120, v122
	v_cvt_i32_f32_e32 v108, v122
	s_delay_alu instid0(VALU_DEP_2) | instskip(SKIP_4) | instid1(VALU_DEP_2)
	v_dual_add_f32 v120, v120, v121 :: v_dual_sub_f32 v121, v158, v211
	scratch_load_b64 v[158:159], off, off offset:88 ; 8-byte Folded Reload
	v_exp_f32_e32 v120, v120
	v_mul_f32_e32 v123, 0x3fb8aa3b, v121
	v_cmp_ngt_f32_e64 s4, 0xc2ce8ed0, v121
	v_fma_f32 v124, 0x3fb8aa3b, v121, -v123
	v_rndne_f32_e32 v125, v123
	s_delay_alu instid0(TRANS32_DEP_1) | instskip(NEXT) | instid1(VALU_DEP_3)
	v_ldexp_f32 v108, v120, v108
	v_fmac_f32_e32 v124, 0x32a5705f, v121
	s_delay_alu instid0(VALU_DEP_3) | instskip(SKIP_1) | instid1(VALU_DEP_1)
	v_sub_f32_e32 v123, v123, v125
	v_exp_f32_e32 v117, v117
	v_add_f32_e32 v123, v123, v124
	s_delay_alu instid0(VALU_DEP_1) | instskip(NEXT) | instid1(TRANS32_DEP_2)
	v_exp_f32_e32 v120, v123
	v_ldexp_f32 v117, v117, v119
	v_cvt_i32_f32_e32 v119, v125
	s_wait_alu 0xfffd
	s_delay_alu instid0(VALU_DEP_2) | instskip(SKIP_4) | instid1(TRANS32_DEP_1)
	v_cndmask_b32_e32 v117, 0, v117, vcc_lo
	v_cmp_nlt_f32_e32 vcc_lo, 0x42b17218, v107
	s_wait_alu 0xf1ff
	v_cndmask_b32_e64 v107, 0, v108, s3
	v_cmp_nlt_f32_e64 s3, 0x42b17218, v118
	v_ldexp_f32 v119, v120, v119
	v_cndmask_b32_e64 v118, 0x7f800000, v106, s5
	s_wait_alu 0xfffd
	v_cndmask_b32_e32 v117, 0x7f800000, v117, vcc_lo
	s_delay_alu instid0(VALU_DEP_3)
	v_cndmask_b32_e64 v108, 0, v119, s4
	v_cmp_nlt_f32_e64 s4, 0x42b17218, v121
	s_wait_alu 0xf1ff
	v_cndmask_b32_e64 v119, 0x7f800000, v107, s3
	v_cvt_f16_f32_e32 v105, v118
	v_cvt_f16_f32_e32 v121, v117
	v_cndmask_b32_e64 v120, 0x7f800000, v108, s4
	s_delay_alu instid0(VALU_DEP_4) | instskip(NEXT) | instid1(VALU_DEP_2)
	v_cvt_f16_f32_e32 v106, v119
	v_cvt_f16_f32_e32 v107, v120
	s_delay_alu instid0(VALU_DEP_1) | instskip(SKIP_4) | instid1(VALU_DEP_1)
	v_pack_b32_f16 v108, v106, v107
	v_pack_b32_f16 v107, v105, v121
	v_sub_f32_e32 v105, v157, v211
	scratch_load_b64 v[156:157], off, off offset:80 ; 8-byte Folded Reload
	v_mul_f32_e32 v106, 0x3fb8aa3b, v105
	v_fma_f32 v121, 0x3fb8aa3b, v105, -v106
	v_rndne_f32_e32 v122, v106
	s_delay_alu instid0(VALU_DEP_1) | instskip(SKIP_1) | instid1(VALU_DEP_2)
	v_dual_fmac_f32 v121, 0x32a5705f, v105 :: v_dual_sub_f32 v106, v106, v122
	v_cvt_i32_f32_e32 v122, v122
	v_dual_add_f32 v106, v106, v121 :: v_dual_sub_f32 v121, v168, v211
	s_delay_alu instid0(VALU_DEP_1) | instskip(NEXT) | instid1(VALU_DEP_1)
	v_exp_f32_e32 v106, v106
	v_mul_f32_e32 v123, 0x3fb8aa3b, v121
	v_cmp_ngt_f32_e64 s3, 0xc2ce8ed0, v121
	s_delay_alu instid0(VALU_DEP_2) | instskip(SKIP_1) | instid1(TRANS32_DEP_1)
	v_fma_f32 v124, 0x3fb8aa3b, v121, -v123
	v_rndne_f32_e32 v125, v123
	v_ldexp_f32 v106, v106, v122
	s_delay_alu instid0(VALU_DEP_3) | instskip(NEXT) | instid1(VALU_DEP_3)
	v_fmac_f32_e32 v124, 0x32a5705f, v121
	v_sub_f32_e32 v123, v123, v125
	v_cvt_i32_f32_e32 v122, v125
	v_cmp_ngt_f32_e32 vcc_lo, 0xc2ce8ed0, v105
	s_wait_alu 0xfffd
	s_delay_alu instid0(VALU_DEP_3) | instskip(SKIP_1) | instid1(VALU_DEP_2)
	v_dual_add_f32 v123, v123, v124 :: v_dual_cndmask_b32 v106, 0, v106
	v_cmp_nlt_f32_e32 vcc_lo, 0x42b17218, v105
	v_exp_f32_e32 v123, v123
	s_delay_alu instid0(TRANS32_DEP_1) | instskip(SKIP_1) | instid1(VALU_DEP_1)
	v_ldexp_f32 v122, v123, v122
	s_wait_alu 0xf1ff
	v_cndmask_b32_e64 v105, 0, v122, s3
	s_wait_alu 0xfffd
	v_cndmask_b32_e32 v122, 0x7f800000, v106, vcc_lo
	v_cmp_nlt_f32_e64 s3, 0x42b17218, v121
	s_delay_alu instid0(VALU_DEP_2) | instskip(SKIP_1) | instid1(VALU_DEP_2)
	v_cvt_f16_f32_e32 v106, v122
	s_wait_alu 0xf1ff
	v_cndmask_b32_e64 v121, 0x7f800000, v105, s3
	v_cmp_ngt_f32_e64 s3, 0xc2ce8ed0, v99
	s_delay_alu instid0(VALU_DEP_2) | instskip(NEXT) | instid1(VALU_DEP_1)
	v_cvt_f16_f32_e32 v105, v121
	v_pack_b32_f16 v106, v105, v106
	v_sub_f32_e32 v105, v164, v211
	s_delay_alu instid0(VALU_DEP_1) | instskip(SKIP_1) | instid1(VALU_DEP_2)
	v_mul_f32_e32 v123, 0x3fb8aa3b, v105
	v_cmp_ngt_f32_e32 vcc_lo, 0xc2ce8ed0, v105
	v_fma_f32 v124, 0x3fb8aa3b, v105, -v123
	v_rndne_f32_e32 v125, v123
	s_delay_alu instid0(VALU_DEP_2) | instskip(NEXT) | instid1(VALU_DEP_2)
	v_fmac_f32_e32 v124, 0x32a5705f, v105
	v_sub_f32_e32 v123, v123, v125
	v_cvt_i32_f32_e32 v125, v125
	s_delay_alu instid0(VALU_DEP_2) | instskip(NEXT) | instid1(VALU_DEP_1)
	v_dual_add_f32 v123, v123, v124 :: v_dual_mul_f32 v124, 0x3fb8aa3b, v99
	v_exp_f32_e32 v123, v123
	s_delay_alu instid0(VALU_DEP_1) | instskip(SKIP_1) | instid1(VALU_DEP_2)
	v_fma_f32 v126, 0x3fb8aa3b, v99, -v124
	v_rndne_f32_e32 v127, v124
	v_fmac_f32_e32 v126, 0x32a5705f, v99
	s_delay_alu instid0(VALU_DEP_2) | instskip(NEXT) | instid1(TRANS32_DEP_1)
	v_sub_f32_e32 v124, v124, v127
	v_ldexp_f32 v123, v123, v125
	v_cvt_i32_f32_e32 v125, v127
	s_wait_alu 0xfffd
	s_delay_alu instid0(VALU_DEP_2) | instskip(SKIP_1) | instid1(VALU_DEP_2)
	v_dual_add_f32 v124, v124, v126 :: v_dual_cndmask_b32 v123, 0, v123
	v_cmp_nlt_f32_e32 vcc_lo, 0x42b17218, v105
	v_exp_f32_e32 v124, v124
	s_wait_alu 0xfffd
	s_delay_alu instid0(VALU_DEP_2) | instskip(NEXT) | instid1(TRANS32_DEP_1)
	v_cndmask_b32_e32 v123, 0x7f800000, v123, vcc_lo
	v_ldexp_f32 v124, v124, v125
	scratch_load_b64 v[125:126], off, off offset:72 ; 8-byte Folded Reload
	s_wait_alu 0xf1ff
	v_cndmask_b32_e64 v105, 0, v124, s3
	v_cmp_nlt_f32_e64 s3, 0x42b17218, v99
	v_cvt_f16_f32_e32 v124, v123
	s_wait_alu 0xf1ff
	s_delay_alu instid0(VALU_DEP_2) | instskip(NEXT) | instid1(VALU_DEP_1)
	v_cndmask_b32_e64 v99, 0x7f800000, v105, s3
	v_cvt_f16_f32_e32 v105, v99
	s_delay_alu instid0(VALU_DEP_1) | instskip(NEXT) | instid1(VALU_DEP_1)
	v_pack_b32_f16 v105, v105, v124
	v_wmma_f16_16x16x16_f16 v[20:23], v[64:67], v[105:108], v[20:23]
	v_dual_add_f32 v64, v210, v213 :: v_dual_mov_b32 v65, v208
	v_wmma_f16_16x16x16_f16 v[28:31], v[68:71], v[105:108], v[28:31]
	v_wmma_f16_16x16x16_f16 v[24:27], v[76:79], v[105:108], v[24:27]
	;; [unrolled: 1-line block ×3, first 2 shown]
	s_delay_alu instid0(VALU_DEP_4)
	v_add_f32_e32 v64, v207, v64
	v_wmma_f16_16x16x16_f16 v[12:15], v[84:87], v[105:108], v[12:15]
	v_wmma_f16_16x16x16_f16 v[8:11], v[80:83], v[105:108], v[8:11]
	;; [unrolled: 1-line block ×4, first 2 shown]
	v_add_f32_e32 v64, v209, v64
	s_delay_alu instid0(VALU_DEP_1) | instskip(SKIP_2) | instid1(VALU_DEP_1)
	v_add_f32_e32 v64, v162, v64
	scratch_load_b64 v[162:163], off, off offset:104 ; 8-byte Folded Reload
	v_add_f32_e32 v64, v186, v64
	v_add_f32_e32 v64, v96, v64
	s_delay_alu instid0(VALU_DEP_1) | instskip(NEXT) | instid1(VALU_DEP_1)
	v_dual_add_f32 v64, v97, v64 :: v_dual_mov_b32 v209, v148
	v_add_f32_e32 v64, v215, v64
	s_delay_alu instid0(VALU_DEP_1) | instskip(NEXT) | instid1(VALU_DEP_1)
	v_add_f32_e32 v64, v216, v64
	v_add_f32_e32 v64, v217, v64
	s_delay_alu instid0(VALU_DEP_1) | instskip(NEXT) | instid1(VALU_DEP_1)
	v_add_f32_e32 v64, v218, v64
	v_add_f32_e32 v64, v220, v64
	s_delay_alu instid0(VALU_DEP_1) | instskip(NEXT) | instid1(VALU_DEP_1)
	v_dual_add_f32 v64, v221, v64 :: v_dual_add_nc_u32 v221, 40, v202
	v_add_f32_e32 v64, v200, v64
	s_delay_alu instid0(VALU_DEP_1) | instskip(NEXT) | instid1(VALU_DEP_1)
	v_add_f32_e32 v64, v219, v64
	v_add_f32_e32 v64, v116, v64
	s_delay_alu instid0(VALU_DEP_1) | instskip(NEXT) | instid1(VALU_DEP_1)
	v_add_f32_e32 v64, v115, v64
	v_add_f32_e32 v64, v113, v64
	s_delay_alu instid0(VALU_DEP_1) | instskip(NEXT) | instid1(VALU_DEP_1)
	v_add_f32_e32 v64, v114, v64
	v_add_f32_e32 v64, v110, v64
	s_delay_alu instid0(VALU_DEP_1) | instskip(NEXT) | instid1(VALU_DEP_1)
	v_add_f32_e32 v64, v109, v64
	v_add_f32_e32 v64, v111, v64
	s_delay_alu instid0(VALU_DEP_1) | instskip(NEXT) | instid1(VALU_DEP_1)
	v_add_f32_e32 v64, v112, v64
	v_add_f32_e32 v64, v99, v64
	s_delay_alu instid0(VALU_DEP_1) | instskip(NEXT) | instid1(VALU_DEP_1)
	v_add_f32_e32 v64, v123, v64
	v_add_f32_e32 v64, v121, v64
	s_delay_alu instid0(VALU_DEP_1) | instskip(NEXT) | instid1(VALU_DEP_1)
	v_add_f32_e32 v64, v122, v64
	v_add_f32_e32 v64, v118, v64
	v_add_nc_u32_e32 v118, 0, v234
	s_delay_alu instid0(VALU_DEP_2)
	v_add_f32_e32 v64, v117, v64
	scratch_load_b32 v117, off, off         ; 4-byte Folded Reload
	s_wait_loadcnt 0x0
	s_barrier_signal -1
	s_barrier_wait -1
	v_add_f32_e32 v64, v119, v64
	global_inv scope:SCOPE_SE
	v_add_f32_e32 v208, v120, v64
	s_delay_alu instid0(VALU_DEP_1)
	v_fmac_f32_e32 v208, v65, v214
	s_cbranch_scc1 .LBB24_80
; %bb.81:                               ;   in Loop: Header=BB24_9 Depth=1
	s_clause 0x1
	scratch_load_b32 v149, off, off offset:304
	scratch_load_b64 v[113:114], off, off offset:312
	s_wait_loadcnt 0x0
	s_clause 0x1c
	scratch_load_b32 v114, off, off offset:320
	scratch_load_b32 v115, off, off offset:324
	;; [unrolled: 1-line block ×26, first 2 shown]
	scratch_load_b64 v[218:219], off, off offset:500
	scratch_load_b32 v193, off, off offset:280
	scratch_load_b64 v[64:65], off, off offset:272
	v_dual_mov_b32 v116, 0 :: v_dual_mov_b32 v217, v253
	v_dual_mov_b32 v232, v246 :: v_dual_mov_b32 v237, v254
	v_mov_b32_e32 v246, v248
	v_mov_b32_e32 v248, v250
	;; [unrolled: 1-line block ×4, first 2 shown]
                                        ; kill: def $vgpr218 killed $vgpr218 def $vgpr219
	s_wait_loadcnt 0x0
	v_mov_b32_e32 v229, v64
	s_branch .LBB24_84
.LBB24_82:                              ;   in Loop: Header=BB24_9 Depth=1
	s_mov_b32 s39, 0
                                        ; implicit-def: $vgpr1
                                        ; implicit-def: $vgpr2
	s_cbranch_execnz .LBB24_182
	s_branch .LBB24_354
.LBB24_83:                              ;   in Loop: Header=BB24_9 Depth=1
	v_dual_mov_b32 v31, 0 :: v_dual_mov_b32 v208, 0
	v_mov_b32_e32 v23, 0
	s_delay_alu instid0(VALU_DEP_2) | instskip(SKIP_1) | instid1(VALU_DEP_3)
	v_dual_mov_b32 v211, 0xfeffffff :: v_dual_mov_b32 v30, v31
	v_dual_mov_b32 v28, v31 :: v_dual_mov_b32 v29, v31
	;; [unrolled: 1-line block ×15, first 2 shown]
	v_mov_b32_e32 v0, v23
.LBB24_84:                              ;   in Loop: Header=BB24_9 Depth=1
	s_lshl_b32 s4, s95, 6
	v_lshlrev_b32_e32 v66, 1, v115
	s_wait_alu 0xfffe
	s_ashr_i32 s5, s4, 31
	v_lshlrev_b64_e32 v[64:65], 1, v[92:93]
	s_wait_alu 0xfffe
	s_lshl_b64 s[0:1], s[4:5], 1
	v_lshlrev_b64_e32 v[68:69], 1, v[135:136]
	s_wait_alu 0xfffe
	s_add_nc_u64 s[0:1], s[80:81], s[0:1]
	v_lshlrev_b64_e32 v[70:71], 1, v[137:138]
	s_wait_alu 0xfffe
	v_add_co_u32 v80, s0, s0, v66
	v_lshlrev_b64_e32 v[66:67], 1, v[94:95]
	s_wait_alu 0xf1ff
	v_add_co_ci_u32_e64 v81, null, s1, 0, s0
	s_delay_alu instid0(VALU_DEP_3) | instskip(SKIP_2) | instid1(VALU_DEP_3)
	v_add_co_u32 v64, vcc_lo, v80, v64
	v_lshlrev_b64_e32 v[72:73], 1, v[141:142]
	s_wait_alu 0xfffd
	v_add_co_ci_u32_e64 v65, null, v81, v65, vcc_lo
	v_add_co_u32 v66, vcc_lo, v80, v66
	s_wait_alu 0xfffd
	v_add_co_ci_u32_e64 v67, null, v81, v67, vcc_lo
	v_add_co_u32 v68, vcc_lo, v80, v68
	v_lshlrev_b64_e32 v[74:75], 1, v[143:144]
	s_wait_alu 0xfffd
	v_add_co_ci_u32_e64 v69, null, v81, v69, vcc_lo
	v_add_co_u32 v70, vcc_lo, v80, v70
	v_lshlrev_b64_e32 v[76:77], 1, v[139:140]
	;; [unrolled: 4-line block ×3, first 2 shown]
	s_wait_alu 0xfffd
	v_add_co_ci_u32_e64 v73, null, v81, v73, vcc_lo
	v_add_co_u32 v74, vcc_lo, v80, v74
	s_wait_alu 0xfffd
	v_add_co_ci_u32_e64 v75, null, v81, v75, vcc_lo
	v_add_co_u32 v76, vcc_lo, v80, v76
	;; [unrolled: 3-line block ×3, first 2 shown]
	s_wait_alu 0xfffd
	v_add_co_ci_u32_e64 v79, null, v81, v79, vcc_lo
	s_clause 0x7
	global_load_b32 v64, v[64:65], off
	global_load_b32 v65, v[66:67], off
	global_load_b32 v66, v[68:69], off
	global_load_b32 v67, v[70:71], off
	global_load_b32 v68, v[72:73], off
	global_load_b32 v69, v[74:75], off
	global_load_b32 v70, v[76:77], off
	global_load_b32 v71, v[78:79], off
	v_add_nc_u32_e32 v72, v118, v117
	s_mul_u64 s[0:1], s[26:27], s[4:5]
	s_wait_alu 0xfffe
	s_lshl_b64 s[0:1], s[0:1], 2
	s_delay_alu instid0(VALU_DEP_1)
	v_add_nc_u32_e32 v73, 0x4400, v72
	s_wait_alu 0xfffe
	s_add_nc_u64 s[0:1], s[78:79], s[0:1]
	s_wait_loadcnt 0x6
	ds_store_2addr_b32 v73, v64, v65 offset1:144
	v_add_nc_u32_e32 v64, 0x4800, v72
	s_wait_loadcnt 0x4
	ds_store_2addr_b32 v64, v66, v67 offset0:32 offset1:176
	v_add_nc_u32_e32 v64, 0x4c00, v72
	s_wait_loadcnt 0x2
	ds_store_2addr_b32 v64, v68, v69 offset0:64 offset1:208
	;; [unrolled: 3-line block ×3, first 2 shown]
	s_wait_alu 0xfffe
	v_add_co_u32 v64, vcc_lo, s0, v125
	s_wait_alu 0xfffd
	v_add_co_ci_u32_e64 v65, null, s1, v126, vcc_lo
	s_delay_alu instid0(VALU_DEP_2) | instskip(SKIP_1) | instid1(VALU_DEP_2)
	v_add_co_u32 v64, vcc_lo, v64, v247
	s_wait_alu 0xfffd
	v_add_co_ci_u32_e64 v65, null, 0, v65, vcc_lo
	v_add_co_u32 v66, vcc_lo, s0, v156
	s_wait_alu 0xfffd
	v_add_co_ci_u32_e64 v67, null, s1, v157, vcc_lo
	s_delay_alu instid0(VALU_DEP_2) | instskip(SKIP_1) | instid1(VALU_DEP_2)
	v_add_co_u32 v68, vcc_lo, v66, v247
	s_wait_alu 0xfffd
	v_add_co_ci_u32_e64 v69, null, 0, v67, vcc_lo
	s_clause 0x1
	global_load_b128 v[64:67], v[64:65], off
	global_load_b128 v[68:71], v[68:69], off
	s_wait_loadcnt 0x1
	ds_store_b128 v233, v[64:67]
	s_wait_loadcnt 0x0
	ds_store_b128 v128, v[68:71]
	v_add_co_u32 v64, vcc_lo, s0, v158
	s_wait_alu 0xfffd
	v_add_co_ci_u32_e64 v65, null, s1, v159, vcc_lo
	s_delay_alu instid0(VALU_DEP_2) | instskip(SKIP_1) | instid1(VALU_DEP_2)
	v_add_co_u32 v64, vcc_lo, v64, v247
	s_wait_alu 0xfffd
	v_add_co_ci_u32_e64 v65, null, 0, v65, vcc_lo
	v_add_co_u32 v66, vcc_lo, s0, v160
	s_wait_alu 0xfffd
	v_add_co_ci_u32_e64 v67, null, s1, v161, vcc_lo
	s_delay_alu instid0(VALU_DEP_2) | instskip(SKIP_1) | instid1(VALU_DEP_2)
	v_add_co_u32 v68, vcc_lo, v66, v247
	s_wait_alu 0xfffd
	v_add_co_ci_u32_e64 v69, null, 0, v67, vcc_lo
	s_clause 0x1
	global_load_b128 v[64:67], v[64:65], off
	global_load_b128 v[68:71], v[68:69], off
	s_wait_loadcnt 0x1
	ds_store_b128 v228, v[64:67]
	s_wait_loadcnt 0x0
	ds_store_b128 v132, v[68:71]
	;; [unrolled: 21-line block ×3, first 2 shown]
	v_add_co_u32 v64, vcc_lo, s0, v230
	s_wait_alu 0xfffd
	v_add_co_ci_u32_e64 v65, null, s1, v231, vcc_lo
	s_delay_alu instid0(VALU_DEP_2) | instskip(SKIP_1) | instid1(VALU_DEP_2)
	v_add_co_u32 v64, vcc_lo, v64, v247
	s_wait_alu 0xfffd
	v_add_co_ci_u32_e64 v65, null, 0, v65, vcc_lo
	v_add_co_u32 v66, vcc_lo, s0, v235
	s_wait_alu 0xfffd
	v_add_co_ci_u32_e64 v67, null, s1, v236, vcc_lo
	s_mul_u64 s[0:1], s[34:35], s[4:5]
	v_add_co_u32 v68, vcc_lo, v66, v247
	s_wait_alu 0xfffd
	v_add_co_ci_u32_e64 v69, null, 0, v67, vcc_lo
	s_clause 0x1
	global_load_b128 v[64:67], v[64:65], off
	global_load_b128 v[68:71], v[68:69], off
	v_cmp_lt_i32_e32 vcc_lo, v249, v251
	s_wait_alu 0xfffe
	s_lshl_b64 s[0:1], s[0:1], 2
	s_cmp_lg_u64 s[74:75], 0
	s_wait_alu 0xfffe
	s_add_nc_u64 s[0:1], s[76:77], s[0:1]
	s_wait_loadcnt 0x1
	ds_store_b128 v165, v[64:67]
	s_wait_loadcnt 0x0
	ds_store_b128 v225, v[68:71]
	s_wait_dscnt 0x0
	s_barrier_signal -1
	s_barrier_wait -1
	global_inv scope:SCOPE_SE
	ds_load_b128 v[73:76], v172
	ds_load_b128 v[77:80], v172 offset:32
	ds_load_b128 v[81:84], v172 offset:4352
	;; [unrolled: 1-line block ×7, first 2 shown]
	s_wait_dscnt 0x7
	v_wmma_f32_16x16x16_f16 v[65:72], v[73:76], v[56:59], 0
	s_wait_dscnt 0x6
	s_delay_alu instid0(VALU_DEP_1) | instskip(SKIP_3) | instid1(VALU_DEP_1)
	v_wmma_f32_16x16x16_f16 v[65:72], v[77:80], v[60:63], v[65:72]
	s_wait_dscnt 0x5
	v_wmma_f32_16x16x16_f16 v[73:80], v[81:84], v[56:59], 0
	s_wait_dscnt 0x4
	v_wmma_f32_16x16x16_f16 v[73:80], v[85:88], v[60:63], v[73:80]
	s_wait_dscnt 0x3
	v_wmma_f32_16x16x16_f16 v[81:88], v[89:92], v[56:59], 0
	s_wait_dscnt 0x2
	s_delay_alu instid0(VALU_DEP_1) | instskip(SKIP_3) | instid1(VALU_DEP_1)
	v_wmma_f32_16x16x16_f16 v[81:88], v[93:96], v[60:63], v[81:88]
	s_wait_dscnt 0x1
	v_wmma_f32_16x16x16_f16 v[89:96], v[101:104], v[56:59], 0
	s_wait_dscnt 0x0
	v_wmma_f32_16x16x16_f16 v[89:96], v[105:108], v[60:63], v[89:96]
	ds_load_b128 v[56:59], v172 offset:64
	ds_load_b128 v[60:63], v172 offset:96
	s_wait_dscnt 0x1
	v_wmma_f32_16x16x16_f16 v[65:72], v[56:59], v[52:55], v[65:72]
	ds_load_b128 v[56:59], v172 offset:4416
	ds_load_b128 v[101:104], v172 offset:4448
	s_wait_dscnt 0x2
	v_wmma_f32_16x16x16_f16 v[65:72], v[60:63], v[48:51], v[65:72]
	s_wait_dscnt 0x1
	v_wmma_f32_16x16x16_f16 v[73:80], v[56:59], v[52:55], v[73:80]
	ds_load_b128 v[56:59], v172 offset:8768
	ds_load_b128 v[105:108], v172 offset:8800
	s_wait_dscnt 0x2
	v_wmma_f32_16x16x16_f16 v[73:80], v[101:104], v[48:51], v[73:80]
	;; [unrolled: 6-line block ×3, first 2 shown]
	s_wait_dscnt 0x1
	v_wmma_f32_16x16x16_f16 v[89:96], v[56:59], v[52:55], v[89:96]
	s_wait_dscnt 0x0
	s_delay_alu instid0(VALU_DEP_1)
	v_wmma_f32_16x16x16_f16 v[89:96], v[109:112], v[48:51], v[89:96]
	ds_load_b128 v[48:51], v172 offset:128
	ds_load_b128 v[52:55], v172 offset:160
	s_wait_dscnt 0x1
	v_wmma_f32_16x16x16_f16 v[65:72], v[48:51], v[44:47], v[65:72]
	ds_load_b128 v[48:51], v172 offset:4480
	ds_load_b128 v[56:59], v172 offset:4512
	s_wait_dscnt 0x2
	v_wmma_f32_16x16x16_f16 v[65:72], v[52:55], v[40:43], v[65:72]
	s_wait_dscnt 0x1
	v_wmma_f32_16x16x16_f16 v[73:80], v[48:51], v[44:47], v[73:80]
	ds_load_b128 v[48:51], v172 offset:8832
	ds_load_b128 v[60:63], v172 offset:8864
	s_wait_dscnt 0x2
	v_wmma_f32_16x16x16_f16 v[73:80], v[56:59], v[40:43], v[73:80]
	;; [unrolled: 6-line block ×3, first 2 shown]
	s_wait_dscnt 0x1
	v_wmma_f32_16x16x16_f16 v[89:96], v[48:51], v[44:47], v[89:96]
	s_wait_dscnt 0x0
	s_delay_alu instid0(VALU_DEP_1)
	v_wmma_f32_16x16x16_f16 v[89:96], v[101:104], v[40:43], v[89:96]
	ds_load_b128 v[40:43], v172 offset:192
	ds_load_b128 v[44:47], v172 offset:224
	s_wait_dscnt 0x1
	v_wmma_f32_16x16x16_f16 v[65:72], v[40:43], v[36:39], v[65:72]
	ds_load_b128 v[40:43], v172 offset:4544
	ds_load_b128 v[48:51], v172 offset:4576
	s_wait_dscnt 0x2
	v_wmma_f32_16x16x16_f16 v[65:72], v[44:47], v[32:35], v[65:72]
	s_wait_dscnt 0x1
	v_wmma_f32_16x16x16_f16 v[73:80], v[40:43], v[36:39], v[73:80]
	ds_load_b128 v[40:43], v172 offset:8896
	ds_load_b128 v[52:55], v172 offset:8928
	s_wait_dscnt 0x2
	v_wmma_f32_16x16x16_f16 v[73:80], v[48:51], v[32:35], v[73:80]
	s_wait_dscnt 0x1
	v_wmma_f32_16x16x16_f16 v[81:88], v[40:43], v[36:39], v[81:88]
	ds_load_b128 v[40:43], v172 offset:13248
	ds_load_b128 v[56:59], v172 offset:13280
	s_wait_loadcnt_dscnt 0x0
	s_barrier_signal -1
	s_barrier_wait -1
	global_inv scope:SCOPE_SE
	scratch_load_b32 v50, off, off offset:4 ; 4-byte Folded Reload
	v_wmma_f32_16x16x16_f16 v[81:88], v[52:55], v[32:35], v[81:88]
	v_wmma_f32_16x16x16_f16 v[89:96], v[40:43], v[36:39], v[89:96]
	s_delay_alu instid0(VALU_DEP_1)
	v_wmma_f32_16x16x16_f16 v[89:96], v[56:59], v[32:35], v[89:96]
	s_wait_loadcnt 0x0
	v_add_nc_u32_e32 v32, 0x4400, v50
	ds_load_2addr_b32 v[32:33], v32 offset1:1
	s_wait_dscnt 0x0
	v_cvt_f32_f16_e32 v37, v32
	v_lshrrev_b32_e32 v32, 16, v32
	v_cvt_f32_f16_e32 v38, v33
	v_lshrrev_b32_e32 v33, 16, v33
	s_delay_alu instid0(VALU_DEP_4) | instskip(NEXT) | instid1(VALU_DEP_4)
	v_add_f32_e32 v58, v65, v37
	v_cvt_f32_f16_e32 v32, v32
	v_add_nc_u32_e32 v34, 0x4400, v205
	s_delay_alu instid0(VALU_DEP_4) | instskip(NEXT) | instid1(VALU_DEP_3)
	v_cvt_f32_f16_e32 v33, v33
	v_add_f32_e32 v59, v66, v32
	ds_load_2addr_b32 v[34:35], v34 offset1:1
	ds_load_b32 v36, v191 offset:17408
	v_add_nc_u32_e32 v32, 0x4400, v221
	ds_load_b32 v39, v50 offset:17416
	v_add_f32_e32 v64, v68, v33
	ds_load_2addr_b32 v[32:33], v32 offset1:1
	s_wait_dscnt 0x3
	v_cvt_f32_f16_e32 v42, v35
	s_wait_dscnt 0x2
	v_lshrrev_b32_e32 v41, 16, v36
	v_cvt_f32_f16_e32 v36, v36
	s_wait_dscnt 0x1
	v_cvt_f32_f16_e32 v40, v39
	v_lshrrev_b32_e32 v39, 16, v39
	v_lshrrev_b32_e32 v43, 16, v35
	v_cvt_f32_f16_e32 v41, v41
	s_wait_dscnt 0x0
	v_cvt_f32_f16_e32 v44, v32
	v_lshrrev_b32_e32 v32, 16, v32
	v_cvt_f32_f16_e32 v39, v39
	v_dual_add_f32 v69, v69, v40 :: v_dual_add_f32 v66, v72, v41
	v_cvt_f32_f16_e32 v40, v34
	v_lshrrev_b32_e32 v41, 16, v34
	v_add_nc_u32_e32 v34, 0x4400, v173
	v_cvt_f32_f16_e32 v32, v32
	v_add_f32_e32 v62, v67, v38
	v_dual_add_f32 v67, v71, v36 :: v_dual_add_nc_u32 v36, 0x4400, v174
	v_add_nc_u32_e32 v38, 0x4400, v209
	v_add_f32_e32 v68, v70, v39
	ds_load_2addr_b32 v[34:35], v34 offset1:1
	ds_load_2addr_b32 v[36:37], v36 offset1:1
	;; [unrolled: 1-line block ×3, first 2 shown]
	v_lshrrev_b32_e32 v45, 16, v33
	v_cvt_f32_f16_e32 v33, v33
	v_add_f32_e32 v63, v78, v32
	v_cvt_f32_f16_e32 v41, v41
	v_cvt_f32_f16_e32 v43, v43
	;; [unrolled: 1-line block ×3, first 2 shown]
	v_add_f32_e32 v61, v79, v33
	s_delay_alu instid0(VALU_DEP_4) | instskip(NEXT) | instid1(VALU_DEP_4)
	v_dual_add_f32 v56, v75, v42 :: v_dual_add_f32 v55, v74, v41
	v_add_f32_e32 v57, v76, v43
	s_delay_alu instid0(VALU_DEP_4)
	v_dual_add_f32 v60, v80, v45 :: v_dual_add_f32 v65, v77, v44
	s_wait_dscnt 0x2
	v_cvt_f32_f16_e32 v32, v34
	v_lshrrev_b32_e32 v33, 16, v34
	s_wait_dscnt 0x1
	v_lshrrev_b32_e32 v41, 16, v37
	v_cvt_f32_f16_e32 v34, v35
	v_lshrrev_b32_e32 v35, 16, v35
	v_dual_add_f32 v45, v81, v32 :: v_dual_add_nc_u32 v32, 0x68, v50
	v_cvt_f32_f16_e32 v33, v33
	v_cvt_f32_f16_e32 v41, v41
	v_add_f32_e32 v54, v73, v40
	v_cvt_f32_f16_e32 v35, v35
	v_add_nc_u32_e32 v32, 0x4400, v32
	v_add_f32_e32 v46, v82, v33
	v_add_f32_e32 v49, v88, v41
	v_cvt_f32_f16_e32 v37, v37
	v_add_f32_e32 v47, v83, v34
	ds_load_2addr_b32 v[32:33], v32 offset1:1
	v_add_f32_e32 v48, v84, v35
	s_wait_dscnt 0x1
	v_cvt_f32_f16_e32 v34, v38
	v_lshrrev_b32_e32 v35, 16, v38
	v_cvt_f32_f16_e32 v40, v36
	v_add_f32_e32 v51, v87, v37
	v_lshrrev_b32_e32 v37, 16, v39
	v_lshrrev_b32_e32 v36, 16, v36
	v_cvt_f32_f16_e32 v35, v35
	v_dual_add_f32 v53, v85, v40 :: v_dual_add_nc_u32 v88, 0x400, v185
	s_delay_alu instid0(VALU_DEP_4) | instskip(SKIP_2) | instid1(VALU_DEP_3)
	v_cvt_f32_f16_e32 v40, v37
	v_dual_add_f32 v37, v89, v34 :: v_dual_add_f32 v34, 0x40051340, v64
	v_cvt_f32_f16_e32 v36, v36
	v_add_f32_e32 v40, v92, v40
	s_delay_alu instid0(VALU_DEP_2)
	v_add_f32_e32 v52, v86, v36
	s_wait_dscnt 0x0
	v_cvt_f32_f16_e32 v41, v32
	v_lshrrev_b32_e32 v32, 16, v32
	v_lshrrev_b32_e32 v38, 16, v33
	v_cvt_f32_f16_e32 v33, v33
	v_cvt_f32_f16_e32 v36, v39
	s_delay_alu instid0(VALU_DEP_4) | instskip(NEXT) | instid1(VALU_DEP_4)
	v_cvt_f32_f16_e32 v32, v32
	v_cvt_f32_f16_e32 v50, v38
	s_delay_alu instid0(VALU_DEP_4) | instskip(SKIP_1) | instid1(VALU_DEP_4)
	v_dual_add_f32 v42, v95, v33 :: v_dual_add_f32 v33, 0x40051340, v59
	v_add_f32_e32 v38, v90, v35
	v_dual_add_f32 v43, v94, v32 :: v_dual_add_f32 v32, 0x40051340, v58
	v_dual_add_f32 v39, v91, v36 :: v_dual_add_f32 v44, v93, v41
	v_add_f32_e32 v41, v96, v50
	s_delay_alu instid0(VALU_DEP_3) | instskip(SKIP_1) | instid1(VALU_DEP_1)
	v_max3_num_f32 v32, v211, v32, v33
	v_add_f32_e32 v33, 0x40051340, v62
	v_max3_num_f32 v32, v32, v33, v34
	v_dual_add_f32 v33, 0x40051340, v69 :: v_dual_add_f32 v34, 0x40051340, v68
	s_delay_alu instid0(VALU_DEP_1) | instskip(SKIP_1) | instid1(VALU_DEP_1)
	v_max3_num_f32 v32, v32, v33, v34
	v_dual_add_f32 v33, 0x40051340, v67 :: v_dual_add_f32 v34, 0x40051340, v66
	v_max3_num_f32 v32, v32, v33, v34
	v_dual_add_f32 v33, 0x40051340, v54 :: v_dual_add_f32 v34, 0x40051340, v55
	s_delay_alu instid0(VALU_DEP_1) | instskip(SKIP_1) | instid1(VALU_DEP_1)
	v_max3_num_f32 v32, v32, v33, v34
	v_dual_add_f32 v33, 0x40051340, v56 :: v_dual_add_f32 v34, 0x40051340, v57
	v_max3_num_f32 v32, v32, v33, v34
	v_dual_add_f32 v33, 0x40051340, v65 :: v_dual_add_f32 v34, 0x40051340, v63
	s_delay_alu instid0(VALU_DEP_1) | instskip(SKIP_1) | instid1(VALU_DEP_1)
	v_max3_num_f32 v32, v32, v33, v34
	v_dual_add_f32 v33, 0x40051340, v61 :: v_dual_add_f32 v34, 0x40051340, v60
	v_max3_num_f32 v32, v32, v33, v34
	v_dual_add_f32 v33, 0x40051340, v45 :: v_dual_add_f32 v34, 0x40051340, v46
	s_delay_alu instid0(VALU_DEP_1) | instskip(SKIP_1) | instid1(VALU_DEP_1)
	v_max3_num_f32 v32, v32, v33, v34
	v_dual_add_f32 v33, 0x40051340, v47 :: v_dual_add_f32 v34, 0x40051340, v48
	v_max3_num_f32 v32, v32, v33, v34
	v_dual_add_f32 v33, 0x40051340, v53 :: v_dual_add_f32 v34, 0x40051340, v52
	s_delay_alu instid0(VALU_DEP_1) | instskip(SKIP_1) | instid1(VALU_DEP_1)
	v_max3_num_f32 v32, v32, v33, v34
	v_dual_add_f32 v33, 0x40051340, v51 :: v_dual_add_f32 v34, 0x40051340, v49
	v_max3_num_f32 v32, v32, v33, v34
	v_dual_add_f32 v33, 0x40051340, v37 :: v_dual_add_f32 v34, 0x40051340, v38
	s_delay_alu instid0(VALU_DEP_1) | instskip(SKIP_1) | instid1(VALU_DEP_1)
	v_max3_num_f32 v32, v32, v33, v34
	v_dual_add_f32 v33, 0x40051340, v39 :: v_dual_add_f32 v34, 0x40051340, v40
	v_max3_num_f32 v32, v32, v33, v34
	v_dual_add_f32 v33, 0x40051340, v44 :: v_dual_add_f32 v34, 0x40051340, v43
	s_delay_alu instid0(VALU_DEP_1) | instskip(SKIP_1) | instid1(VALU_DEP_1)
	v_max3_num_f32 v32, v32, v33, v34
	v_dual_add_f32 v33, 0x40051340, v42 :: v_dual_add_f32 v34, 0x40051340, v41
	v_max3_num_f32 v32, v32, v33, v34
	s_wait_alu 0xfffd
	v_cndmask_b32_e32 v33, v217, v249, vcc_lo
	s_delay_alu instid0(VALU_DEP_1) | instskip(SKIP_3) | instid1(VALU_DEP_1)
	v_lshlrev_b32_e32 v36, 2, v33
	ds_bpermute_b32 v33, v36, v32
	s_wait_dscnt 0x0
	v_max_num_f32_e32 v33, v33, v33
	v_max_num_f32_e32 v50, v32, v33
	s_delay_alu instid0(VALU_DEP_1) | instskip(NEXT) | instid1(VALU_DEP_1)
	v_sub_f32_e32 v32, v211, v50
	v_mul_f32_e32 v33, 0x3fb8aa3b, v32
	v_cmp_ngt_f32_e32 vcc_lo, 0xc2ce8ed0, v32
	s_delay_alu instid0(VALU_DEP_2) | instskip(SKIP_1) | instid1(VALU_DEP_1)
	v_fma_f32 v34, 0x3fb8aa3b, v32, -v33
	v_rndne_f32_e32 v35, v33
	v_dual_fmac_f32 v34, 0x32a5705f, v32 :: v_dual_sub_f32 v33, v33, v35
	s_delay_alu instid0(VALU_DEP_1)
	v_add_f32_e32 v33, v33, v34
	v_cvt_i32_f32_e32 v34, v35
	v_sub_f32_e32 v67, v67, v50
	v_sub_f32_e32 v68, v68, v50
	v_sub_f32_e32 v59, v59, v50
	v_exp_f32_e32 v33, v33
	v_sub_f32_e32 v61, v61, v50
	v_cmp_ngt_f32_e64 s3, 0xc2ce8ed0, v67
	v_sub_f32_e32 v65, v65, v50
	v_sub_f32_e32 v60, v60, v50
	;; [unrolled: 1-line block ×7, first 2 shown]
	v_ldexp_f32 v33, v33, v34
	v_sub_f32_e32 v45, v45, v50
	v_sub_f32_e32 v43, v43, v50
	v_sub_f32_e32 v42, v42, v50
	v_sub_f32_e32 v41, v41, v50
	s_wait_alu 0xfffd
	v_cndmask_b32_e32 v33, 0, v33, vcc_lo
	v_cmp_nlt_f32_e32 vcc_lo, 0x42b17218, v32
	v_sub_f32_e32 v40, v40, v50
	v_sub_f32_e32 v38, v38, v50
	v_sub_f32_e32 v66, v66, v50
	s_wait_alu 0xfffd
	v_dual_sub_f32 v64, v64, v50 :: v_dual_cndmask_b32 v33, 0x7f800000, v33
	v_cmp_le_f32_e32 vcc_lo, 0xc1a00000, v32
	v_sub_f32_e32 v62, v62, v50
	v_cmp_ngt_f32_e64 s4, 0xc2ce8ed0, v66
	v_sub_f32_e32 v58, v58, v50
	v_sub_f32_e32 v52, v52, v50
	s_wait_alu 0xfffd
	v_dual_cndmask_b32 v70, 0, v33 :: v_dual_sub_f32 v53, v53, v50
	v_sub_f32_e32 v56, v56, v50
	v_sub_f32_e32 v55, v55, v50
	;; [unrolled: 1-line block ×3, first 2 shown]
	s_delay_alu instid0(VALU_DEP_4) | instskip(SKIP_3) | instid1(VALU_DEP_4)
	v_cvt_f16_f32_e32 v32, v70
	v_sub_f32_e32 v44, v44, v50
	v_sub_f32_e32 v48, v48, v50
	;; [unrolled: 1-line block ×3, first 2 shown]
	v_dual_sub_f32 v39, v39, v50 :: v_dual_and_b32 v32, 0xffff, v32
	v_sub_f32_e32 v37, v37, v50
	s_delay_alu instid0(VALU_DEP_2) | instskip(NEXT) | instid1(VALU_DEP_1)
	v_mul_u32_u24_e32 v71, 0x10001, v32
	v_pk_mul_f16 v32, v20, v71
	v_pk_mul_f16 v20, v24, v71
	s_wait_alu 0xfffe
	v_add_co_u32 v24, vcc_lo, s0, v146
	v_pk_mul_f16 v33, v21, v71
	v_pk_mul_f16 v21, v25, v71
	s_wait_alu 0xfffd
	v_add_co_ci_u32_e64 v25, null, s1, v147, vcc_lo
	v_add_co_u32 v24, vcc_lo, v24, v247
	v_pk_mul_f16 v34, v22, v71
	v_pk_mul_f16 v22, v26, v71
	s_wait_alu 0xfffd
	v_add_co_ci_u32_e64 v25, null, 0, v25, vcc_lo
	;; [unrolled: 5-line block ×3, first 2 shown]
	v_pk_mul_f16 v28, v28, v71
	v_pk_mul_f16 v29, v29, v71
	;; [unrolled: 1-line block ×24, first 2 shown]
	v_add_co_u32 v71, vcc_lo, v26, v247
	s_wait_alu 0xfffd
	v_add_co_ci_u32_e64 v72, null, 0, v27, vcc_lo
	s_clause 0x1
	global_load_b128 v[24:27], v[24:25], off
	global_load_b128 v[71:74], v[71:72], off
	s_wait_loadcnt 0x1
	ds_store_b128 v233, v[24:27]
	s_wait_loadcnt 0x0
	ds_store_b128 v128, v[71:74]
	v_add_co_u32 v24, vcc_lo, s0, v152
	s_wait_alu 0xfffd
	v_add_co_ci_u32_e64 v25, null, s1, v153, vcc_lo
	s_delay_alu instid0(VALU_DEP_2) | instskip(SKIP_1) | instid1(VALU_DEP_2)
	v_add_co_u32 v24, vcc_lo, v24, v247
	s_wait_alu 0xfffd
	v_add_co_ci_u32_e64 v25, null, 0, v25, vcc_lo
	v_add_co_u32 v26, vcc_lo, s0, v177
	s_wait_alu 0xfffd
	v_add_co_ci_u32_e64 v27, null, s1, v178, vcc_lo
	s_delay_alu instid0(VALU_DEP_2) | instskip(SKIP_1) | instid1(VALU_DEP_2)
	v_add_co_u32 v71, vcc_lo, v26, v247
	s_wait_alu 0xfffd
	v_add_co_ci_u32_e64 v72, null, 0, v27, vcc_lo
	s_clause 0x1
	global_load_b128 v[24:27], v[24:25], off
	global_load_b128 v[71:74], v[71:72], off
	s_wait_loadcnt 0x1
	ds_store_b128 v228, v[24:27]
	s_wait_loadcnt 0x0
	ds_store_b128 v132, v[71:74]
	v_add_co_u32 v24, vcc_lo, s0, v179
	s_wait_alu 0xfffd
	v_add_co_ci_u32_e64 v25, null, s1, v180, vcc_lo
	s_delay_alu instid0(VALU_DEP_2) | instskip(SKIP_1) | instid1(VALU_DEP_2)
	v_add_co_u32 v24, vcc_lo, v24, v247
	s_wait_alu 0xfffd
	v_add_co_ci_u32_e64 v25, null, 0, v25, vcc_lo
	v_add_co_u32 v26, vcc_lo, s0, v181
	s_wait_alu 0xfffd
	v_add_co_ci_u32_e64 v27, null, s1, v182, vcc_lo
	s_delay_alu instid0(VALU_DEP_2) | instskip(SKIP_1) | instid1(VALU_DEP_2)
	;; [unrolled: 21-line block ×3, first 2 shown]
	v_add_co_u32 v71, vcc_lo, v26, v247
	s_wait_alu 0xfffd
	v_add_co_ci_u32_e64 v72, null, 0, v27, vcc_lo
	s_clause 0x1
	global_load_b128 v[24:27], v[24:25], off
	global_load_b128 v[71:74], v[71:72], off
	s_wait_loadcnt 0x1
	ds_store_b128 v165, v[24:27]
	s_wait_loadcnt 0x0
	ds_store_b128 v225, v[71:74]
	s_wait_dscnt 0x0
	s_barrier_signal -1
	s_barrier_wait -1
	global_inv scope:SCOPE_SE
	ds_load_2addr_b32 v[24:25], v185 offset0:136 offset1:152
	ds_load_2addr_b32 v[26:27], v185 offset0:204 offset1:220
	;; [unrolled: 1-line block ×4, first 2 shown]
	s_wait_dscnt 0x2
	v_perm_b32 v72, v26, v24, 0x7060302
	v_perm_b32 v76, v26, v24, 0x5040100
	;; [unrolled: 1-line block ×4, first 2 shown]
	ds_load_2addr_b32 v[24:25], v185 offset1:16
	ds_load_2addr_b32 v[26:27], v185 offset0:68 offset1:84
	s_wait_dscnt 0x2
	v_perm_b32 v81, v78, v75, 0x7060302
	v_perm_b32 v85, v78, v75, 0x5040100
	v_perm_b32 v73, v77, v74, 0x7060302
	v_perm_b32 v77, v77, v74, 0x5040100
	s_wait_dscnt 0x0
	v_perm_b32 v71, v26, v24, 0x7060302
	v_perm_b32 v75, v26, v24, 0x5040100
	v_add_nc_u32_e32 v24, v122, v120
	v_perm_b32 v79, v27, v25, 0x7060302
	v_perm_b32 v83, v27, v25, 0x5040100
	v_add_nc_u32_e32 v25, v122, v121
	ds_load_2addr_b32 v[26:27], v24 offset1:16
	ds_load_2addr_b32 v[86:87], v25 offset1:16
	s_wait_dscnt 0x0
	v_perm_b32 v78, v86, v26, 0x5040100
	v_perm_b32 v74, v86, v26, 0x7060302
	;; [unrolled: 1-line block ×4, first 2 shown]
	ds_load_2addr_b32 v[26:27], v88 offset0:48 offset1:64
	ds_load_2addr_b32 v[90:91], v88 offset0:116 offset1:132
	;; [unrolled: 1-line block ×4, first 2 shown]
	s_wait_dscnt 0x2
	v_perm_b32 v89, v90, v26, 0x7060302
	v_perm_b32 v93, v90, v26, 0x5040100
	s_wait_dscnt 0x0
	v_perm_b32 v88, v97, v94, 0x7060302
	v_perm_b32 v92, v97, v94, 0x5040100
	;; [unrolled: 1-line block ×6, first 2 shown]
	ds_load_2addr_b32 v[26:27], v185 offset0:32 offset1:48
	ds_load_2addr_b32 v[98:99], v185 offset0:100 offset1:116
	s_wait_dscnt 0x0
	v_perm_b32 v87, v98, v26, 0x7060302
	v_perm_b32 v91, v98, v26, 0x5040100
	;; [unrolled: 1-line block ×4, first 2 shown]
	ds_load_2addr_b32 v[26:27], v24 offset0:32 offset1:48
	ds_load_2addr_b32 v[98:99], v25 offset0:32 offset1:48
	s_wait_dscnt 0x0
	v_perm_b32 v90, v98, v26, 0x7060302
	v_perm_b32 v94, v98, v26, 0x5040100
	v_sub_f32_e32 v26, v69, v50
	v_perm_b32 v104, v99, v27, 0x5040100
	v_perm_b32 v98, v99, v27, 0x7060302
	s_delay_alu instid0(VALU_DEP_3) | instskip(NEXT) | instid1(VALU_DEP_1)
	v_mul_f32_e32 v27, 0x3fb8aa3b, v26
	v_fma_f32 v69, 0x3fb8aa3b, v26, -v27
	v_rndne_f32_e32 v99, v27
	s_delay_alu instid0(VALU_DEP_2) | instskip(NEXT) | instid1(VALU_DEP_2)
	v_fmac_f32_e32 v69, 0x32a5705f, v26
	v_sub_f32_e32 v27, v27, v99
	v_cvt_i32_f32_e32 v99, v99
	s_delay_alu instid0(VALU_DEP_2) | instskip(SKIP_2) | instid1(VALU_DEP_3)
	v_add_f32_e32 v27, v27, v69
	v_mul_f32_e32 v69, 0x3fb8aa3b, v68
	v_cmp_ngt_f32_e64 s5, 0xc2ce8ed0, v26
	v_exp_f32_e32 v27, v27
	s_delay_alu instid0(VALU_DEP_2) | instskip(SKIP_1) | instid1(VALU_DEP_2)
	v_fma_f32 v105, 0x3fb8aa3b, v68, -v69
	v_rndne_f32_e32 v106, v69
	v_fmac_f32_e32 v105, 0x32a5705f, v68
	s_delay_alu instid0(VALU_DEP_2) | instskip(NEXT) | instid1(TRANS32_DEP_1)
	v_sub_f32_e32 v69, v69, v106
	v_ldexp_f32 v27, v27, v99
	v_cvt_i32_f32_e32 v99, v106
	s_delay_alu instid0(VALU_DEP_3)
	v_add_f32_e32 v69, v69, v105
	v_mul_f32_e32 v105, 0x3fb8aa3b, v67
	s_wait_alu 0xf1ff
	v_cndmask_b32_e64 v27, 0, v27, s5
	v_cmp_nlt_f32_e64 s5, 0x42b17218, v26
	v_exp_f32_e32 v69, v69
	v_fma_f32 v107, 0x3fb8aa3b, v67, -v105
	v_rndne_f32_e32 v108, v105
	s_delay_alu instid0(VALU_DEP_2) | instskip(NEXT) | instid1(VALU_DEP_2)
	v_fmac_f32_e32 v107, 0x32a5705f, v67
	v_sub_f32_e32 v105, v105, v108
	v_cmp_ngt_f32_e32 vcc_lo, 0xc2ce8ed0, v68
	s_delay_alu instid0(TRANS32_DEP_1) | instskip(NEXT) | instid1(VALU_DEP_3)
	v_ldexp_f32 v69, v69, v99
	v_add_f32_e32 v105, v105, v107
	v_mul_f32_e32 v107, 0x3fb8aa3b, v66
	s_wait_alu 0xfffd
	s_delay_alu instid0(VALU_DEP_3)
	v_cndmask_b32_e32 v69, 0, v69, vcc_lo
	v_cmp_nlt_f32_e32 vcc_lo, 0x42b17218, v68
	v_exp_f32_e32 v99, v105
	v_fma_f32 v109, 0x3fb8aa3b, v66, -v107
	v_rndne_f32_e32 v110, v107
	v_cvt_i32_f32_e32 v105, v108
	s_delay_alu instid0(VALU_DEP_3) | instskip(NEXT) | instid1(VALU_DEP_3)
	v_fmac_f32_e32 v109, 0x32a5705f, v66
	v_sub_f32_e32 v107, v107, v110
	v_cvt_i32_f32_e32 v106, v110
	s_delay_alu instid0(TRANS32_DEP_1) | instid1(VALU_DEP_4)
	v_ldexp_f32 v99, v99, v105
	s_delay_alu instid0(VALU_DEP_3) | instskip(NEXT) | instid1(VALU_DEP_2)
	v_add_f32_e32 v107, v107, v109
	v_cndmask_b32_e64 v68, 0, v99, s3
	v_cmp_nlt_f32_e64 s3, 0x42b17218, v67
	s_delay_alu instid0(VALU_DEP_3) | instskip(SKIP_1) | instid1(VALU_DEP_1)
	v_exp_f32_e32 v105, v107
	s_wait_alu 0xf1ff
	v_cndmask_b32_e64 v26, 0x7f800000, v68, s3
	v_cmp_ngt_f32_e64 s3, 0xc2ce8ed0, v62
	s_delay_alu instid0(TRANS32_DEP_1) | instskip(NEXT) | instid1(VALU_DEP_1)
	v_ldexp_f32 v105, v105, v106
	v_cndmask_b32_e64 v67, 0, v105, s4
	v_cmp_nlt_f32_e64 s4, 0x42b17218, v66
	v_cndmask_b32_e64 v66, 0x7f800000, v27, s5
	s_wait_alu 0xf1ff
	s_delay_alu instid0(VALU_DEP_2)
	v_cndmask_b32_e64 v27, 0x7f800000, v67, s4
	s_wait_alu 0xfffd
	v_cndmask_b32_e32 v67, 0x7f800000, v69, vcc_lo
	v_cvt_f16_f32_e32 v68, v66
	v_cvt_f16_f32_e32 v69, v26
	v_cmp_ngt_f32_e32 vcc_lo, 0xc2ce8ed0, v64
	v_cvt_f16_f32_e32 v99, v27
	v_cvt_f16_f32_e32 v105, v67
	s_delay_alu instid0(VALU_DEP_2) | instskip(NEXT) | instid1(VALU_DEP_2)
	v_pack_b32_f16 v108, v69, v99
	v_pack_b32_f16 v107, v68, v105
	v_mul_f32_e32 v68, 0x3fb8aa3b, v64
	s_delay_alu instid0(VALU_DEP_1) | instskip(SKIP_1) | instid1(VALU_DEP_1)
	v_fma_f32 v69, 0x3fb8aa3b, v64, -v68
	v_rndne_f32_e32 v99, v68
	v_dual_fmac_f32 v69, 0x32a5705f, v64 :: v_dual_sub_f32 v68, v68, v99
	v_cvt_i32_f32_e32 v99, v99
	s_delay_alu instid0(VALU_DEP_2) | instskip(NEXT) | instid1(VALU_DEP_1)
	v_add_f32_e32 v68, v68, v69
	v_exp_f32_e32 v68, v68
	s_delay_alu instid0(TRANS32_DEP_1) | instskip(SKIP_1) | instid1(VALU_DEP_1)
	v_ldexp_f32 v68, v68, v99
	s_wait_alu 0xfffd
	v_dual_mul_f32 v69, 0x3fb8aa3b, v62 :: v_dual_cndmask_b32 v68, 0, v68
	s_delay_alu instid0(VALU_DEP_1) | instskip(SKIP_2) | instid1(VALU_DEP_3)
	v_fma_f32 v105, 0x3fb8aa3b, v62, -v69
	v_rndne_f32_e32 v106, v69
	v_cmp_nlt_f32_e32 vcc_lo, 0x42b17218, v64
	v_fmac_f32_e32 v105, 0x32a5705f, v62
	s_delay_alu instid0(VALU_DEP_3) | instskip(SKIP_1) | instid1(VALU_DEP_2)
	v_sub_f32_e32 v69, v69, v106
	v_cvt_i32_f32_e32 v99, v106
	v_add_f32_e32 v69, v69, v105
	s_delay_alu instid0(VALU_DEP_1) | instskip(NEXT) | instid1(TRANS32_DEP_1)
	v_exp_f32_e32 v69, v69
	v_ldexp_f32 v69, v69, v99
	s_delay_alu instid0(VALU_DEP_1) | instskip(SKIP_2) | instid1(VALU_DEP_1)
	v_cndmask_b32_e64 v64, 0, v69, s3
	v_cmp_nlt_f32_e64 s3, 0x42b17218, v62
	s_wait_alu 0xf1ff
	v_cndmask_b32_e64 v62, 0x7f800000, v64, s3
	s_wait_alu 0xfffd
	v_cndmask_b32_e32 v64, 0x7f800000, v68, vcc_lo
	v_cmp_ngt_f32_e32 vcc_lo, 0xc2ce8ed0, v59
	v_cmp_ngt_f32_e64 s3, 0xc2ce8ed0, v58
	v_cvt_f16_f32_e32 v68, v62
	s_delay_alu instid0(VALU_DEP_4) | instskip(NEXT) | instid1(VALU_DEP_1)
	v_cvt_f16_f32_e32 v69, v64
	v_pack_b32_f16 v106, v68, v69
	v_mul_f32_e32 v68, 0x3fb8aa3b, v59
	s_delay_alu instid0(VALU_DEP_1) | instskip(SKIP_1) | instid1(VALU_DEP_2)
	v_fma_f32 v69, 0x3fb8aa3b, v59, -v68
	v_rndne_f32_e32 v99, v68
	v_fmac_f32_e32 v69, 0x32a5705f, v59
	s_delay_alu instid0(VALU_DEP_2) | instskip(SKIP_1) | instid1(VALU_DEP_2)
	v_sub_f32_e32 v68, v68, v99
	v_cvt_i32_f32_e32 v99, v99
	v_dual_add_f32 v68, v68, v69 :: v_dual_mul_f32 v69, 0x3fb8aa3b, v58
	s_delay_alu instid0(VALU_DEP_1) | instskip(NEXT) | instid1(VALU_DEP_1)
	v_exp_f32_e32 v68, v68
	v_fma_f32 v105, 0x3fb8aa3b, v58, -v69
	v_rndne_f32_e32 v109, v69
	s_delay_alu instid0(VALU_DEP_2) | instskip(NEXT) | instid1(VALU_DEP_2)
	v_fmac_f32_e32 v105, 0x32a5705f, v58
	v_sub_f32_e32 v69, v69, v109
	s_delay_alu instid0(TRANS32_DEP_1) | instskip(SKIP_2) | instid1(VALU_DEP_2)
	v_ldexp_f32 v68, v68, v99
	v_cvt_i32_f32_e32 v99, v109
	s_wait_alu 0xfffd
	v_dual_add_f32 v69, v69, v105 :: v_dual_cndmask_b32 v68, 0, v68
	v_cmp_nlt_f32_e32 vcc_lo, 0x42b17218, v59
	s_delay_alu instid0(VALU_DEP_2) | instskip(NEXT) | instid1(TRANS32_DEP_1)
	v_exp_f32_e32 v69, v69
	v_ldexp_f32 v69, v69, v99
	s_wait_alu 0xf1ff
	s_delay_alu instid0(VALU_DEP_1) | instskip(SKIP_2) | instid1(VALU_DEP_1)
	v_cndmask_b32_e64 v59, 0, v69, s3
	v_cmp_nlt_f32_e64 s3, 0x42b17218, v58
	s_wait_alu 0xf1ff
	v_cndmask_b32_e64 v58, 0x7f800000, v59, s3
	s_wait_alu 0xfffd
	v_cndmask_b32_e32 v59, 0x7f800000, v68, vcc_lo
	s_delay_alu instid0(VALU_DEP_2) | instskip(NEXT) | instid1(VALU_DEP_2)
	v_cvt_f16_f32_e32 v68, v58
	v_cvt_f16_f32_e32 v69, v59
	s_delay_alu instid0(VALU_DEP_1) | instskip(SKIP_1) | instid1(VALU_DEP_2)
	v_pack_b32_f16 v105, v68, v69
	v_mul_f32_e32 v68, 0x3fb8aa3b, v65
	v_wmma_f16_16x16x16_f16 v[32:35], v[71:74], v[105:108], v[32:35]
	s_delay_alu instid0(VALU_DEP_2) | instskip(SKIP_4) | instid1(VALU_DEP_4)
	v_fma_f32 v69, 0x3fb8aa3b, v65, -v68
	v_rndne_f32_e32 v71, v68
	v_wmma_f16_16x16x16_f16 v[28:31], v[75:78], v[105:108], v[28:31]
	v_wmma_f16_16x16x16_f16 v[12:15], v[91:94], v[105:108], v[12:15]
	v_add_nc_u32_e32 v94, 0x1400, v185
	v_dual_fmac_f32 v69, 0x32a5705f, v65 :: v_dual_sub_f32 v68, v68, v71
	v_cvt_i32_f32_e32 v71, v71
	v_wmma_f16_16x16x16_f16 v[0:3], v[95:98], v[105:108], v[0:3]
	v_add_nc_u32_e32 v96, 0x1000, v25
	v_add_nc_u32_e32 v97, 0x1000, v185
	v_dual_add_f32 v68, v68, v69 :: v_dual_mul_f32 v69, 0x3fb8aa3b, v63
	v_add_nc_u32_e32 v95, 0x1000, v24
	v_wmma_f16_16x16x16_f16 v[20:23], v[83:86], v[105:108], v[20:23]
	v_wmma_f16_16x16x16_f16 v[16:19], v[79:82], v[105:108], v[16:19]
	s_delay_alu instid0(VALU_DEP_4)
	v_exp_f32_e32 v68, v68
	v_fma_f32 v72, 0x3fb8aa3b, v63, -v69
	v_rndne_f32_e32 v73, v69
	v_wmma_f16_16x16x16_f16 v[8:11], v[87:90], v[105:108], v[8:11]
	v_wmma_f16_16x16x16_f16 v[4:7], v[101:104], v[105:108], v[4:7]
	v_add_nc_u32_e32 v98, 0x2000, v185
	s_delay_alu instid0(VALU_DEP_4) | instskip(NEXT) | instid1(TRANS32_DEP_1)
	v_dual_fmac_f32 v72, 0x32a5705f, v63 :: v_dual_sub_f32 v69, v69, v73
	v_ldexp_f32 v68, v68, v71
	v_cvt_i32_f32_e32 v71, v73
	s_delay_alu instid0(VALU_DEP_3) | instskip(SKIP_1) | instid1(VALU_DEP_2)
	v_dual_add_f32 v69, v69, v72 :: v_dual_mul_f32 v72, 0x3fb8aa3b, v61
	v_cmp_ngt_f32_e64 s5, 0xc2ce8ed0, v65
	v_exp_f32_e32 v69, v69
	s_delay_alu instid0(VALU_DEP_2) | instskip(SKIP_1) | instid1(VALU_DEP_2)
	v_fma_f32 v74, 0x3fb8aa3b, v61, -v72
	v_rndne_f32_e32 v75, v72
	v_fmac_f32_e32 v74, 0x32a5705f, v61
	s_delay_alu instid0(VALU_DEP_2) | instskip(NEXT) | instid1(TRANS32_DEP_1)
	v_sub_f32_e32 v72, v72, v75
	v_ldexp_f32 v69, v69, v71
	s_delay_alu instid0(VALU_DEP_2) | instskip(SKIP_2) | instid1(VALU_DEP_3)
	v_add_f32_e32 v72, v72, v74
	v_mul_f32_e32 v74, 0x3fb8aa3b, v60
	v_cmp_ngt_f32_e32 vcc_lo, 0xc2ce8ed0, v63
	v_exp_f32_e32 v71, v72
	s_delay_alu instid0(VALU_DEP_2)
	v_rndne_f32_e32 v77, v74
	s_wait_alu 0xfffd
	v_cndmask_b32_e32 v69, 0, v69, vcc_lo
	v_fma_f32 v76, 0x3fb8aa3b, v60, -v74
	v_cvt_i32_f32_e32 v72, v75
	v_cmp_nlt_f32_e32 vcc_lo, 0x42b17218, v63
	v_sub_f32_e32 v74, v74, v77
	v_cmp_ngt_f32_e64 s4, 0xc2ce8ed0, v60
	v_fmac_f32_e32 v76, 0x32a5705f, v60
	v_ldexp_f32 v71, v71, v72
	v_cvt_i32_f32_e32 v72, v77
	s_delay_alu instid0(VALU_DEP_3) | instskip(SKIP_1) | instid1(VALU_DEP_2)
	v_add_f32_e32 v74, v74, v76
	v_cmp_ngt_f32_e64 s3, 0xc2ce8ed0, v61
	v_exp_f32_e32 v63, v74
	s_wait_alu 0xf1ff
	s_delay_alu instid0(VALU_DEP_1) | instskip(SKIP_1) | instid1(TRANS32_DEP_1)
	v_cndmask_b32_e64 v71, 0, v71, s3
	v_cmp_nlt_f32_e64 s3, 0x42b17218, v61
	v_ldexp_f32 v63, v63, v72
	s_delay_alu instid0(VALU_DEP_1)
	v_cndmask_b32_e64 v61, 0, v63, s4
	v_cmp_nlt_f32_e64 s4, 0x42b17218, v60
	v_cndmask_b32_e64 v60, 0, v68, s5
	v_cmp_nlt_f32_e64 s5, 0x42b17218, v65
	s_wait_alu 0xfffd
	v_cndmask_b32_e32 v65, 0x7f800000, v69, vcc_lo
	s_wait_alu 0xf1ff
	v_cndmask_b32_e64 v61, 0x7f800000, v61, s4
	v_cmp_ngt_f32_e64 s4, 0xc2ce8ed0, v49
	v_cndmask_b32_e64 v63, 0x7f800000, v60, s5
	v_cndmask_b32_e64 v60, 0x7f800000, v71, s3
	v_cvt_f16_f32_e32 v72, v65
	v_cvt_f16_f32_e32 v71, v61
	v_cmp_ngt_f32_e64 s3, 0xc2ce8ed0, v56
	v_cvt_f16_f32_e32 v68, v63
	v_cvt_f16_f32_e32 v69, v60
	s_delay_alu instid0(VALU_DEP_2) | instskip(SKIP_1) | instid1(VALU_DEP_3)
	v_pack_b32_f16 v73, v68, v72
	v_mul_f32_e32 v68, 0x3fb8aa3b, v57
	v_pack_b32_f16 v74, v69, v71
	s_delay_alu instid0(VALU_DEP_2) | instskip(SKIP_1) | instid1(VALU_DEP_1)
	v_fma_f32 v69, 0x3fb8aa3b, v57, -v68
	v_rndne_f32_e32 v71, v68
	v_dual_fmac_f32 v69, 0x32a5705f, v57 :: v_dual_sub_f32 v68, v68, v71
	v_cvt_i32_f32_e32 v71, v71
	s_delay_alu instid0(VALU_DEP_2) | instskip(SKIP_2) | instid1(VALU_DEP_3)
	v_add_f32_e32 v68, v68, v69
	v_cmp_ngt_f32_e32 vcc_lo, 0xc2ce8ed0, v57
	v_mul_f32_e32 v69, 0x3fb8aa3b, v56
	v_exp_f32_e32 v68, v68
	s_delay_alu instid0(VALU_DEP_1) | instskip(SKIP_1) | instid1(VALU_DEP_1)
	v_fma_f32 v72, 0x3fb8aa3b, v56, -v69
	v_rndne_f32_e32 v75, v69
	v_dual_fmac_f32 v72, 0x32a5705f, v56 :: v_dual_sub_f32 v69, v69, v75
	s_delay_alu instid0(TRANS32_DEP_1) | instskip(SKIP_1) | instid1(VALU_DEP_3)
	v_ldexp_f32 v68, v68, v71
	v_cvt_i32_f32_e32 v71, v75
	v_add_f32_e32 v69, v69, v72
	s_wait_alu 0xfffd
	s_delay_alu instid0(VALU_DEP_3) | instskip(SKIP_1) | instid1(VALU_DEP_3)
	v_cndmask_b32_e32 v68, 0, v68, vcc_lo
	v_cmp_nlt_f32_e32 vcc_lo, 0x42b17218, v57
	v_exp_f32_e32 v69, v69
	s_delay_alu instid0(TRANS32_DEP_1) | instskip(SKIP_1) | instid1(VALU_DEP_1)
	v_ldexp_f32 v69, v69, v71
	s_wait_alu 0xf1ff
	v_cndmask_b32_e64 v57, 0, v69, s3
	v_cmp_nlt_f32_e64 s3, 0x42b17218, v56
	s_wait_alu 0xf1ff
	s_delay_alu instid0(VALU_DEP_1)
	v_cndmask_b32_e64 v56, 0x7f800000, v57, s3
	s_wait_alu 0xfffd
	v_cndmask_b32_e32 v57, 0x7f800000, v68, vcc_lo
	v_cmp_ngt_f32_e32 vcc_lo, 0xc2ce8ed0, v55
	v_cmp_ngt_f32_e64 s3, 0xc2ce8ed0, v54
	v_cvt_f16_f32_e32 v68, v56
	s_delay_alu instid0(VALU_DEP_4) | instskip(NEXT) | instid1(VALU_DEP_1)
	v_cvt_f16_f32_e32 v69, v57
	v_pack_b32_f16 v72, v68, v69
	v_mul_f32_e32 v68, 0x3fb8aa3b, v55
	s_delay_alu instid0(VALU_DEP_1) | instskip(SKIP_1) | instid1(VALU_DEP_2)
	v_fma_f32 v69, 0x3fb8aa3b, v55, -v68
	v_rndne_f32_e32 v71, v68
	v_fmac_f32_e32 v69, 0x32a5705f, v55
	s_delay_alu instid0(VALU_DEP_2) | instskip(SKIP_1) | instid1(VALU_DEP_2)
	v_sub_f32_e32 v68, v68, v71
	v_cvt_i32_f32_e32 v71, v71
	v_add_f32_e32 v68, v68, v69
	s_delay_alu instid0(VALU_DEP_1) | instskip(NEXT) | instid1(TRANS32_DEP_1)
	v_exp_f32_e32 v68, v68
	v_ldexp_f32 v68, v68, v71
	s_wait_alu 0xfffd
	s_delay_alu instid0(VALU_DEP_1) | instskip(NEXT) | instid1(VALU_DEP_1)
	v_dual_mul_f32 v69, 0x3fb8aa3b, v54 :: v_dual_cndmask_b32 v68, 0, v68
	v_fma_f32 v75, 0x3fb8aa3b, v54, -v69
	v_rndne_f32_e32 v76, v69
	v_cmp_nlt_f32_e32 vcc_lo, 0x42b17218, v55
	s_delay_alu instid0(VALU_DEP_3) | instskip(NEXT) | instid1(VALU_DEP_3)
	v_fmac_f32_e32 v75, 0x32a5705f, v54
	v_sub_f32_e32 v69, v69, v76
	v_cvt_i32_f32_e32 v71, v76
	s_delay_alu instid0(VALU_DEP_2) | instskip(NEXT) | instid1(VALU_DEP_1)
	v_add_f32_e32 v69, v69, v75
	v_exp_f32_e32 v69, v69
	s_delay_alu instid0(TRANS32_DEP_1) | instskip(SKIP_1) | instid1(VALU_DEP_1)
	v_ldexp_f32 v69, v69, v71
	s_wait_alu 0xf1ff
	v_cndmask_b32_e64 v55, 0, v69, s3
	v_cmp_nlt_f32_e64 s3, 0x42b17218, v54
	s_wait_alu 0xf1ff
	s_delay_alu instid0(VALU_DEP_1) | instskip(SKIP_3) | instid1(VALU_DEP_3)
	v_cndmask_b32_e64 v54, 0x7f800000, v55, s3
	s_wait_alu 0xfffd
	v_cndmask_b32_e32 v55, 0x7f800000, v68, vcc_lo
	v_cmp_ngt_f32_e32 vcc_lo, 0xc2ce8ed0, v52
	v_cvt_f16_f32_e32 v68, v54
	s_delay_alu instid0(VALU_DEP_3) | instskip(NEXT) | instid1(VALU_DEP_1)
	v_cvt_f16_f32_e32 v69, v55
	v_pack_b32_f16 v71, v68, v69
	ds_load_2addr_b32 v[68:69], v94 offset0:80 offset1:96
	ds_load_2addr_b32 v[82:83], v95 offset0:64 offset1:80
	;; [unrolled: 1-line block ×8, first 2 shown]
	s_wait_dscnt 0x5
	v_perm_b32 v78, v84, v82, 0x5040100
	s_wait_dscnt 0x4
	v_perm_b32 v77, v79, v68, 0x5040100
	s_wait_dscnt 0x2
	v_perm_b32 v76, v88, v86, 0x5040100
	s_wait_dscnt 0x0
	v_perm_b32 v75, v92, v90, 0x5040100
	v_perm_b32 v81, v80, v69, 0x5040100
	s_delay_alu instid0(VALU_DEP_2)
	v_wmma_f16_16x16x16_f16 v[28:31], v[75:78], v[71:74], v[28:31]
	v_perm_b32 v75, v92, v90, 0x7060302
	v_perm_b32 v76, v88, v86, 0x7060302
	;; [unrolled: 1-line block ×6, first 2 shown]
	s_delay_alu instid0(VALU_DEP_3)
	v_wmma_f16_16x16x16_f16 v[32:35], v[75:78], v[71:74], v[32:35]
	v_perm_b32 v77, v80, v69, 0x7060302
	v_perm_b32 v80, v89, v87, 0x5040100
	;; [unrolled: 1-line block ×5, first 2 shown]
	s_delay_alu instid0(VALU_DEP_4)
	v_wmma_f16_16x16x16_f16 v[20:23], v[79:82], v[71:74], v[20:23]
	ds_load_2addr_b32 v[68:69], v94 offset0:44 offset1:60
	ds_load_2addr_b32 v[82:83], v94 offset0:112 offset1:128
	;; [unrolled: 1-line block ×4, first 2 shown]
	v_wmma_f16_16x16x16_f16 v[16:19], v[75:78], v[71:74], v[16:19]
	s_wait_dscnt 0x1
	v_perm_b32 v93, v86, v83, 0x5040100
	s_wait_dscnt 0x0
	v_perm_b32 v80, v68, v89, 0x7060302
	v_perm_b32 v84, v68, v89, 0x5040100
	;; [unrolled: 1-line block ×4, first 2 shown]
	ds_load_2addr_b32 v[68:69], v97 offset0:96 offset1:112
	ds_load_2addr_b32 v[90:91], v97 offset0:164 offset1:180
	v_perm_b32 v89, v86, v83, 0x7060302
	v_perm_b32 v81, v85, v82, 0x7060302
	;; [unrolled: 1-line block ×3, first 2 shown]
	v_add_nc_u32_e32 v97, 0x2000, v25
	s_wait_dscnt 0x0
	v_perm_b32 v79, v90, v68, 0x7060302
	v_perm_b32 v83, v90, v68, 0x5040100
	;; [unrolled: 1-line block ×4, first 2 shown]
	ds_load_2addr_b32 v[68:69], v95 offset0:96 offset1:112
	ds_load_2addr_b32 v[94:95], v96 offset0:96 offset1:112
	s_wait_dscnt 0x0
	v_perm_b32 v86, v94, v68, 0x5040100
	v_perm_b32 v82, v94, v68, 0x7060302
	;; [unrolled: 1-line block ×4, first 2 shown]
	v_mul_f32_e32 v68, 0x3fb8aa3b, v53
	v_wmma_f16_16x16x16_f16 v[12:15], v[83:86], v[71:74], v[12:15]
	v_wmma_f16_16x16x16_f16 v[8:11], v[79:82], v[71:74], v[8:11]
	;; [unrolled: 1-line block ×4, first 2 shown]
	v_fma_f32 v69, 0x3fb8aa3b, v53, -v68
	v_rndne_f32_e32 v71, v68
	v_add_nc_u32_e32 v88, 0x2400, v185
	v_add_nc_u32_e32 v90, 0x2000, v24
	s_delay_alu instid0(VALU_DEP_3) | instskip(SKIP_1) | instid1(VALU_DEP_2)
	v_dual_fmac_f32 v69, 0x32a5705f, v53 :: v_dual_sub_f32 v68, v68, v71
	v_cvt_i32_f32_e32 v71, v71
	v_dual_add_f32 v68, v68, v69 :: v_dual_mul_f32 v69, 0x3fb8aa3b, v52
	s_delay_alu instid0(VALU_DEP_1) | instskip(NEXT) | instid1(VALU_DEP_1)
	v_exp_f32_e32 v68, v68
	v_fma_f32 v72, 0x3fb8aa3b, v52, -v69
	v_rndne_f32_e32 v73, v69
	s_delay_alu instid0(VALU_DEP_1) | instskip(SKIP_1) | instid1(TRANS32_DEP_1)
	v_dual_fmac_f32 v72, 0x32a5705f, v52 :: v_dual_sub_f32 v69, v69, v73
	v_cmp_ngt_f32_e64 s5, 0xc2ce8ed0, v53
	v_ldexp_f32 v68, v68, v71
	v_cvt_i32_f32_e32 v71, v73
	s_delay_alu instid0(VALU_DEP_4) | instskip(NEXT) | instid1(VALU_DEP_1)
	v_add_f32_e32 v69, v69, v72
	v_exp_f32_e32 v69, v69
	s_delay_alu instid0(TRANS32_DEP_1) | instskip(SKIP_2) | instid1(VALU_DEP_2)
	v_ldexp_f32 v69, v69, v71
	v_mul_f32_e32 v71, 0x3fb8aa3b, v51
	s_wait_alu 0xfffd
	v_cndmask_b32_e32 v69, 0, v69, vcc_lo
	s_delay_alu instid0(VALU_DEP_2) | instskip(SKIP_3) | instid1(VALU_DEP_3)
	v_fma_f32 v72, 0x3fb8aa3b, v51, -v71
	v_rndne_f32_e32 v73, v71
	v_cmp_nlt_f32_e32 vcc_lo, 0x42b17218, v52
	v_mul_f32_e32 v52, 0x3fb8aa3b, v49
	v_dual_fmac_f32 v72, 0x32a5705f, v51 :: v_dual_sub_f32 v71, v71, v73
	s_wait_alu 0xfffd
	v_cndmask_b32_e32 v92, 0x7f800000, v69, vcc_lo
	s_delay_alu instid0(VALU_DEP_3) | instskip(SKIP_3) | instid1(VALU_DEP_4)
	v_rndne_f32_e32 v74, v52
	v_cmp_ngt_f32_e32 vcc_lo, 0xc2ce8ed0, v48
	v_add_f32_e32 v71, v71, v72
	v_fma_f32 v72, 0x3fb8aa3b, v49, -v52
	v_sub_f32_e32 v52, v52, v74
	v_cvt_f16_f32_e32 v69, v92
	s_delay_alu instid0(VALU_DEP_4) | instskip(NEXT) | instid1(VALU_DEP_3)
	v_exp_f32_e32 v71, v71
	v_fmac_f32_e32 v72, 0x32a5705f, v49
	v_cmp_ngt_f32_e64 s3, 0xc2ce8ed0, v51
	s_delay_alu instid0(VALU_DEP_2) | instskip(SKIP_1) | instid1(VALU_DEP_2)
	v_add_f32_e32 v52, v52, v72
	v_cvt_i32_f32_e32 v72, v73
	v_exp_f32_e32 v52, v52
	s_delay_alu instid0(TRANS32_DEP_2) | instid1(VALU_DEP_1)
	v_ldexp_f32 v71, v71, v72
	v_cvt_i32_f32_e32 v72, v74
	s_wait_alu 0xf1ff
	s_delay_alu instid0(VALU_DEP_2)
	v_cndmask_b32_e64 v71, 0, v71, s3
	v_cmp_nlt_f32_e64 s3, 0x42b17218, v51
	s_delay_alu instid0(TRANS32_DEP_1) | instid1(VALU_DEP_3)
	v_ldexp_f32 v52, v52, v72
	s_delay_alu instid0(VALU_DEP_1)
	v_cndmask_b32_e64 v51, 0, v52, s4
	v_cmp_nlt_f32_e64 s4, 0x42b17218, v49
	v_cndmask_b32_e64 v49, 0, v68, s5
	v_cmp_nlt_f32_e64 s5, 0x42b17218, v53
	s_wait_alu 0xf1ff
	v_cndmask_b32_e64 v53, 0x7f800000, v71, s3
	v_cndmask_b32_e64 v91, 0x7f800000, v51, s4
	s_delay_alu instid0(VALU_DEP_3) | instskip(NEXT) | instid1(VALU_DEP_3)
	v_cndmask_b32_e64 v49, 0x7f800000, v49, s5
	v_cvt_f16_f32_e32 v52, v53
	v_cmp_ngt_f32_e64 s5, 0xc2ce8ed0, v44
	s_delay_alu instid0(VALU_DEP_4) | instskip(NEXT) | instid1(VALU_DEP_4)
	v_cvt_f16_f32_e32 v68, v91
	v_cvt_f16_f32_e32 v51, v49
	s_delay_alu instid0(VALU_DEP_2) | instskip(NEXT) | instid1(VALU_DEP_2)
	v_pack_b32_f16 v74, v52, v68
	v_pack_b32_f16 v73, v51, v69
	v_mul_f32_e32 v51, 0x3fb8aa3b, v48
	s_delay_alu instid0(VALU_DEP_1) | instskip(SKIP_1) | instid1(VALU_DEP_2)
	v_fma_f32 v52, 0x3fb8aa3b, v48, -v51
	v_rndne_f32_e32 v68, v51
	v_fmac_f32_e32 v52, 0x32a5705f, v48
	s_delay_alu instid0(VALU_DEP_2) | instskip(SKIP_1) | instid1(VALU_DEP_2)
	v_sub_f32_e32 v51, v51, v68
	v_cvt_i32_f32_e32 v68, v68
	v_add_f32_e32 v51, v51, v52
	s_delay_alu instid0(VALU_DEP_1) | instskip(NEXT) | instid1(TRANS32_DEP_1)
	v_exp_f32_e32 v51, v51
	v_ldexp_f32 v51, v51, v68
	s_wait_alu 0xfffd
	s_delay_alu instid0(VALU_DEP_1) | instskip(SKIP_2) | instid1(VALU_DEP_2)
	v_cndmask_b32_e32 v51, 0, v51, vcc_lo
	v_cmp_nlt_f32_e32 vcc_lo, 0x42b17218, v48
	s_wait_alu 0xfffd
	v_cndmask_b32_e32 v94, 0x7f800000, v51, vcc_lo
	v_mul_f32_e32 v52, 0x3fb8aa3b, v47
	v_cmp_ngt_f32_e64 s3, 0xc2ce8ed0, v47
	v_cmp_ngt_f32_e32 vcc_lo, 0xc2ce8ed0, v46
	s_delay_alu instid0(VALU_DEP_3) | instskip(SKIP_1) | instid1(VALU_DEP_2)
	v_fma_f32 v69, 0x3fb8aa3b, v47, -v52
	v_rndne_f32_e32 v71, v52
	v_fmac_f32_e32 v69, 0x32a5705f, v47
	s_delay_alu instid0(VALU_DEP_2) | instskip(SKIP_1) | instid1(VALU_DEP_2)
	v_sub_f32_e32 v52, v52, v71
	v_cvt_i32_f32_e32 v68, v71
	v_add_f32_e32 v52, v52, v69
	s_delay_alu instid0(VALU_DEP_1) | instskip(NEXT) | instid1(TRANS32_DEP_1)
	v_exp_f32_e32 v52, v52
	v_ldexp_f32 v52, v52, v68
	s_wait_alu 0xf1ff
	s_delay_alu instid0(VALU_DEP_1) | instskip(SKIP_2) | instid1(VALU_DEP_1)
	v_cndmask_b32_e64 v48, 0, v52, s3
	v_cmp_nlt_f32_e64 s3, 0x42b17218, v47
	s_wait_alu 0xf1ff
	v_cndmask_b32_e64 v93, 0x7f800000, v48, s3
	v_cvt_f16_f32_e32 v48, v94
	s_delay_alu instid0(VALU_DEP_2) | instskip(NEXT) | instid1(VALU_DEP_1)
	v_cvt_f16_f32_e32 v47, v93
	v_pack_b32_f16 v72, v47, v48
	v_mul_f32_e32 v47, 0x3fb8aa3b, v46
	s_delay_alu instid0(VALU_DEP_1) | instskip(SKIP_1) | instid1(VALU_DEP_1)
	v_fma_f32 v48, 0x3fb8aa3b, v46, -v47
	v_rndne_f32_e32 v51, v47
	v_dual_fmac_f32 v48, 0x32a5705f, v46 :: v_dual_sub_f32 v47, v47, v51
	v_cvt_i32_f32_e32 v51, v51
	s_delay_alu instid0(VALU_DEP_2) | instskip(NEXT) | instid1(VALU_DEP_1)
	v_add_f32_e32 v47, v47, v48
	v_exp_f32_e32 v47, v47
	s_delay_alu instid0(TRANS32_DEP_1) | instskip(SKIP_1) | instid1(VALU_DEP_1)
	v_ldexp_f32 v47, v47, v51
	s_wait_alu 0xfffd
	v_cndmask_b32_e32 v47, 0, v47, vcc_lo
	v_cmp_nlt_f32_e32 vcc_lo, 0x42b17218, v46
	s_wait_alu 0xfffd
	s_delay_alu instid0(VALU_DEP_2) | instskip(SKIP_2) | instid1(VALU_DEP_2)
	v_cndmask_b32_e32 v96, 0x7f800000, v47, vcc_lo
	v_mul_f32_e32 v48, 0x3fb8aa3b, v45
	v_cmp_ngt_f32_e64 s3, 0xc2ce8ed0, v45
	v_fma_f32 v52, 0x3fb8aa3b, v45, -v48
	v_rndne_f32_e32 v68, v48
	s_delay_alu instid0(VALU_DEP_2) | instskip(NEXT) | instid1(VALU_DEP_2)
	v_fmac_f32_e32 v52, 0x32a5705f, v45
	v_sub_f32_e32 v48, v48, v68
	v_cvt_i32_f32_e32 v51, v68
	s_delay_alu instid0(VALU_DEP_2) | instskip(NEXT) | instid1(VALU_DEP_1)
	v_add_f32_e32 v48, v48, v52
	v_exp_f32_e32 v48, v48
	s_delay_alu instid0(TRANS32_DEP_1)
	v_ldexp_f32 v48, v48, v51
	ds_load_2addr_b32 v[51:52], v88 offset0:144 offset1:160
	ds_load_2addr_b32 v[68:69], v90 offset0:128 offset1:144
	;; [unrolled: 1-line block ×8, first 2 shown]
	s_wait_alu 0xf1ff
	v_cndmask_b32_e64 v46, 0, v48, s3
	v_cmp_nlt_f32_e64 s3, 0x42b17218, v45
	s_wait_alu 0xf1ff
	s_delay_alu instid0(VALU_DEP_1) | instskip(SKIP_1) | instid1(VALU_DEP_2)
	v_cndmask_b32_e64 v95, 0x7f800000, v46, s3
	v_cvt_f16_f32_e32 v46, v96
	v_cvt_f16_f32_e32 v45, v95
	s_wait_dscnt 0x5
	v_perm_b32 v48, v78, v68, 0x5040100
	s_delay_alu instid0(VALU_DEP_2)
	v_pack_b32_f16 v71, v45, v46
	s_wait_dscnt 0x4
	v_perm_b32 v47, v75, v51, 0x5040100
	s_wait_dscnt 0x2
	v_perm_b32 v46, v82, v80, 0x5040100
	;; [unrolled: 2-line block ×3, first 2 shown]
	v_perm_b32 v77, v76, v52, 0x5040100
	s_delay_alu instid0(VALU_DEP_2)
	v_wmma_f16_16x16x16_f16 v[28:31], v[45:48], v[71:74], v[28:31]
	v_perm_b32 v45, v86, v84, 0x7060302
	v_perm_b32 v46, v82, v80, 0x7060302
	;; [unrolled: 1-line block ×6, first 2 shown]
	s_delay_alu instid0(VALU_DEP_3)
	v_wmma_f16_16x16x16_f16 v[32:35], v[45:48], v[71:74], v[32:35]
	v_perm_b32 v46, v83, v81, 0x7060302
	v_perm_b32 v47, v76, v52, 0x7060302
	;; [unrolled: 1-line block ×5, first 2 shown]
	s_delay_alu instid0(VALU_DEP_2) | instskip(SKIP_1) | instid1(VALU_DEP_3)
	v_wmma_f16_16x16x16_f16 v[16:19], v[45:48], v[71:74], v[16:19]
	v_mul_f32_e32 v45, 0x3fb8aa3b, v44
	v_wmma_f16_16x16x16_f16 v[20:23], v[75:78], v[71:74], v[20:23]
	s_delay_alu instid0(VALU_DEP_2) | instskip(SKIP_1) | instid1(VALU_DEP_1)
	v_fma_f32 v46, 0x3fb8aa3b, v44, -v45
	v_rndne_f32_e32 v47, v45
	v_dual_fmac_f32 v46, 0x32a5705f, v44 :: v_dual_sub_f32 v45, v45, v47
	v_cvt_i32_f32_e32 v47, v47
	s_delay_alu instid0(VALU_DEP_2) | instskip(NEXT) | instid1(VALU_DEP_1)
	v_dual_add_f32 v45, v45, v46 :: v_dual_mul_f32 v46, 0x3fb8aa3b, v43
	v_fma_f32 v48, 0x3fb8aa3b, v43, -v46
	s_delay_alu instid0(VALU_DEP_1)
	v_fmac_f32_e32 v48, 0x32a5705f, v43
	v_add_nc_u32_e32 v51, 0x2600, v185
	ds_load_2addr_b32 v[51:52], v51 offset0:116 offset1:132
	ds_load_2addr_b32 v[68:69], v88 offset0:40 offset1:56
	;; [unrolled: 1-line block ×4, first 2 shown]
	v_exp_f32_e32 v45, v45
	s_delay_alu instid0(TRANS32_DEP_1)
	v_ldexp_f32 v45, v45, v47
	s_wait_dscnt 0x1
	v_perm_b32 v77, v51, v78, 0x5040100
	s_wait_dscnt 0x0
	v_perm_b32 v76, v81, v68, 0x5040100
	v_perm_b32 v80, v81, v68, 0x7060302
	;; [unrolled: 1-line block ×7, first 2 shown]
	ds_load_2addr_b32 v[51:52], v98 offset0:160 offset1:176
	ds_load_2addr_b32 v[68:69], v98 offset0:228 offset1:244
	s_wait_dscnt 0x0
	v_perm_b32 v79, v68, v51, 0x7060302
	v_perm_b32 v75, v68, v51, 0x5040100
	;; [unrolled: 1-line block ×4, first 2 shown]
	ds_load_2addr_b32 v[51:52], v90 offset0:160 offset1:176
	ds_load_2addr_b32 v[68:69], v97 offset0:160 offset1:176
	s_wait_dscnt 0x0
	v_perm_b32 v78, v68, v51, 0x5040100
	v_perm_b32 v82, v68, v51, 0x7060302
	v_rndne_f32_e32 v51, v46
	v_perm_b32 v90, v69, v52, 0x5040100
	v_perm_b32 v86, v69, v52, 0x7060302
	v_wmma_f16_16x16x16_f16 v[12:15], v[75:78], v[71:74], v[12:15]
	v_add_nc_u32_e32 v78, 0x3000, v24
	v_sub_f32_e32 v46, v46, v51
	v_cvt_i32_f32_e32 v47, v51
	v_cmp_ngt_f32_e32 vcc_lo, 0xc2ce8ed0, v43
	v_wmma_f16_16x16x16_f16 v[4:7], v[87:90], v[71:74], v[4:7]
	v_wmma_f16_16x16x16_f16 v[8:11], v[79:82], v[71:74], v[8:11]
	v_add_f32_e32 v46, v46, v48
	v_add_nc_u32_e32 v82, 0x3000, v25
	v_wmma_f16_16x16x16_f16 v[0:3], v[83:86], v[71:74], v[0:3]
	v_add_nc_u32_e32 v79, 0x3400, v185
	v_add_nc_u32_e32 v83, 0x3000, v185
	v_exp_f32_e32 v46, v46
	v_add_nc_u32_e32 v77, 0x3800, v185
	s_delay_alu instid0(TRANS32_DEP_1) | instskip(SKIP_2) | instid1(VALU_DEP_2)
	v_ldexp_f32 v46, v46, v47
	v_mul_f32_e32 v47, 0x3fb8aa3b, v42
	s_wait_alu 0xfffd
	v_cndmask_b32_e32 v46, 0, v46, vcc_lo
	s_delay_alu instid0(VALU_DEP_2) | instskip(SKIP_2) | instid1(VALU_DEP_2)
	v_fma_f32 v48, 0x3fb8aa3b, v42, -v47
	v_rndne_f32_e32 v51, v47
	v_cmp_nlt_f32_e32 vcc_lo, 0x42b17218, v43
	v_dual_fmac_f32 v48, 0x32a5705f, v42 :: v_dual_sub_f32 v47, v47, v51
	s_delay_alu instid0(VALU_DEP_1) | instskip(SKIP_1) | instid1(VALU_DEP_2)
	v_dual_add_f32 v47, v47, v48 :: v_dual_mul_f32 v48, 0x3fb8aa3b, v41
	v_cmp_ngt_f32_e64 s3, 0xc2ce8ed0, v42
	v_exp_f32_e32 v43, v47
	s_delay_alu instid0(VALU_DEP_2) | instskip(SKIP_2) | instid1(VALU_DEP_2)
	v_fma_f32 v52, 0x3fb8aa3b, v41, -v48
	v_rndne_f32_e32 v68, v48
	v_cvt_i32_f32_e32 v47, v51
	v_sub_f32_e32 v48, v48, v68
	s_delay_alu instid0(VALU_DEP_4)
	v_fmac_f32_e32 v52, 0x32a5705f, v41
	v_cmp_ngt_f32_e64 s4, 0xc2ce8ed0, v41
	s_delay_alu instid0(TRANS32_DEP_1) | instid1(VALU_DEP_4)
	v_ldexp_f32 v43, v43, v47
	s_delay_alu instid0(VALU_DEP_3) | instskip(SKIP_1) | instid1(VALU_DEP_2)
	v_add_f32_e32 v48, v48, v52
	s_wait_alu 0xf1ff
	v_cndmask_b32_e64 v43, 0, v43, s3
	v_cmp_nlt_f32_e64 s3, 0x42b17218, v42
	s_delay_alu instid0(VALU_DEP_3) | instskip(SKIP_2) | instid1(VALU_DEP_2)
	v_exp_f32_e32 v47, v48
	v_cvt_i32_f32_e32 v48, v68
	s_wait_alu 0xf1ff
	v_cndmask_b32_e64 v88, 0x7f800000, v43, s3
	v_cmp_ngt_f32_e64 s3, 0xc2ce8ed0, v39
	s_delay_alu instid0(TRANS32_DEP_1) | instid1(VALU_DEP_3)
	v_ldexp_f32 v47, v47, v48
	s_delay_alu instid0(VALU_DEP_1) | instskip(SKIP_4) | instid1(VALU_DEP_3)
	v_cndmask_b32_e64 v42, 0, v47, s4
	v_cmp_nlt_f32_e64 s4, 0x42b17218, v41
	v_cndmask_b32_e64 v41, 0, v45, s5
	v_cmp_nlt_f32_e64 s5, 0x42b17218, v44
	s_wait_alu 0xf1ff
	v_cndmask_b32_e64 v89, 0x7f800000, v42, s4
	v_cvt_f16_f32_e32 v42, v88
	s_delay_alu instid0(VALU_DEP_3) | instskip(NEXT) | instid1(VALU_DEP_3)
	v_cndmask_b32_e64 v87, 0x7f800000, v41, s5
	v_cvt_f16_f32_e32 v43, v89
	s_delay_alu instid0(VALU_DEP_2) | instskip(NEXT) | instid1(VALU_DEP_2)
	v_cvt_f16_f32_e32 v41, v87
	v_pack_b32_f16 v42, v42, v43
	v_mul_f32_e32 v43, 0x3fb8aa3b, v40
	s_wait_alu 0xfffd
	v_cndmask_b32_e32 v90, 0x7f800000, v46, vcc_lo
	v_cmp_ngt_f32_e32 vcc_lo, 0xc2ce8ed0, v40
	s_delay_alu instid0(VALU_DEP_3) | instskip(NEXT) | instid1(VALU_DEP_3)
	v_rndne_f32_e32 v45, v43
	v_cvt_f16_f32_e32 v44, v90
	s_delay_alu instid0(VALU_DEP_1) | instskip(SKIP_1) | instid1(VALU_DEP_4)
	v_pack_b32_f16 v41, v41, v44
	v_fma_f32 v44, 0x3fb8aa3b, v40, -v43
	v_sub_f32_e32 v43, v43, v45
	v_cvt_i32_f32_e32 v45, v45
	s_delay_alu instid0(VALU_DEP_3) | instskip(NEXT) | instid1(VALU_DEP_1)
	v_fmac_f32_e32 v44, 0x32a5705f, v40
	v_dual_add_f32 v43, v43, v44 :: v_dual_mul_f32 v44, 0x3fb8aa3b, v39
	s_delay_alu instid0(VALU_DEP_1) | instskip(NEXT) | instid1(VALU_DEP_1)
	v_exp_f32_e32 v43, v43
	v_fma_f32 v46, 0x3fb8aa3b, v39, -v44
	v_rndne_f32_e32 v47, v44
	s_delay_alu instid0(VALU_DEP_2) | instskip(NEXT) | instid1(VALU_DEP_2)
	v_fmac_f32_e32 v46, 0x32a5705f, v39
	v_sub_f32_e32 v44, v44, v47
	s_delay_alu instid0(TRANS32_DEP_1) | instskip(SKIP_2) | instid1(VALU_DEP_2)
	v_ldexp_f32 v43, v43, v45
	v_cvt_i32_f32_e32 v45, v47
	s_wait_alu 0xfffd
	v_dual_add_f32 v44, v44, v46 :: v_dual_cndmask_b32 v43, 0, v43
	v_cmp_nlt_f32_e32 vcc_lo, 0x42b17218, v40
	s_delay_alu instid0(VALU_DEP_2) | instskip(SKIP_1) | instid1(VALU_DEP_2)
	v_exp_f32_e32 v44, v44
	s_wait_alu 0xfffd
	v_cndmask_b32_e32 v98, 0x7f800000, v43, vcc_lo
	s_delay_alu instid0(TRANS32_DEP_1) | instskip(NEXT) | instid1(VALU_DEP_1)
	v_ldexp_f32 v44, v44, v45
	v_cndmask_b32_e64 v40, 0, v44, s3
	v_cmp_nlt_f32_e64 s3, 0x42b17218, v39
	s_wait_alu 0xf1ff
	s_delay_alu instid0(VALU_DEP_1) | instskip(SKIP_2) | instid1(VALU_DEP_3)
	v_cndmask_b32_e64 v97, 0x7f800000, v40, s3
	v_cvt_f16_f32_e32 v40, v98
	v_cmp_ngt_f32_e64 s3, 0xc2ce8ed0, v37
	v_cvt_f16_f32_e32 v39, v97
	s_delay_alu instid0(VALU_DEP_1) | instskip(SKIP_1) | instid1(VALU_DEP_1)
	v_pack_b32_f16 v40, v39, v40
	v_mul_f32_e32 v39, 0x3fb8aa3b, v38
	v_fma_f32 v43, 0x3fb8aa3b, v38, -v39
	v_rndne_f32_e32 v44, v39
	s_delay_alu instid0(VALU_DEP_2) | instskip(NEXT) | instid1(VALU_DEP_2)
	v_fmac_f32_e32 v43, 0x32a5705f, v38
	v_sub_f32_e32 v39, v39, v44
	v_cvt_i32_f32_e32 v44, v44
	s_delay_alu instid0(VALU_DEP_2) | instskip(SKIP_1) | instid1(VALU_DEP_2)
	v_add_f32_e32 v39, v39, v43
	v_mul_f32_e32 v43, 0x3fb8aa3b, v37
	v_exp_f32_e32 v39, v39
	s_delay_alu instid0(VALU_DEP_1) | instskip(SKIP_1) | instid1(VALU_DEP_2)
	v_fma_f32 v45, 0x3fb8aa3b, v37, -v43
	v_rndne_f32_e32 v46, v43
	v_fmac_f32_e32 v45, 0x32a5705f, v37
	s_delay_alu instid0(VALU_DEP_2) | instskip(SKIP_1) | instid1(TRANS32_DEP_1)
	v_sub_f32_e32 v43, v43, v46
	v_cmp_ngt_f32_e32 vcc_lo, 0xc2ce8ed0, v38
	v_ldexp_f32 v39, v39, v44
	v_cvt_i32_f32_e32 v44, v46
	s_delay_alu instid0(VALU_DEP_4) | instskip(SKIP_1) | instid1(VALU_DEP_3)
	v_add_f32_e32 v43, v43, v45
	s_wait_alu 0xfffd
	v_cndmask_b32_e32 v39, 0, v39, vcc_lo
	v_cmp_nlt_f32_e32 vcc_lo, 0x42b17218, v38
	s_delay_alu instid0(VALU_DEP_3) | instskip(SKIP_1) | instid1(VALU_DEP_2)
	v_exp_f32_e32 v43, v43
	s_wait_alu 0xfffd
	v_cndmask_b32_e32 v101, 0x7f800000, v39, vcc_lo
	s_delay_alu instid0(TRANS32_DEP_1) | instskip(SKIP_1) | instid1(VALU_DEP_1)
	v_ldexp_f32 v43, v43, v44
	s_wait_alu 0xf1ff
	v_cndmask_b32_e64 v38, 0, v43, s3
	v_cmp_nlt_f32_e64 s3, 0x42b17218, v37
	s_wait_alu 0xf1ff
	s_delay_alu instid0(VALU_DEP_1) | instskip(SKIP_1) | instid1(VALU_DEP_2)
	v_cndmask_b32_e64 v99, 0x7f800000, v38, s3
	v_cvt_f16_f32_e32 v38, v101
	v_cvt_f16_f32_e32 v37, v99
	s_delay_alu instid0(VALU_DEP_1)
	v_pack_b32_f16 v39, v37, v38
	ds_load_2addr_b32 v[24:25], v79 offset0:208 offset1:224
	ds_load_2addr_b32 v[37:38], v78 offset0:192 offset1:208
	;; [unrolled: 1-line block ×8, first 2 shown]
	s_wait_dscnt 0x5
	v_perm_b32 v46, v47, v37, 0x5040100
	s_wait_dscnt 0x4
	v_perm_b32 v45, v51, v24, 0x5040100
	;; [unrolled: 2-line block ×4, first 2 shown]
	s_delay_alu instid0(VALU_DEP_1)
	v_wmma_f16_16x16x16_f16 v[28:31], v[43:46], v[39:42], v[28:31]
	v_perm_b32 v43, v75, v73, 0x7060302
	v_perm_b32 v44, v71, v68, 0x7060302
	;; [unrolled: 1-line block ×4, first 2 shown]
	v_add_nc_u32_e32 v24, 0x3600, v185
	v_perm_b32 v71, v76, v74, 0x5040100
	v_perm_b32 v73, v52, v25, 0x5040100
	s_delay_alu instid0(VALU_DEP_4)
	v_wmma_f16_16x16x16_f16 v[32:35], v[43:46], v[39:42], v[32:35]
	v_perm_b32 v43, v76, v74, 0x7060302
	v_perm_b32 v45, v52, v25, 0x7060302
	;; [unrolled: 1-line block ×4, first 2 shown]
	ds_load_2addr_b32 v[24:25], v24 offset0:112 offset1:128
	ds_load_2addr_b32 v[37:38], v77 offset0:52 offset1:68
	;; [unrolled: 1-line block ×4, first 2 shown]
	v_perm_b32 v44, v72, v69, 0x7060302
	v_perm_b32 v72, v72, v69, 0x5040100
	s_delay_alu instid0(VALU_DEP_2) | instskip(NEXT) | instid1(VALU_DEP_2)
	v_wmma_f16_16x16x16_f16 v[16:19], v[43:46], v[39:42], v[16:19]
	v_wmma_f16_16x16x16_f16 v[20:23], v[71:74], v[39:42], v[20:23]
	s_wait_dscnt 0x2
	v_perm_b32 v73, v37, v24, 0x7060302
	v_perm_b32 v77, v37, v24, 0x5040100
	;; [unrolled: 1-line block ×4, first 2 shown]
	ds_load_2addr_b32 v[24:25], v83 offset0:224 offset1:240
	ds_load_2addr_b32 v[37:38], v79 offset0:36 offset1:52
	s_wait_dscnt 0x2
	v_perm_b32 v72, v51, v47, 0x7060302
	v_perm_b32 v76, v51, v47, 0x5040100
	v_perm_b32 v80, v52, v48, 0x7060302
	v_perm_b32 v84, v52, v48, 0x5040100
	s_wait_dscnt 0x0
	v_perm_b32 v71, v37, v24, 0x7060302
	v_perm_b32 v75, v37, v24, 0x5040100
	v_perm_b32 v79, v38, v25, 0x7060302
	v_perm_b32 v83, v38, v25, 0x5040100
	ds_load_2addr_b32 v[24:25], v78 offset0:224 offset1:240
	ds_load_2addr_b32 v[37:38], v82 offset0:224 offset1:240
	s_wait_loadcnt_dscnt 0x0
	s_barrier_signal -1
	s_barrier_wait -1
	global_inv scope:SCOPE_SE
	v_perm_b32 v78, v37, v24, 0x5040100
	v_perm_b32 v74, v37, v24, 0x7060302
	v_add_f32_e32 v24, v58, v59
	v_perm_b32 v86, v38, v25, 0x5040100
	v_perm_b32 v82, v38, v25, 0x7060302
	v_wmma_f16_16x16x16_f16 v[12:15], v[75:78], v[39:42], v[12:15]
	v_wmma_f16_16x16x16_f16 v[8:11], v[71:74], v[39:42], v[8:11]
	v_add_f32_e32 v24, v62, v24
	v_wmma_f16_16x16x16_f16 v[4:7], v[83:86], v[39:42], v[4:7]
	v_wmma_f16_16x16x16_f16 v[0:3], v[79:82], v[39:42], v[0:3]
	s_delay_alu instid0(VALU_DEP_3) | instskip(NEXT) | instid1(VALU_DEP_1)
	v_add_f32_e32 v24, v64, v24
	v_add_f32_e32 v24, v66, v24
	s_delay_alu instid0(VALU_DEP_1) | instskip(NEXT) | instid1(VALU_DEP_1)
	v_add_f32_e32 v24, v67, v24
	v_add_f32_e32 v24, v26, v24
	s_delay_alu instid0(VALU_DEP_1) | instskip(NEXT) | instid1(VALU_DEP_1)
	;; [unrolled: 3-line block ×14, first 2 shown]
	v_add_f32_e32 v24, v89, v24
	v_fmac_f32_e32 v24, v208, v70
	ds_bpermute_b32 v25, v36, v24
	s_wait_dscnt 0x0
	v_add_f32_e32 v51, v24, v25
	s_cbranch_scc0 .LBB24_255
; %bb.85:                               ;   in Loop: Header=BB24_9 Depth=1
	scratch_load_b32 v24, off, off offset:288 ; 4-byte Folded Reload
	s_wait_loadcnt 0x0
	v_dual_max_num_f32 v25, v50, v50 :: v_dual_lshlrev_b32 v24, 2, v24
	global_load_b32 v24, v24, s[74:75]
	s_wait_loadcnt 0x0
	v_max_num_f32_e32 v26, v24, v24
	s_delay_alu instid0(VALU_DEP_1) | instskip(NEXT) | instid1(VALU_DEP_1)
	v_max_num_f32_e32 v48, v25, v26
	v_sub_f32_e32 v25, v50, v48
	s_delay_alu instid0(VALU_DEP_1) | instskip(SKIP_1) | instid1(VALU_DEP_2)
	v_mul_f32_e32 v26, 0x3fb8aa3b, v25
	v_cmp_ngt_f32_e32 vcc_lo, 0xc2ce8ed0, v25
	v_fma_f32 v27, 0x3fb8aa3b, v25, -v26
	v_rndne_f32_e32 v36, v26
	s_delay_alu instid0(VALU_DEP_1) | instskip(SKIP_1) | instid1(VALU_DEP_2)
	v_dual_fmac_f32 v27, 0x32a5705f, v25 :: v_dual_sub_f32 v26, v26, v36
	v_cvt_i32_f32_e32 v36, v36
	v_add_f32_e32 v26, v26, v27
	s_delay_alu instid0(VALU_DEP_1) | instskip(NEXT) | instid1(TRANS32_DEP_1)
	v_exp_f32_e32 v26, v26
	v_ldexp_f32 v26, v26, v36
	s_wait_alu 0xfffd
	s_delay_alu instid0(VALU_DEP_1) | instskip(SKIP_2) | instid1(VALU_DEP_2)
	v_cndmask_b32_e32 v26, 0, v26, vcc_lo
	v_cmp_nlt_f32_e32 vcc_lo, 0x42b17218, v25
	s_wait_alu 0xfffd
	v_cndmask_b32_e32 v26, 0x7f800000, v26, vcc_lo
	v_cmp_le_f32_e32 vcc_lo, 0xc1a00000, v25
	s_wait_alu 0xfffd
	s_delay_alu instid0(VALU_DEP_2) | instskip(NEXT) | instid1(VALU_DEP_1)
	v_dual_sub_f32 v24, v24, v48 :: v_dual_cndmask_b32 v25, 0, v26
	v_mul_f32_e32 v27, 0x3fb8aa3b, v24
	v_cmp_ngt_f32_e32 vcc_lo, 0xc2ce8ed0, v24
	s_delay_alu instid0(VALU_DEP_2) | instskip(SKIP_1) | instid1(VALU_DEP_2)
	v_fma_f32 v37, 0x3fb8aa3b, v24, -v27
	v_rndne_f32_e32 v38, v27
	v_fmac_f32_e32 v37, 0x32a5705f, v24
	s_delay_alu instid0(VALU_DEP_2) | instskip(SKIP_1) | instid1(VALU_DEP_2)
	v_sub_f32_e32 v27, v27, v38
	v_cvt_i32_f32_e32 v36, v38
	v_add_f32_e32 v27, v27, v37
	s_delay_alu instid0(VALU_DEP_1) | instskip(NEXT) | instid1(TRANS32_DEP_1)
	v_exp_f32_e32 v27, v27
	v_ldexp_f32 v26, v27, v36
	v_cvt_f16_f32_e32 v27, v25
	s_wait_alu 0xfffd
	s_delay_alu instid0(VALU_DEP_1) | instskip(SKIP_1) | instid1(VALU_DEP_2)
	v_dual_cndmask_b32 v26, 0, v26 :: v_dual_and_b32 v27, 0xffff, v27
	v_cmp_nlt_f32_e32 vcc_lo, 0x42b17218, v24
	v_mul_u32_u24_e32 v52, 0x10001, v27
	s_wait_alu 0xfffd
	s_delay_alu instid0(VALU_DEP_3) | instskip(NEXT) | instid1(VALU_DEP_2)
	v_cndmask_b32_e32 v49, 0x7f800000, v26, vcc_lo
	v_pk_mul_f16 v66, v28, v52
	s_delay_alu instid0(VALU_DEP_2)
	v_fmac_f32_e32 v49, v51, v25
	v_pk_mul_f16 v65, v29, v52
	v_pk_mul_f16 v64, v30, v52
	;; [unrolled: 1-line block ×31, first 2 shown]
	scratch_load_b32 v208, off, off offset:4 ; 4-byte Folded Reload
	s_cbranch_execnz .LBB24_87
.LBB24_86:                              ;   in Loop: Header=BB24_9 Depth=1
	v_dual_mov_b32 v27, v3 :: v_dual_mov_b32 v26, v2
	v_dual_mov_b32 v39, v11 :: v_dual_mov_b32 v38, v10
	;; [unrolled: 1-line block ×17, first 2 shown]
.LBB24_87:                              ;   in Loop: Header=BB24_9 Depth=1
	s_wait_loadcnt 0x0
	s_barrier_signal -1
	s_barrier_wait -1
	global_inv scope:SCOPE_SE
	s_and_saveexec_b32 s0, s2
	s_cbranch_execz .LBB24_89
; %bb.88:                               ;   in Loop: Header=BB24_9 Depth=1
	scratch_load_b64 v[0:1], off, off offset:612 ; 8-byte Folded Reload
	s_wait_loadcnt 0x0
	global_store_b64 v[0:1], v[48:49], off
.LBB24_89:                              ;   in Loop: Header=BB24_9 Depth=1
	s_wait_alu 0xfffe
	s_or_b32 exec_lo, exec_lo, s0
	v_perm_b32 v0, v44, v66, 0x5040100
	v_perm_b32 v1, v44, v66, 0x7060302
	v_add_nc_u32_e32 v8, v123, v124
	v_perm_b32 v2, v45, v65, 0x5040100
	v_perm_b32 v3, v45, v65, 0x7060302
	;; [unrolled: 1-line block ×14, first 2 shown]
	ds_store_2addr_b32 v8, v0, v1 offset1:1
	ds_store_2addr_b32 v8, v2, v3 offset0:2 offset1:3
	ds_store_2addr_b32 v8, v4, v5 offset0:4 offset1:5
	;; [unrolled: 1-line block ×7, first 2 shown]
	v_perm_b32 v0, v36, v61, 0x5040100
	v_perm_b32 v1, v36, v61, 0x7060302
	;; [unrolled: 1-line block ×8, first 2 shown]
	v_cmp_gt_i32_e64 s3, s24, v169
	v_cmp_gt_i32_e64 s4, s94, v145
	v_perm_b32 v9, v24, v55, 0x5040100
	v_perm_b32 v10, v24, v55, 0x7060302
	;; [unrolled: 1-line block ×8, first 2 shown]
	ds_store_2addr_b32 v8, v0, v1 offset0:32 offset1:33
	ds_store_2addr_b32 v8, v2, v3 offset0:34 offset1:35
	ds_store_2addr_b32 v8, v4, v5 offset0:36 offset1:37
	ds_store_2addr_b32 v8, v6, v7 offset0:38 offset1:39
	ds_store_2addr_b32 v8, v9, v10 offset0:48 offset1:49
	ds_store_2addr_b32 v8, v11, v12 offset0:50 offset1:51
	ds_store_2addr_b32 v8, v13, v14 offset0:52 offset1:53
	ds_store_2addr_b32 v8, v15, v16 offset0:54 offset1:55
	v_mov_b32_e32 v0, 50
	s_and_b32 s1, s3, s4
	s_wait_storecnt 0x0
	s_wait_loadcnt_dscnt 0x0
	v_cmp_le_i32_e32 vcc_lo, s94, v145
	s_barrier_signal -1
	s_barrier_wait -1
	global_inv scope:SCOPE_SE
	s_wait_alu 0xfffe
	s_and_saveexec_b32 s0, s1
	s_cbranch_execz .LBB24_91
; %bb.90:                               ;   in Loop: Header=BB24_9 Depth=1
	ds_load_2addr_b32 v[0:1], v148 offset1:32
	v_mad_co_u64_u32 v[2:3], null, v169, s25, v[113:114]
	s_delay_alu instid0(VALU_DEP_1) | instskip(NEXT) | instid1(VALU_DEP_1)
	v_lshl_add_u32 v2, v2, 6, v229
	v_ashrrev_i32_e32 v3, 31, v2
	s_delay_alu instid0(VALU_DEP_1)
	v_lshlrev_b64_e32 v[2:3], 3, v[2:3]
	s_wait_dscnt 0x0
	v_lshrrev_b32_e32 v4, 16, v0
	v_lshrrev_b32_e32 v5, 16, v1
	v_cvt_f32_f16_e32 v0, v0
	v_cvt_f32_f16_e32 v6, v1
	v_add_co_u32 v1, s3, s72, v2
	v_cvt_f32_f16_e32 v4, v4
	v_cvt_f32_f16_e32 v7, v5
	s_wait_alu 0xf1ff
	v_add_co_ci_u32_e64 v2, null, s73, v3, s3
	v_add_f32_e32 v3, 0, v0
	v_dual_add_f32 v5, 0, v6 :: v_dual_add_f32 v4, 0, v4
	v_mov_b32_e32 v0, 0
	v_add_f32_e32 v6, 0, v7
	s_clause 0x1
	global_store_b64 v[1:2], v[3:4], off
	global_store_b64 v[1:2], v[5:6], off offset:256
.LBB24_91:                              ;   in Loop: Header=BB24_9 Depth=1
	s_wait_alu 0xfffe
	s_or_b32 exec_lo, exec_lo, s0
	s_mov_b32 s4, -1
	s_mov_b32 s0, exec_lo
	v_cmpx_gt_i32_e32 50, v0
; %bb.92:                               ;   in Loop: Header=BB24_9 Depth=1
	v_cmp_eq_u32_e64 s3, 0, v0
	s_or_not1_b32 s4, s3, exec_lo
; %bb.93:                               ;   in Loop: Header=BB24_9 Depth=1
	s_wait_alu 0xfffe
	s_or_b32 exec_lo, exec_lo, s0
	s_mov_b32 s0, 0
	s_mov_b32 s39, 0
                                        ; implicit-def: $vgpr1
                                        ; implicit-def: $vgpr2
	s_and_saveexec_b32 s1, s4
	s_cbranch_execz .LBB24_181
; %bb.94:                               ;   in Loop: Header=BB24_9 Depth=1
	v_cmp_gt_i32_e64 s3, s24, v199
	v_mov_b32_e32 v0, 50
	s_xor_b32 s5, vcc_lo, -1
	s_wait_alu 0xfffe
	s_and_b32 s4, s3, s5
	s_wait_alu 0xfffe
	s_and_saveexec_b32 s3, s4
	s_cbranch_execz .LBB24_96
; %bb.95:                               ;   in Loop: Header=BB24_9 Depth=1
	scratch_load_b32 v0, off, off offset:284 ; 4-byte Folded Reload
	v_mad_co_u64_u32 v[2:3], null, v199, s25, v[113:114]
	s_delay_alu instid0(VALU_DEP_1) | instskip(NEXT) | instid1(VALU_DEP_1)
	v_lshl_add_u32 v2, v2, 6, v229
	v_ashrrev_i32_e32 v3, 31, v2
	s_delay_alu instid0(VALU_DEP_1)
	v_lshlrev_b64_e32 v[2:3], 3, v[2:3]
	s_wait_loadcnt 0x0
	ds_load_2addr_b32 v[0:1], v0 offset1:32
	s_wait_dscnt 0x0
	v_lshrrev_b32_e32 v4, 16, v0
	v_lshrrev_b32_e32 v5, 16, v1
	v_cvt_f32_f16_e32 v0, v0
	v_cvt_f32_f16_e32 v6, v1
	v_add_co_u32 v1, vcc_lo, s72, v2
	v_cvt_f32_f16_e32 v4, v4
	v_cvt_f32_f16_e32 v7, v5
	s_wait_alu 0xfffd
	v_add_co_ci_u32_e64 v2, null, s73, v3, vcc_lo
	v_add_f32_e32 v3, 0, v0
	v_dual_add_f32 v5, 0, v6 :: v_dual_add_f32 v4, 0, v4
	v_mov_b32_e32 v0, 0
	v_add_f32_e32 v6, 0, v7
	s_clause 0x1
	global_store_b64 v[1:2], v[3:4], off
	global_store_b64 v[1:2], v[5:6], off offset:256
.LBB24_96:                              ;   in Loop: Header=BB24_9 Depth=1
	s_wait_alu 0xfffe
	s_or_b32 exec_lo, exec_lo, s3
	s_mov_b32 s6, -1
	s_mov_b32 s3, exec_lo
	v_cmpx_gt_i32_e32 50, v0
; %bb.97:                               ;   in Loop: Header=BB24_9 Depth=1
	v_cmp_eq_u32_e32 vcc_lo, 0, v0
	s_or_not1_b32 s6, vcc_lo, exec_lo
; %bb.98:                               ;   in Loop: Header=BB24_9 Depth=1
	s_wait_alu 0xfffe
	s_or_b32 exec_lo, exec_lo, s3
	s_mov_b32 s4, 0
                                        ; implicit-def: $vgpr1
                                        ; implicit-def: $vgpr2
	s_and_saveexec_b32 s3, s6
	s_cbranch_execz .LBB24_180
; %bb.99:                               ;   in Loop: Header=BB24_9 Depth=1
	v_cmp_gt_i32_e32 vcc_lo, s24, v198
	v_mov_b32_e32 v0, 50
	s_and_b32 s6, vcc_lo, s5
	s_wait_alu 0xfffe
	s_and_saveexec_b32 s4, s6
	s_cbranch_execz .LBB24_101
; %bb.100:                              ;   in Loop: Header=BB24_9 Depth=1
	scratch_load_b32 v0, off, off offset:292 ; 4-byte Folded Reload
	v_mad_co_u64_u32 v[2:3], null, v198, s25, v[113:114]
	s_delay_alu instid0(VALU_DEP_1) | instskip(NEXT) | instid1(VALU_DEP_1)
	v_lshl_add_u32 v2, v2, 6, v229
	v_ashrrev_i32_e32 v3, 31, v2
	s_delay_alu instid0(VALU_DEP_1)
	v_lshlrev_b64_e32 v[2:3], 3, v[2:3]
	s_wait_loadcnt 0x0
	ds_load_2addr_b32 v[0:1], v0 offset1:32
	s_wait_dscnt 0x0
	v_lshrrev_b32_e32 v4, 16, v0
	v_lshrrev_b32_e32 v5, 16, v1
	v_cvt_f32_f16_e32 v0, v0
	v_cvt_f32_f16_e32 v6, v1
	v_add_co_u32 v1, vcc_lo, s72, v2
	v_cvt_f32_f16_e32 v4, v4
	v_cvt_f32_f16_e32 v7, v5
	s_wait_alu 0xfffd
	v_add_co_ci_u32_e64 v2, null, s73, v3, vcc_lo
	v_add_f32_e32 v3, 0, v0
	v_dual_add_f32 v5, 0, v6 :: v_dual_add_f32 v4, 0, v4
	v_mov_b32_e32 v0, 0
	v_add_f32_e32 v6, 0, v7
	s_clause 0x1
	global_store_b64 v[1:2], v[3:4], off
	global_store_b64 v[1:2], v[5:6], off offset:256
.LBB24_101:                             ;   in Loop: Header=BB24_9 Depth=1
	s_wait_alu 0xfffe
	s_or_b32 exec_lo, exec_lo, s4
	s_mov_b32 s30, -1
	s_mov_b32 s4, exec_lo
	v_cmpx_gt_i32_e32 50, v0
; %bb.102:                              ;   in Loop: Header=BB24_9 Depth=1
	v_cmp_eq_u32_e32 vcc_lo, 0, v0
	s_or_not1_b32 s30, vcc_lo, exec_lo
; %bb.103:                              ;   in Loop: Header=BB24_9 Depth=1
	s_wait_alu 0xfffe
	s_or_b32 exec_lo, exec_lo, s4
	s_mov_b32 s6, 0
                                        ; implicit-def: $vgpr1
                                        ; implicit-def: $vgpr2
	s_and_saveexec_b32 s4, s30
	s_cbranch_execz .LBB24_179
; %bb.104:                              ;   in Loop: Header=BB24_9 Depth=1
	v_cmp_gt_i32_e32 vcc_lo, s24, v166
	v_mov_b32_e32 v0, 50
	s_and_b32 s30, vcc_lo, s5
	s_wait_alu 0xfffe
	s_and_saveexec_b32 s6, s30
	s_cbranch_execz .LBB24_106
; %bb.105:                              ;   in Loop: Header=BB24_9 Depth=1
	scratch_load_b32 v0, off, off offset:300 ; 4-byte Folded Reload
	v_mad_co_u64_u32 v[2:3], null, v166, s25, v[113:114]
	s_delay_alu instid0(VALU_DEP_1) | instskip(NEXT) | instid1(VALU_DEP_1)
	v_lshl_add_u32 v2, v2, 6, v229
	v_ashrrev_i32_e32 v3, 31, v2
	s_delay_alu instid0(VALU_DEP_1)
	v_lshlrev_b64_e32 v[2:3], 3, v[2:3]
	s_wait_loadcnt 0x0
	ds_load_2addr_b32 v[0:1], v0 offset1:32
	s_wait_dscnt 0x0
	v_lshrrev_b32_e32 v4, 16, v0
	v_lshrrev_b32_e32 v5, 16, v1
	v_cvt_f32_f16_e32 v0, v0
	v_cvt_f32_f16_e32 v6, v1
	v_add_co_u32 v1, vcc_lo, s72, v2
	v_cvt_f32_f16_e32 v4, v4
	v_cvt_f32_f16_e32 v7, v5
	s_wait_alu 0xfffd
	v_add_co_ci_u32_e64 v2, null, s73, v3, vcc_lo
	v_add_f32_e32 v3, 0, v0
	v_dual_add_f32 v5, 0, v6 :: v_dual_add_f32 v4, 0, v4
	v_mov_b32_e32 v0, 0
	v_add_f32_e32 v6, 0, v7
	s_clause 0x1
	global_store_b64 v[1:2], v[3:4], off
	global_store_b64 v[1:2], v[5:6], off offset:256
.LBB24_106:                             ;   in Loop: Header=BB24_9 Depth=1
	s_wait_alu 0xfffe
	s_or_b32 exec_lo, exec_lo, s6
	s_mov_b32 s39, -1
	s_mov_b32 s6, exec_lo
	v_cmpx_gt_i32_e32 50, v0
; %bb.107:                              ;   in Loop: Header=BB24_9 Depth=1
	v_cmp_eq_u32_e32 vcc_lo, 0, v0
	s_or_not1_b32 s39, vcc_lo, exec_lo
; %bb.108:                              ;   in Loop: Header=BB24_9 Depth=1
	s_wait_alu 0xfffe
	s_or_b32 exec_lo, exec_lo, s6
	s_mov_b32 s30, 0
                                        ; implicit-def: $vgpr1
                                        ; implicit-def: $vgpr2
	s_and_saveexec_b32 s6, s39
	s_cbranch_execz .LBB24_178
; %bb.109:                              ;   in Loop: Header=BB24_9 Depth=1
	;; [unrolled: 51-line block ×10, first 2 shown]
	v_cmp_gt_i32_e32 vcc_lo, s24, v170
	v_mov_b32_e32 v0, 50
	s_and_b32 s56, vcc_lo, s5
	s_delay_alu instid0(SALU_CYCLE_1)
	s_and_saveexec_b32 s51, s56
	s_cbranch_execz .LBB24_151
; %bb.150:                              ;   in Loop: Header=BB24_9 Depth=1
	scratch_load_b32 v0, off, off offset:840 ; 4-byte Folded Reload
	v_mad_co_u64_u32 v[2:3], null, v170, s25, v[113:114]
	s_delay_alu instid0(VALU_DEP_1) | instskip(NEXT) | instid1(VALU_DEP_1)
	v_lshl_add_u32 v2, v2, 6, v229
	v_ashrrev_i32_e32 v3, 31, v2
	s_delay_alu instid0(VALU_DEP_1)
	v_lshlrev_b64_e32 v[2:3], 3, v[2:3]
	s_wait_loadcnt 0x0
	ds_load_2addr_b32 v[0:1], v0 offset1:32
	s_wait_dscnt 0x0
	v_lshrrev_b32_e32 v4, 16, v0
	v_lshrrev_b32_e32 v5, 16, v1
	v_cvt_f32_f16_e32 v0, v0
	v_cvt_f32_f16_e32 v6, v1
	v_add_co_u32 v1, vcc_lo, s72, v2
	v_cvt_f32_f16_e32 v4, v4
	v_cvt_f32_f16_e32 v7, v5
	s_wait_alu 0xfffd
	v_add_co_ci_u32_e64 v2, null, s73, v3, vcc_lo
	v_add_f32_e32 v3, 0, v0
	v_dual_add_f32 v5, 0, v6 :: v_dual_add_f32 v4, 0, v4
	v_mov_b32_e32 v0, 0
	v_add_f32_e32 v6, 0, v7
	s_clause 0x1
	global_store_b64 v[1:2], v[3:4], off
	global_store_b64 v[1:2], v[5:6], off offset:256
.LBB24_151:                             ;   in Loop: Header=BB24_9 Depth=1
	s_wait_alu 0xfffe
	s_or_b32 exec_lo, exec_lo, s51
	s_mov_b32 s92, -1
	s_mov_b32 s51, exec_lo
	v_cmpx_gt_i32_e32 50, v0
; %bb.152:                              ;   in Loop: Header=BB24_9 Depth=1
	v_cmp_eq_u32_e32 vcc_lo, 0, v0
	s_or_not1_b32 s92, vcc_lo, exec_lo
; %bb.153:                              ;   in Loop: Header=BB24_9 Depth=1
	s_wait_alu 0xfffe
	s_or_b32 exec_lo, exec_lo, s51
	s_mov_b32 s56, 0
                                        ; implicit-def: $vgpr1
                                        ; implicit-def: $vgpr2
	s_and_saveexec_b32 s51, s92
	s_cbranch_execz .LBB24_169
; %bb.154:                              ;   in Loop: Header=BB24_9 Depth=1
	v_cmp_gt_i32_e32 vcc_lo, s24, v131
	v_mov_b32_e32 v0, 50
	s_and_b32 s92, vcc_lo, s5
	s_delay_alu instid0(SALU_CYCLE_1)
	s_and_saveexec_b32 s56, s92
	s_cbranch_execz .LBB24_156
; %bb.155:                              ;   in Loop: Header=BB24_9 Depth=1
	scratch_load_b32 v0, off, off offset:848 ; 4-byte Folded Reload
	v_mad_co_u64_u32 v[2:3], null, v131, s25, v[113:114]
	s_delay_alu instid0(VALU_DEP_1) | instskip(NEXT) | instid1(VALU_DEP_1)
	v_lshl_add_u32 v2, v2, 6, v229
	v_ashrrev_i32_e32 v3, 31, v2
	s_delay_alu instid0(VALU_DEP_1)
	v_lshlrev_b64_e32 v[2:3], 3, v[2:3]
	s_wait_loadcnt 0x0
	ds_load_2addr_b32 v[0:1], v0 offset1:32
	s_wait_dscnt 0x0
	v_lshrrev_b32_e32 v4, 16, v0
	v_lshrrev_b32_e32 v5, 16, v1
	v_cvt_f32_f16_e32 v0, v0
	v_cvt_f32_f16_e32 v6, v1
	v_add_co_u32 v1, vcc_lo, s72, v2
	v_cvt_f32_f16_e32 v4, v4
	v_cvt_f32_f16_e32 v7, v5
	s_wait_alu 0xfffd
	v_add_co_ci_u32_e64 v2, null, s73, v3, vcc_lo
	v_add_f32_e32 v3, 0, v0
	v_dual_add_f32 v5, 0, v6 :: v_dual_add_f32 v4, 0, v4
	v_mov_b32_e32 v0, 0
	v_add_f32_e32 v6, 0, v7
	s_clause 0x1
	global_store_b64 v[1:2], v[3:4], off
	global_store_b64 v[1:2], v[5:6], off offset:256
.LBB24_156:                             ;   in Loop: Header=BB24_9 Depth=1
	s_or_b32 exec_lo, exec_lo, s56
	s_mov_b32 s93, -1
	s_mov_b32 s56, exec_lo
	v_cmpx_gt_i32_e32 50, v0
; %bb.157:                              ;   in Loop: Header=BB24_9 Depth=1
	v_cmp_eq_u32_e32 vcc_lo, 0, v0
	s_or_not1_b32 s93, vcc_lo, exec_lo
; %bb.158:                              ;   in Loop: Header=BB24_9 Depth=1
	s_or_b32 exec_lo, exec_lo, s56
	s_mov_b32 s92, 0
                                        ; implicit-def: $vgpr1
                                        ; implicit-def: $vgpr2
	s_and_saveexec_b32 s56, s93
	s_cbranch_execz .LBB24_168
; %bb.159:                              ;   in Loop: Header=BB24_9 Depth=1
	v_cmp_gt_i32_e32 vcc_lo, s24, v130
	v_mov_b32_e32 v0, 50
	s_and_b32 s93, vcc_lo, s5
	s_delay_alu instid0(SALU_CYCLE_1)
	s_and_saveexec_b32 s92, s93
	s_cbranch_execz .LBB24_161
; %bb.160:                              ;   in Loop: Header=BB24_9 Depth=1
	scratch_load_b32 v0, off, off offset:856 ; 4-byte Folded Reload
	v_mad_co_u64_u32 v[2:3], null, v130, s25, v[113:114]
	s_delay_alu instid0(VALU_DEP_1) | instskip(NEXT) | instid1(VALU_DEP_1)
	v_lshl_add_u32 v2, v2, 6, v229
	v_ashrrev_i32_e32 v3, 31, v2
	s_delay_alu instid0(VALU_DEP_1)
	v_lshlrev_b64_e32 v[2:3], 3, v[2:3]
	s_wait_loadcnt 0x0
	ds_load_2addr_b32 v[0:1], v0 offset1:32
	s_wait_dscnt 0x0
	v_lshrrev_b32_e32 v4, 16, v0
	v_lshrrev_b32_e32 v5, 16, v1
	v_cvt_f32_f16_e32 v0, v0
	v_cvt_f32_f16_e32 v6, v1
	v_add_co_u32 v1, vcc_lo, s72, v2
	v_cvt_f32_f16_e32 v4, v4
	v_cvt_f32_f16_e32 v7, v5
	s_wait_alu 0xfffd
	v_add_co_ci_u32_e64 v2, null, s73, v3, vcc_lo
	v_add_f32_e32 v3, 0, v0
	v_dual_add_f32 v5, 0, v6 :: v_dual_add_f32 v4, 0, v4
	v_mov_b32_e32 v0, 0
	v_add_f32_e32 v6, 0, v7
	s_clause 0x1
	global_store_b64 v[1:2], v[3:4], off
	global_store_b64 v[1:2], v[5:6], off offset:256
.LBB24_161:                             ;   in Loop: Header=BB24_9 Depth=1
	s_or_b32 exec_lo, exec_lo, s92
	s_mov_b32 s95, -1
	s_mov_b32 s92, exec_lo
	v_cmpx_gt_i32_e32 50, v0
; %bb.162:                              ;   in Loop: Header=BB24_9 Depth=1
	v_cmp_eq_u32_e32 vcc_lo, 0, v0
	s_or_not1_b32 s95, vcc_lo, exec_lo
; %bb.163:                              ;   in Loop: Header=BB24_9 Depth=1
	s_or_b32 exec_lo, exec_lo, s92
	s_mov_b32 s93, 0
                                        ; implicit-def: $vgpr1
                                        ; implicit-def: $vgpr2
	s_wait_alu 0xfffe
	s_and_saveexec_b32 s92, s95
	s_cbranch_execz .LBB24_167
; %bb.164:                              ;   in Loop: Header=BB24_9 Depth=1
	v_cmp_gt_i32_e32 vcc_lo, s24, v129
                                        ; implicit-def: $vgpr1
                                        ; implicit-def: $vgpr2
	s_and_b32 s93, vcc_lo, s5
	s_mov_b32 s5, 0
	s_and_saveexec_b32 s95, s93
	s_wait_alu 0xfffe
	s_xor_b32 s93, exec_lo, s95
	s_cbranch_execz .LBB24_166
; %bb.165:                              ;   in Loop: Header=BB24_9 Depth=1
	scratch_load_b32 v0, off, off offset:864 ; 4-byte Folded Reload
	v_mul_lo_u32 v2, v129, s25
	s_mov_b32 s5, exec_lo
	s_delay_alu instid0(VALU_DEP_1)
	v_add_lshl_u32 v7, v2, v113, 6
	s_wait_loadcnt 0x0
	ds_load_2addr_b32 v[0:1], v0 offset1:32
	s_wait_dscnt 0x0
	v_lshrrev_b32_e32 v4, 16, v0
	v_cvt_f32_f16_e32 v0, v0
	v_add_nc_u32_e32 v2, v229, v7
	v_lshrrev_b32_e32 v5, 16, v1
	v_cvt_f32_f16_e32 v6, v1
	v_cvt_f32_f16_e32 v4, v4
	s_delay_alu instid0(VALU_DEP_4) | instskip(NEXT) | instid1(VALU_DEP_4)
	v_ashrrev_i32_e32 v3, 31, v2
	v_cvt_f32_f16_e32 v8, v5
	s_delay_alu instid0(VALU_DEP_3) | instskip(NEXT) | instid1(VALU_DEP_3)
	v_add_f32_e32 v4, 0, v4
	v_lshlrev_b64_e32 v[1:2], 3, v[2:3]
	v_dual_add_f32 v3, 0, v0 :: v_dual_add_f32 v0, 0, v6
	s_delay_alu instid0(VALU_DEP_2) | instskip(SKIP_1) | instid1(VALU_DEP_3)
	v_add_co_u32 v5, vcc_lo, s72, v1
	s_wait_alu 0xfffd
	v_add_co_ci_u32_e64 v6, null, s73, v2, vcc_lo
	scratch_load_b32 v2, off, off offset:868 ; 4-byte Folded Reload
	v_add_f32_e32 v1, 0, v8
	global_store_b64 v[5:6], v[3:4], off
	s_wait_loadcnt 0x0
	v_add_nc_u32_e32 v2, v2, v7
.LBB24_166:                             ;   in Loop: Header=BB24_9 Depth=1
	s_or_b32 exec_lo, exec_lo, s93
	s_wait_alu 0xfffe
	s_and_b32 s93, s5, exec_lo
.LBB24_167:                             ;   in Loop: Header=BB24_9 Depth=1
	s_or_b32 exec_lo, exec_lo, s92
	s_delay_alu instid0(SALU_CYCLE_1)
	s_and_b32 s92, s93, exec_lo
.LBB24_168:                             ;   in Loop: Header=BB24_9 Depth=1
	s_or_b32 exec_lo, exec_lo, s56
	s_delay_alu instid0(SALU_CYCLE_1)
	s_and_b32 s56, s92, exec_lo
.LBB24_169:                             ;   in Loop: Header=BB24_9 Depth=1
	s_wait_alu 0xfffe
	s_or_b32 exec_lo, exec_lo, s51
	s_delay_alu instid0(SALU_CYCLE_1)
	s_and_b32 s51, s56, exec_lo
.LBB24_170:                             ;   in Loop: Header=BB24_9 Depth=1
	s_wait_alu 0xfffe
	s_or_b32 exec_lo, exec_lo, s50
	s_delay_alu instid0(SALU_CYCLE_1)
	s_and_b32 s50, s51, exec_lo
.LBB24_171:                             ;   in Loop: Header=BB24_9 Depth=1
	s_wait_alu 0xfffe
	s_or_b32 exec_lo, exec_lo, s44
	s_delay_alu instid0(SALU_CYCLE_1)
	s_and_b32 s44, s50, exec_lo
.LBB24_172:                             ;   in Loop: Header=BB24_9 Depth=1
	s_wait_alu 0xfffe
	s_or_b32 exec_lo, exec_lo, s43
	s_delay_alu instid0(SALU_CYCLE_1)
	s_and_b32 s43, s44, exec_lo
.LBB24_173:                             ;   in Loop: Header=BB24_9 Depth=1
	s_wait_alu 0xfffe
	s_or_b32 exec_lo, exec_lo, s42
	s_delay_alu instid0(SALU_CYCLE_1)
	s_and_b32 s42, s43, exec_lo
.LBB24_174:                             ;   in Loop: Header=BB24_9 Depth=1
	s_wait_alu 0xfffe
	s_or_b32 exec_lo, exec_lo, s41
	s_delay_alu instid0(SALU_CYCLE_1)
	s_and_b32 s41, s42, exec_lo
.LBB24_175:                             ;   in Loop: Header=BB24_9 Depth=1
	s_wait_alu 0xfffe
	s_or_b32 exec_lo, exec_lo, s40
	s_delay_alu instid0(SALU_CYCLE_1)
	s_and_b32 s40, s41, exec_lo
.LBB24_176:                             ;   in Loop: Header=BB24_9 Depth=1
	s_wait_alu 0xfffe
	s_or_b32 exec_lo, exec_lo, s39
	s_delay_alu instid0(SALU_CYCLE_1)
	s_and_b32 s39, s40, exec_lo
.LBB24_177:                             ;   in Loop: Header=BB24_9 Depth=1
	s_wait_alu 0xfffe
	s_or_b32 exec_lo, exec_lo, s30
	s_delay_alu instid0(SALU_CYCLE_1)
	s_and_b32 s30, s39, exec_lo
.LBB24_178:                             ;   in Loop: Header=BB24_9 Depth=1
	s_wait_alu 0xfffe
	s_or_b32 exec_lo, exec_lo, s6
	s_delay_alu instid0(SALU_CYCLE_1)
	s_and_b32 s6, s30, exec_lo
.LBB24_179:                             ;   in Loop: Header=BB24_9 Depth=1
	s_wait_alu 0xfffe
	s_or_b32 exec_lo, exec_lo, s4
	s_delay_alu instid0(SALU_CYCLE_1)
	s_and_b32 s4, s6, exec_lo
.LBB24_180:                             ;   in Loop: Header=BB24_9 Depth=1
	s_wait_alu 0xfffe
	s_or_b32 exec_lo, exec_lo, s3
	s_delay_alu instid0(SALU_CYCLE_1)
	s_and_b32 s39, s4, exec_lo
.LBB24_181:                             ;   in Loop: Header=BB24_9 Depth=1
	s_wait_alu 0xfffe
	s_or_b32 exec_lo, exec_lo, s1
	s_delay_alu instid0(SALU_CYCLE_1)
	s_and_b32 vcc_lo, exec_lo, s0
	s_wait_alu 0xfffe
	s_cbranch_vccz .LBB24_354
.LBB24_182:                             ;   in Loop: Header=BB24_9 Depth=1
	s_lshl_b32 s4, s67, 5
	v_cmp_gt_i32_e32 vcc_lo, s94, v145
	s_wait_alu 0xfffe
	v_add_nc_u32_e32 v139, s4, v127
	s_delay_alu instid0(VALU_DEP_1)
	v_cmp_gt_i32_e64 s3, s24, v139
	s_and_b32 s50, s3, vcc_lo
	s_wait_alu 0xfffe
	s_xor_b32 s0, s50, -1
	s_wait_alu 0xfffe
	s_and_saveexec_b32 s1, s0
	s_wait_alu 0xfffe
	s_xor_b32 s0, exec_lo, s1
	s_cbranch_execz .LBB24_184
; %bb.183:                              ;   in Loop: Header=BB24_9 Depth=1
	scratch_load_b32 v0, off, off offset:296 ; 4-byte Folded Reload
	s_wait_loadcnt 0x0
	v_add_nc_u32_e32 v0, v118, v0
	ds_store_2addr_b32 v0, v116, v116 offset1:32
.LBB24_184:                             ;   in Loop: Header=BB24_9 Depth=1
	s_wait_alu 0xfffe
	s_and_not1_saveexec_b32 s0, s0
	s_cbranch_execz .LBB24_186
; %bb.185:                              ;   in Loop: Header=BB24_9 Depth=1
	v_mad_co_u64_u32 v[0:1], null, v139, s7, v[218:219]
	s_delay_alu instid0(VALU_DEP_1) | instskip(NEXT) | instid1(VALU_DEP_1)
	v_ashrrev_i32_e32 v1, 31, v0
	v_lshlrev_b64_e32 v[0:1], 3, v[0:1]
	s_delay_alu instid0(VALU_DEP_1) | instskip(SKIP_1) | instid1(VALU_DEP_2)
	v_add_co_u32 v0, s3, s90, v0
	s_wait_alu 0xf1ff
	v_add_co_ci_u32_e64 v1, null, s91, v1, s3
	s_clause 0x1
	global_load_b64 v[2:3], v[0:1], off
	global_load_b64 v[0:1], v[0:1], off offset:256
	s_wait_loadcnt 0x1
	v_cvt_f16_f32_e32 v2, v2
	v_cvt_f16_f32_e32 v3, v3
	s_wait_loadcnt 0x0
	v_cvt_f16_f32_e32 v0, v0
	v_cvt_f16_f32_e32 v1, v1
	s_delay_alu instid0(VALU_DEP_3) | instskip(NEXT) | instid1(VALU_DEP_2)
	v_pack_b32_f16 v2, v2, v3
	v_pack_b32_f16 v0, v0, v1
	s_delay_alu instid0(VALU_DEP_2) | instskip(NEXT) | instid1(VALU_DEP_2)
	v_pk_mul_f16 v1, v2, s100
	v_pk_mul_f16 v0, v0, s100
	ds_store_2addr_b32 v148, v1, v0 offset1:32
.LBB24_186:                             ;   in Loop: Header=BB24_9 Depth=1
	s_wait_alu 0xfffe
	s_or_b32 exec_lo, exec_lo, s0
	v_add_nc_u32_e32 v138, s4, v164
	s_delay_alu instid0(VALU_DEP_1)
	v_cmp_gt_i32_e64 s3, s24, v138
	s_and_b32 s30, s3, vcc_lo
	s_wait_alu 0xfffe
	s_xor_b32 s0, s30, -1
	s_wait_alu 0xfffe
	s_and_saveexec_b32 s1, s0
	s_wait_alu 0xfffe
	s_xor_b32 s0, exec_lo, s1
	s_cbranch_execz .LBB24_188
; %bb.187:                              ;   in Loop: Header=BB24_9 Depth=1
	scratch_load_b32 v0, off, off offset:364 ; 4-byte Folded Reload
	s_wait_loadcnt 0x0
	v_add_nc_u32_e32 v0, v118, v0
	ds_store_2addr_b32 v0, v116, v116 offset1:32
.LBB24_188:                             ;   in Loop: Header=BB24_9 Depth=1
	s_wait_alu 0xfffe
	s_and_not1_saveexec_b32 s0, s0
	s_cbranch_execz .LBB24_190
; %bb.189:                              ;   in Loop: Header=BB24_9 Depth=1
	v_mad_co_u64_u32 v[0:1], null, v138, s7, v[218:219]
	s_delay_alu instid0(VALU_DEP_1) | instskip(NEXT) | instid1(VALU_DEP_1)
	v_ashrrev_i32_e32 v1, 31, v0
	v_lshlrev_b64_e32 v[0:1], 3, v[0:1]
	s_delay_alu instid0(VALU_DEP_1) | instskip(SKIP_1) | instid1(VALU_DEP_2)
	v_add_co_u32 v0, s3, s90, v0
	s_wait_alu 0xf1ff
	v_add_co_ci_u32_e64 v1, null, s91, v1, s3
	s_clause 0x1
	global_load_b64 v[2:3], v[0:1], off
	global_load_b64 v[0:1], v[0:1], off offset:256
	s_wait_loadcnt 0x1
	v_cvt_f16_f32_e32 v2, v2
	v_cvt_f16_f32_e32 v3, v3
	s_wait_loadcnt 0x0
	v_cvt_f16_f32_e32 v0, v0
	v_cvt_f16_f32_e32 v1, v1
	s_delay_alu instid0(VALU_DEP_3) | instskip(NEXT) | instid1(VALU_DEP_2)
	v_pack_b32_f16 v2, v2, v3
	v_pack_b32_f16 v0, v0, v1
	s_delay_alu instid0(VALU_DEP_2)
	v_pk_mul_f16 v1, v2, s100
	scratch_load_b32 v2, off, off offset:284 ; 4-byte Folded Reload
	v_pk_mul_f16 v0, v0, s100
	s_wait_loadcnt 0x0
	ds_store_2addr_b32 v2, v1, v0 offset1:32
.LBB24_190:                             ;   in Loop: Header=BB24_9 Depth=1
	s_wait_alu 0xfffe
	s_or_b32 exec_lo, exec_lo, s0
	v_add_nc_u32_e32 v137, s4, v168
	s_delay_alu instid0(VALU_DEP_1)
	v_cmp_gt_i32_e64 s3, s24, v137
	s_and_b32 vcc_hi, s3, vcc_lo
	s_wait_alu 0xfffe
	s_xor_b32 s0, vcc_hi, -1
	s_wait_alu 0xfffe
	s_and_saveexec_b32 s1, s0
	s_wait_alu 0xfffe
	s_xor_b32 s0, exec_lo, s1
	s_cbranch_execz .LBB24_192
; %bb.191:                              ;   in Loop: Header=BB24_9 Depth=1
	scratch_load_b32 v0, off, off offset:376 ; 4-byte Folded Reload
	s_wait_loadcnt 0x0
	v_add_nc_u32_e32 v0, v118, v0
	ds_store_2addr_b32 v0, v116, v116 offset1:32
.LBB24_192:                             ;   in Loop: Header=BB24_9 Depth=1
	s_wait_alu 0xfffe
	s_and_not1_saveexec_b32 s0, s0
	s_cbranch_execz .LBB24_194
; %bb.193:                              ;   in Loop: Header=BB24_9 Depth=1
	v_mad_co_u64_u32 v[0:1], null, v137, s7, v[218:219]
	s_delay_alu instid0(VALU_DEP_1) | instskip(NEXT) | instid1(VALU_DEP_1)
	v_ashrrev_i32_e32 v1, 31, v0
	v_lshlrev_b64_e32 v[0:1], 3, v[0:1]
	s_delay_alu instid0(VALU_DEP_1) | instskip(SKIP_1) | instid1(VALU_DEP_2)
	v_add_co_u32 v0, s3, s90, v0
	s_wait_alu 0xf1ff
	v_add_co_ci_u32_e64 v1, null, s91, v1, s3
	s_clause 0x1
	global_load_b64 v[2:3], v[0:1], off
	global_load_b64 v[0:1], v[0:1], off offset:256
	s_wait_loadcnt 0x1
	v_cvt_f16_f32_e32 v2, v2
	v_cvt_f16_f32_e32 v3, v3
	s_wait_loadcnt 0x0
	v_cvt_f16_f32_e32 v0, v0
	v_cvt_f16_f32_e32 v1, v1
	s_delay_alu instid0(VALU_DEP_3) | instskip(NEXT) | instid1(VALU_DEP_2)
	v_pack_b32_f16 v2, v2, v3
	v_pack_b32_f16 v0, v0, v1
	s_delay_alu instid0(VALU_DEP_2)
	v_pk_mul_f16 v1, v2, s100
	scratch_load_b32 v2, off, off offset:292 ; 4-byte Folded Reload
	v_pk_mul_f16 v0, v0, s100
	s_wait_loadcnt 0x0
	ds_store_2addr_b32 v2, v1, v0 offset1:32
.LBB24_194:                             ;   in Loop: Header=BB24_9 Depth=1
	s_wait_alu 0xfffe
	s_or_b32 exec_lo, exec_lo, s0
	v_add_nc_u32_e32 v136, s4, v186
	s_delay_alu instid0(VALU_DEP_1)
	v_cmp_gt_i32_e64 s3, s24, v136
	s_and_b32 s43, s3, vcc_lo
	s_wait_alu 0xfffe
	s_xor_b32 s0, s43, -1
	s_wait_alu 0xfffe
	s_and_saveexec_b32 s1, s0
	s_wait_alu 0xfffe
	s_xor_b32 s0, exec_lo, s1
	s_cbranch_execz .LBB24_196
; %bb.195:                              ;   in Loop: Header=BB24_9 Depth=1
	scratch_load_b32 v0, off, off offset:384 ; 4-byte Folded Reload
	s_wait_loadcnt 0x0
	v_add_nc_u32_e32 v0, v118, v0
	ds_store_2addr_b32 v0, v116, v116 offset1:32
.LBB24_196:                             ;   in Loop: Header=BB24_9 Depth=1
	s_wait_alu 0xfffe
	s_and_not1_saveexec_b32 s0, s0
	s_cbranch_execz .LBB24_198
; %bb.197:                              ;   in Loop: Header=BB24_9 Depth=1
	v_mad_co_u64_u32 v[0:1], null, v136, s7, v[218:219]
	s_delay_alu instid0(VALU_DEP_1) | instskip(NEXT) | instid1(VALU_DEP_1)
	v_ashrrev_i32_e32 v1, 31, v0
	v_lshlrev_b64_e32 v[0:1], 3, v[0:1]
	s_delay_alu instid0(VALU_DEP_1) | instskip(SKIP_1) | instid1(VALU_DEP_2)
	v_add_co_u32 v0, s3, s90, v0
	s_wait_alu 0xf1ff
	v_add_co_ci_u32_e64 v1, null, s91, v1, s3
	s_clause 0x1
	global_load_b64 v[2:3], v[0:1], off
	global_load_b64 v[0:1], v[0:1], off offset:256
	s_wait_loadcnt 0x1
	v_cvt_f16_f32_e32 v2, v2
	v_cvt_f16_f32_e32 v3, v3
	s_wait_loadcnt 0x0
	v_cvt_f16_f32_e32 v0, v0
	v_cvt_f16_f32_e32 v1, v1
	s_delay_alu instid0(VALU_DEP_3) | instskip(NEXT) | instid1(VALU_DEP_2)
	v_pack_b32_f16 v2, v2, v3
	v_pack_b32_f16 v0, v0, v1
	s_delay_alu instid0(VALU_DEP_2)
	v_pk_mul_f16 v1, v2, s100
	scratch_load_b32 v2, off, off offset:300 ; 4-byte Folded Reload
	v_pk_mul_f16 v0, v0, s100
	s_wait_loadcnt 0x0
	ds_store_2addr_b32 v2, v1, v0 offset1:32
.LBB24_198:                             ;   in Loop: Header=BB24_9 Depth=1
	s_wait_alu 0xfffe
	s_or_b32 exec_lo, exec_lo, s0
	v_add_nc_u32_e32 v135, s4, v189
	s_delay_alu instid0(VALU_DEP_1)
	v_cmp_gt_i32_e64 s3, s24, v135
	s_and_b32 s42, s3, vcc_lo
	s_wait_alu 0xfffe
	s_xor_b32 s0, s42, -1
	;; [unrolled: 50-line block ×5, first 2 shown]
	s_wait_alu 0xfffe
	s_and_saveexec_b32 s1, s0
	s_wait_alu 0xfffe
	s_xor_b32 s0, exec_lo, s1
; %bb.211:                              ;   in Loop: Header=BB24_9 Depth=1
	v_add_nc_u32_e32 v0, v118, v197
	ds_store_2addr_b32 v0, v116, v116 offset1:32
; %bb.212:                              ;   in Loop: Header=BB24_9 Depth=1
	s_wait_alu 0xfffe
	s_and_not1_saveexec_b32 s0, s0
	s_cbranch_execz .LBB24_214
; %bb.213:                              ;   in Loop: Header=BB24_9 Depth=1
	v_mad_co_u64_u32 v[0:1], null, v131, s7, v[218:219]
	s_delay_alu instid0(VALU_DEP_1) | instskip(NEXT) | instid1(VALU_DEP_1)
	v_ashrrev_i32_e32 v1, 31, v0
	v_lshlrev_b64_e32 v[0:1], 3, v[0:1]
	s_delay_alu instid0(VALU_DEP_1) | instskip(SKIP_1) | instid1(VALU_DEP_2)
	v_add_co_u32 v0, s3, s90, v0
	s_wait_alu 0xf1ff
	v_add_co_ci_u32_e64 v1, null, s91, v1, s3
	s_clause 0x1
	global_load_b64 v[2:3], v[0:1], off
	global_load_b64 v[0:1], v[0:1], off offset:256
	s_wait_loadcnt 0x1
	v_cvt_f16_f32_e32 v2, v2
	v_cvt_f16_f32_e32 v3, v3
	s_wait_loadcnt 0x0
	v_cvt_f16_f32_e32 v0, v0
	v_cvt_f16_f32_e32 v1, v1
	s_delay_alu instid0(VALU_DEP_3) | instskip(NEXT) | instid1(VALU_DEP_2)
	v_pack_b32_f16 v2, v2, v3
	v_pack_b32_f16 v0, v0, v1
	s_delay_alu instid0(VALU_DEP_2)
	v_pk_mul_f16 v1, v2, s100
	scratch_load_b32 v2, off, off offset:432 ; 4-byte Folded Reload
	v_pk_mul_f16 v0, v0, s100
	s_wait_loadcnt 0x0
	ds_store_2addr_b32 v2, v1, v0 offset1:32
.LBB24_214:                             ;   in Loop: Header=BB24_9 Depth=1
	s_wait_alu 0xfffe
	s_or_b32 exec_lo, exec_lo, s0
	v_add_nc_u32_e32 v130, s4, v206
	s_delay_alu instid0(VALU_DEP_1)
	v_cmp_gt_i32_e64 s3, s24, v130
	s_and_b32 s0, s3, vcc_lo
	s_wait_alu 0xfffe
	s_xor_b32 s1, s0, -1
	s_wait_alu 0xfffe
	s_and_saveexec_b32 s3, s1
	s_wait_alu 0xfffe
	s_xor_b32 s1, exec_lo, s3
; %bb.215:                              ;   in Loop: Header=BB24_9 Depth=1
	v_add_nc_u32_e32 v0, v118, v197
	s_delay_alu instid0(VALU_DEP_1)
	v_add_nc_u32_e32 v0, 0x400, v0
	ds_store_2addr_b32 v0, v116, v116 offset0:16 offset1:48
; %bb.216:                              ;   in Loop: Header=BB24_9 Depth=1
	s_wait_alu 0xfffe
	s_and_not1_saveexec_b32 s1, s1
	s_cbranch_execz .LBB24_218
; %bb.217:                              ;   in Loop: Header=BB24_9 Depth=1
	v_mad_co_u64_u32 v[0:1], null, v130, s7, v[218:219]
	s_delay_alu instid0(VALU_DEP_1) | instskip(NEXT) | instid1(VALU_DEP_1)
	v_ashrrev_i32_e32 v1, 31, v0
	v_lshlrev_b64_e32 v[0:1], 3, v[0:1]
	s_delay_alu instid0(VALU_DEP_1) | instskip(SKIP_1) | instid1(VALU_DEP_2)
	v_add_co_u32 v0, s3, s90, v0
	s_wait_alu 0xf1ff
	v_add_co_ci_u32_e64 v1, null, s91, v1, s3
	s_clause 0x1
	global_load_b64 v[2:3], v[0:1], off
	global_load_b64 v[0:1], v[0:1], off offset:256
	s_wait_loadcnt 0x1
	v_cvt_f16_f32_e32 v2, v2
	v_cvt_f16_f32_e32 v3, v3
	s_wait_loadcnt 0x0
	v_cvt_f16_f32_e32 v0, v0
	v_cvt_f16_f32_e32 v1, v1
	s_delay_alu instid0(VALU_DEP_3) | instskip(NEXT) | instid1(VALU_DEP_2)
	v_pack_b32_f16 v2, v2, v3
	v_pack_b32_f16 v0, v0, v1
	s_delay_alu instid0(VALU_DEP_2)
	v_pk_mul_f16 v1, v2, s100
	scratch_load_b32 v2, off, off offset:440 ; 4-byte Folded Reload
	v_pk_mul_f16 v0, v0, s100
	s_wait_loadcnt 0x0
	ds_store_2addr_b32 v2, v1, v0 offset1:32
.LBB24_218:                             ;   in Loop: Header=BB24_9 Depth=1
	s_wait_alu 0xfffe
	s_or_b32 exec_lo, exec_lo, s1
	v_add_nc_u32_e32 v129, s4, v207
	s_delay_alu instid0(VALU_DEP_1)
	v_cmp_gt_i32_e64 s3, s24, v129
	s_and_b32 s1, s3, vcc_lo
	s_wait_alu 0xfffe
	s_xor_b32 s3, s1, -1
	s_wait_alu 0xfffe
	s_and_saveexec_b32 s5, s3
	s_wait_alu 0xfffe
	s_xor_b32 s3, exec_lo, s5
; %bb.219:                              ;   in Loop: Header=BB24_9 Depth=1
	v_add_nc_u32_e32 v0, v118, v197
	s_delay_alu instid0(VALU_DEP_1)
	v_add_nc_u32_e32 v0, 0x800, v0
	ds_store_2addr_b32 v0, v116, v116 offset0:32 offset1:64
	;; [unrolled: 49-line block ×5, first 2 shown]
; %bb.232:                              ;   in Loop: Header=BB24_9 Depth=1
	s_wait_alu 0xfffe
	s_and_not1_saveexec_b32 s5, s3
	s_cbranch_execz .LBB24_234
; %bb.233:                              ;   in Loop: Header=BB24_9 Depth=1
	v_mad_co_u64_u32 v[0:1], null, v110, s7, v[218:219]
	s_delay_alu instid0(VALU_DEP_1) | instskip(NEXT) | instid1(VALU_DEP_1)
	v_ashrrev_i32_e32 v1, 31, v0
	v_lshlrev_b64_e32 v[0:1], 3, v[0:1]
	s_delay_alu instid0(VALU_DEP_1) | instskip(SKIP_1) | instid1(VALU_DEP_2)
	v_add_co_u32 v0, s3, s90, v0
	s_wait_alu 0xf1ff
	v_add_co_ci_u32_e64 v1, null, s91, v1, s3
	s_clause 0x1
	global_load_b64 v[2:3], v[0:1], off
	global_load_b64 v[0:1], v[0:1], off offset:256
	s_wait_loadcnt 0x1
	v_cvt_f16_f32_e32 v2, v2
	v_cvt_f16_f32_e32 v3, v3
	s_wait_loadcnt 0x0
	v_cvt_f16_f32_e32 v0, v0
	v_cvt_f16_f32_e32 v1, v1
	s_delay_alu instid0(VALU_DEP_3) | instskip(NEXT) | instid1(VALU_DEP_2)
	v_pack_b32_f16 v2, v2, v3
	v_pack_b32_f16 v0, v0, v1
	s_delay_alu instid0(VALU_DEP_2)
	v_pk_mul_f16 v1, v2, s100
	scratch_load_b32 v2, off, off offset:472 ; 4-byte Folded Reload
	v_pk_mul_f16 v0, v0, s100
	s_wait_loadcnt 0x0
	ds_store_2addr_b32 v2, v1, v0 offset1:32
.LBB24_234:                             ;   in Loop: Header=BB24_9 Depth=1
	s_wait_alu 0xfffe
	s_or_b32 exec_lo, exec_lo, s5
	v_add_nc_u32_e32 v109, s4, v214
	s_delay_alu instid0(VALU_DEP_1) | instskip(SKIP_1) | instid1(SALU_CYCLE_1)
	v_cmp_gt_i32_e64 s3, s24, v109
	s_and_b32 s93, s3, vcc_lo
	s_xor_b32 s3, s93, -1
	s_wait_alu 0xfffe
	s_and_saveexec_b32 s5, s3
	s_wait_alu 0xfffe
	s_xor_b32 s3, exec_lo, s5
; %bb.235:                              ;   in Loop: Header=BB24_9 Depth=1
	v_add_nc_u32_e32 v0, v118, v197
	s_delay_alu instid0(VALU_DEP_1)
	v_add_nc_u32_e32 v0, 0x1800, v0
	ds_store_2addr_b32 v0, v116, v116 offset0:96 offset1:128
; %bb.236:                              ;   in Loop: Header=BB24_9 Depth=1
	s_wait_alu 0xfffe
	s_and_not1_saveexec_b32 s5, s3
	s_cbranch_execz .LBB24_238
; %bb.237:                              ;   in Loop: Header=BB24_9 Depth=1
	v_mad_co_u64_u32 v[0:1], null, v109, s7, v[218:219]
	s_delay_alu instid0(VALU_DEP_1) | instskip(NEXT) | instid1(VALU_DEP_1)
	v_ashrrev_i32_e32 v1, 31, v0
	v_lshlrev_b64_e32 v[0:1], 3, v[0:1]
	s_delay_alu instid0(VALU_DEP_1) | instskip(SKIP_1) | instid1(VALU_DEP_2)
	v_add_co_u32 v0, s3, s90, v0
	s_wait_alu 0xf1ff
	v_add_co_ci_u32_e64 v1, null, s91, v1, s3
	s_clause 0x1
	global_load_b64 v[2:3], v[0:1], off
	global_load_b64 v[0:1], v[0:1], off offset:256
	s_wait_loadcnt 0x1
	v_cvt_f16_f32_e32 v2, v2
	v_cvt_f16_f32_e32 v3, v3
	s_wait_loadcnt 0x0
	v_cvt_f16_f32_e32 v0, v0
	v_cvt_f16_f32_e32 v1, v1
	s_delay_alu instid0(VALU_DEP_3) | instskip(NEXT) | instid1(VALU_DEP_2)
	v_pack_b32_f16 v2, v2, v3
	v_pack_b32_f16 v0, v0, v1
	s_delay_alu instid0(VALU_DEP_2)
	v_pk_mul_f16 v1, v2, s100
	scratch_load_b32 v2, off, off offset:480 ; 4-byte Folded Reload
	v_pk_mul_f16 v0, v0, s100
	s_wait_loadcnt 0x0
	ds_store_2addr_b32 v2, v1, v0 offset1:32
.LBB24_238:                             ;   in Loop: Header=BB24_9 Depth=1
	s_wait_alu 0xfffe
	s_or_b32 exec_lo, exec_lo, s5
	v_add_nc_u32_e32 v108, s4, v215
	s_delay_alu instid0(VALU_DEP_1) | instskip(SKIP_1) | instid1(SALU_CYCLE_1)
	v_cmp_gt_i32_e64 s3, s24, v108
	s_and_b32 s92, s3, vcc_lo
	s_xor_b32 s3, s92, -1
	s_wait_alu 0xfffe
	s_and_saveexec_b32 s5, s3
	s_wait_alu 0xfffe
	s_xor_b32 s3, exec_lo, s5
; %bb.239:                              ;   in Loop: Header=BB24_9 Depth=1
	v_add_nc_u32_e32 v0, v118, v197
	s_delay_alu instid0(VALU_DEP_1)
	v_add_nc_u32_e32 v0, 0x1c00, v0
	ds_store_2addr_b32 v0, v116, v116 offset0:112 offset1:144
; %bb.240:                              ;   in Loop: Header=BB24_9 Depth=1
	s_wait_alu 0xfffe
	s_and_not1_saveexec_b32 s5, s3
	s_cbranch_execz .LBB24_242
; %bb.241:                              ;   in Loop: Header=BB24_9 Depth=1
	v_mad_co_u64_u32 v[0:1], null, v108, s7, v[218:219]
	s_delay_alu instid0(VALU_DEP_1) | instskip(NEXT) | instid1(VALU_DEP_1)
	v_ashrrev_i32_e32 v1, 31, v0
	v_lshlrev_b64_e32 v[0:1], 3, v[0:1]
	s_delay_alu instid0(VALU_DEP_1) | instskip(SKIP_1) | instid1(VALU_DEP_2)
	v_add_co_u32 v0, s3, s90, v0
	s_wait_alu 0xf1ff
	v_add_co_ci_u32_e64 v1, null, s91, v1, s3
	s_clause 0x1
	global_load_b64 v[2:3], v[0:1], off
	global_load_b64 v[0:1], v[0:1], off offset:256
	s_wait_loadcnt 0x1
	v_cvt_f16_f32_e32 v2, v2
	v_cvt_f16_f32_e32 v3, v3
	s_wait_loadcnt 0x0
	v_cvt_f16_f32_e32 v0, v0
	v_cvt_f16_f32_e32 v1, v1
	s_delay_alu instid0(VALU_DEP_3) | instskip(NEXT) | instid1(VALU_DEP_2)
	v_pack_b32_f16 v2, v2, v3
	v_pack_b32_f16 v0, v0, v1
	s_delay_alu instid0(VALU_DEP_2)
	v_pk_mul_f16 v1, v2, s100
	scratch_load_b32 v2, off, off offset:488 ; 4-byte Folded Reload
	v_pk_mul_f16 v0, v0, s100
	s_wait_loadcnt 0x0
	ds_store_2addr_b32 v2, v1, v0 offset1:32
.LBB24_242:                             ;   in Loop: Header=BB24_9 Depth=1
	s_wait_alu 0xfffe
	s_or_b32 exec_lo, exec_lo, s5
	v_add_nc_u32_e32 v107, s4, v216
	s_delay_alu instid0(VALU_DEP_1)
	v_cmp_gt_i32_e64 s3, s24, v107
	s_and_b32 s67, s3, vcc_lo
	s_wait_alu 0xfffe
	s_xor_b32 s3, s67, -1
	s_wait_alu 0xfffe
	s_and_saveexec_b32 s5, s3
	s_wait_alu 0xfffe
	s_xor_b32 s3, exec_lo, s5
; %bb.243:                              ;   in Loop: Header=BB24_9 Depth=1
	v_add_nc_u32_e32 v0, v118, v197
	s_delay_alu instid0(VALU_DEP_1)
	v_add_nc_u32_e32 v0, 0x2000, v0
	ds_store_2addr_b32 v0, v116, v116 offset0:128 offset1:160
; %bb.244:                              ;   in Loop: Header=BB24_9 Depth=1
	s_wait_alu 0xfffe
	s_and_not1_saveexec_b32 s3, s3
	s_cbranch_execz .LBB24_246
; %bb.245:                              ;   in Loop: Header=BB24_9 Depth=1
	v_mad_co_u64_u32 v[0:1], null, v107, s7, v[218:219]
	s_delay_alu instid0(VALU_DEP_1) | instskip(NEXT) | instid1(VALU_DEP_1)
	v_ashrrev_i32_e32 v1, 31, v0
	v_lshlrev_b64_e32 v[0:1], 3, v[0:1]
	s_delay_alu instid0(VALU_DEP_1) | instskip(SKIP_1) | instid1(VALU_DEP_2)
	v_add_co_u32 v0, vcc_lo, s90, v0
	s_wait_alu 0xfffd
	v_add_co_ci_u32_e64 v1, null, s91, v1, vcc_lo
	s_clause 0x1
	global_load_b64 v[2:3], v[0:1], off
	global_load_b64 v[0:1], v[0:1], off offset:256
	s_wait_loadcnt 0x1
	v_cvt_f16_f32_e32 v2, v2
	v_cvt_f16_f32_e32 v3, v3
	s_wait_loadcnt 0x0
	v_cvt_f16_f32_e32 v0, v0
	v_cvt_f16_f32_e32 v1, v1
	s_delay_alu instid0(VALU_DEP_3) | instskip(NEXT) | instid1(VALU_DEP_2)
	v_pack_b32_f16 v2, v2, v3
	v_pack_b32_f16 v0, v0, v1
	s_delay_alu instid0(VALU_DEP_2)
	v_pk_mul_f16 v1, v2, s100
	scratch_load_b32 v2, off, off offset:496 ; 4-byte Folded Reload
	v_pk_mul_f16 v0, v0, s100
	s_wait_loadcnt 0x0
	ds_store_2addr_b32 v2, v1, v0 offset1:32
.LBB24_246:                             ;   in Loop: Header=BB24_9 Depth=1
	s_wait_alu 0xfffe
	s_or_b32 exec_lo, exec_lo, s3
	s_wait_storecnt 0x0
	s_wait_loadcnt_dscnt 0x0
	s_barrier_signal -1
	s_barrier_wait -1
	global_inv scope:SCOPE_SE
	ds_load_b128 v[201:204], v119
	ds_load_b128 v[56:59], v119 offset:32
	ds_load_b128 v[52:55], v119 offset:64
	;; [unrolled: 1-line block ×7, first 2 shown]
	s_cmp_gt_i32 s33, 1
	s_mov_b32 s3, -1
	s_wait_loadcnt_dscnt 0x0
	s_barrier_signal -1
	s_barrier_wait -1
	global_inv scope:SCOPE_SE
                                        ; implicit-def: $vgpr105
                                        ; implicit-def: $vgpr106
                                        ; implicit-def: $vgpr78_vgpr79
                                        ; implicit-def: $vgpr70_vgpr71
                                        ; implicit-def: $vgpr74_vgpr75
                                        ; implicit-def: $vgpr76_vgpr77
                                        ; implicit-def: $vgpr72_vgpr73
                                        ; implicit-def: $vgpr68_vgpr69
                                        ; implicit-def: $vgpr66_vgpr67
                                        ; implicit-def: $vgpr64_vgpr65
	s_cbranch_scc1 .LBB24_248
; %bb.247:                              ;   in Loop: Header=BB24_9 Depth=1
	v_dual_mov_b32 v106, 32 :: v_dual_add_nc_u32 v1, s4, v193
	v_add_nc_u32_e32 v0, s4, v149
	v_add_nc_u32_e32 v2, s4, v220
	;; [unrolled: 1-line block ×3, first 2 shown]
	s_delay_alu instid0(VALU_DEP_4)
	v_mul_hi_u32 v5, s36, v1
	v_add_nc_u32_e32 v6, s4, v250
	v_mul_hi_u32 v3, s36, v0
	v_mul_hi_u32 v10, s36, v2
	;; [unrolled: 1-line block ×3, first 2 shown]
	v_add_nc_u32_e32 v7, s4, v248
	v_add_nc_u32_e32 v8, s4, v246
	;; [unrolled: 1-line block ×4, first 2 shown]
	v_mul_hi_u32 v12, s36, v6
	v_add_nc_u32_e32 v3, v0, v3
	v_add_nc_u32_e32 v10, v2, v10
	v_mul_hi_u32 v13, s36, v7
	v_lshrrev_b32_e32 v5, s37, v5
	v_mul_hi_u32 v14, s36, v8
	v_lshrrev_b32_e32 v3, s37, v3
	v_add_nc_u32_e32 v11, v4, v11
	v_mul_hi_u32 v15, s36, v9
	v_mul_lo_u32 v5, v5, s24
	v_lshrrev_b32_e32 v10, s37, v10
	v_mul_lo_u32 v3, v3, s24
	v_lshrrev_b32_e32 v11, s37, v11
	v_add_nc_u32_e32 v12, v6, v12
	v_add_nc_u32_e32 v13, v7, v13
	v_xor_b32_e32 v105, 16, v217
	s_mov_b32 s3, 0
	v_sub_nc_u32_e32 v1, v1, v5
	v_mul_lo_u32 v5, v11, s24
	v_sub_nc_u32_e32 v0, v0, v3
	v_mul_lo_u32 v3, v10, s24
	v_add_nc_u32_e32 v10, v9, v15
	v_mad_co_i64_i32 v[70:71], null, v1, s38, 0
	v_add_nc_u32_e32 v1, v8, v14
	v_lshrrev_b32_e32 v12, s37, v12
	v_mad_co_i64_i32 v[78:79], null, v0, s38, 0
	v_lshrrev_b32_e32 v0, s37, v13
	v_sub_nc_u32_e32 v2, v2, v3
	v_lshrrev_b32_e32 v1, s37, v1
	v_lshrrev_b32_e32 v10, s37, v10
	v_mul_lo_u32 v3, v12, s24
	v_mul_lo_u32 v0, v0, s24
	v_mad_co_i64_i32 v[74:75], null, v2, s38, 0
	v_sub_nc_u32_e32 v2, v4, v5
	v_mul_lo_u32 v1, v1, s24
	v_mul_lo_u32 v4, v10, s24
	v_sub_nc_u32_e32 v3, v6, v3
	s_delay_alu instid0(VALU_DEP_4) | instskip(SKIP_4) | instid1(VALU_DEP_4)
	v_mad_co_i64_i32 v[76:77], null, v2, s38, 0
	v_sub_nc_u32_e32 v0, v7, v0
	v_sub_nc_u32_e32 v1, v8, v1
	;; [unrolled: 1-line block ×3, first 2 shown]
	v_mad_co_i64_i32 v[72:73], null, v3, s38, 0
	v_mad_co_i64_i32 v[68:69], null, v0, s38, 0
	s_delay_alu instid0(VALU_DEP_4) | instskip(NEXT) | instid1(VALU_DEP_4)
	v_mad_co_i64_i32 v[66:67], null, v1, s38, 0
	v_mad_co_i64_i32 v[64:65], null, v2, s38, 0
.LBB24_248:                             ;   in Loop: Header=BB24_9 Depth=1
	s_wait_alu 0xfffe
	s_and_not1_b32 vcc_lo, exec_lo, s3
	s_wait_alu 0xfffe
	s_cbranch_vccnz .LBB24_252
; %bb.249:                              ;   in Loop: Header=BB24_9 Depth=1
	v_mov_b32_e32 v4, 0
	v_mov_b32_e32 v254, 0
	s_clause 0xf
	scratch_store_b32 off, v139, off offset:572
	scratch_store_b32 off, v138, off offset:568
	;; [unrolled: 1-line block ×16, first 2 shown]
	s_add_nc_u64 s[86:87], s[86:87], s[88:89]
	v_dual_mov_b32 v20, 0 :: v_dual_mov_b32 v253, 0xfeffffff
	v_dual_mov_b32 v25, v4 :: v_dual_add_nc_u32 v0, s4, v149
	v_dual_mov_b32 v3, v254 :: v_dual_add_nc_u32 v2, s4, v193
	v_dual_mov_b32 v21, v254 :: v_dual_mov_b32 v26, v4
	v_mov_b32_e32 v235, v233
	s_delay_alu instid0(VALU_DEP_4)
	v_mul_hi_u32 v1, s36, v0
	v_dual_mov_b32 v6, v4 :: v_dual_mov_b32 v27, v4
	v_dual_mov_b32 v12, v4 :: v_dual_mov_b32 v23, v254
	;; [unrolled: 1-line block ×4, first 2 shown]
	v_dual_mov_b32 v22, v254 :: v_dual_add_nc_u32 v1, v0, v1
	v_dual_mov_b32 v28, v4 :: v_dual_add_nc_u32 v231, 0x68, v208
	v_mov_b32_e32 v30, v4
	s_delay_alu instid0(VALU_DEP_3)
	v_lshrrev_b32_e32 v1, s37, v1
	v_mov_b32_e32 v230, v252
	s_add_co_i32 s33, s33, -1
	v_mov_b32_e32 v5, v4
	s_mov_b32 s56, s33
	v_mul_lo_u32 v1, v1, s24
	v_mov_b32_e32 v7, v4
	v_mov_b32_e32 v9, v254
	v_dual_mov_b32 v11, v254 :: v_dual_mov_b32 v8, 0
	v_dual_mov_b32 v13, v4 :: v_dual_mov_b32 v10, v254
	v_mov_b32_e32 v15, v4
	v_sub_nc_u32_e32 v33, v0, v1
	v_mul_hi_u32 v0, s36, v2
	v_dual_mov_b32 v16, 0 :: v_dual_mov_b32 v17, v254
	v_mov_b32_e32 v18, v254
	s_delay_alu instid0(VALU_DEP_4) | instskip(SKIP_2) | instid1(VALU_DEP_1)
	v_mad_co_i64_i32 v[133:134], null, s66, v33, s[80:81]
	v_mov_b32_e32 v19, v254
	v_add_nc_u32_e32 v0, v2, v0
	v_lshrrev_b32_e32 v0, s37, v0
	s_delay_alu instid0(VALU_DEP_1) | instskip(NEXT) | instid1(VALU_DEP_1)
	v_mul_lo_u32 v0, v0, s24
	v_sub_nc_u32_e32 v34, v2, v0
	v_add_nc_u32_e32 v0, s4, v220
	v_mov_b32_e32 v2, v254
	s_delay_alu instid0(VALU_DEP_3) | instskip(NEXT) | instid1(VALU_DEP_3)
	v_mad_co_i64_i32 v[135:136], null, s66, v34, s[80:81]
	v_mul_hi_u32 v1, s36, v0
	s_delay_alu instid0(VALU_DEP_1) | instskip(NEXT) | instid1(VALU_DEP_1)
	v_add_nc_u32_e32 v1, v0, v1
	v_lshrrev_b32_e32 v1, s37, v1
	s_delay_alu instid0(VALU_DEP_1) | instskip(NEXT) | instid1(VALU_DEP_1)
	v_mul_lo_u32 v1, v1, s24
	v_sub_nc_u32_e32 v35, v0, v1
	v_add_nc_u32_e32 v0, s4, v237
	s_delay_alu instid0(VALU_DEP_2) | instskip(NEXT) | instid1(VALU_DEP_2)
	v_mad_co_i64_i32 v[137:138], null, s66, v35, s[80:81]
	v_mul_hi_u32 v1, s36, v0
	s_delay_alu instid0(VALU_DEP_1) | instskip(NEXT) | instid1(VALU_DEP_1)
	v_add_nc_u32_e32 v1, v0, v1
	v_lshrrev_b32_e32 v1, s37, v1
	s_delay_alu instid0(VALU_DEP_1) | instskip(NEXT) | instid1(VALU_DEP_1)
	v_mul_lo_u32 v1, v1, s24
	v_sub_nc_u32_e32 v36, v0, v1
	v_add_nc_u32_e32 v0, s4, v250
	s_delay_alu instid0(VALU_DEP_1) | instskip(NEXT) | instid1(VALU_DEP_1)
	v_mul_hi_u32 v1, s36, v0
	v_add_nc_u32_e32 v1, v0, v1
	s_delay_alu instid0(VALU_DEP_1) | instskip(NEXT) | instid1(VALU_DEP_1)
	v_lshrrev_b32_e32 v1, s37, v1
	v_mul_lo_u32 v1, v1, s24
	s_delay_alu instid0(VALU_DEP_1) | instskip(SKIP_1) | instid1(VALU_DEP_1)
	v_sub_nc_u32_e32 v37, v0, v1
	v_add_nc_u32_e32 v0, s4, v248
	v_mul_hi_u32 v1, s36, v0
	s_delay_alu instid0(VALU_DEP_1) | instskip(NEXT) | instid1(VALU_DEP_1)
	v_add_nc_u32_e32 v1, v0, v1
	v_lshrrev_b32_e32 v1, s37, v1
	s_delay_alu instid0(VALU_DEP_1) | instskip(NEXT) | instid1(VALU_DEP_1)
	v_mul_lo_u32 v1, v1, s24
	v_sub_nc_u32_e32 v38, v0, v1
	v_add_nc_u32_e32 v0, s4, v246
	s_delay_alu instid0(VALU_DEP_1) | instskip(NEXT) | instid1(VALU_DEP_1)
	v_mul_hi_u32 v1, s36, v0
	v_add_nc_u32_e32 v1, v0, v1
	s_delay_alu instid0(VALU_DEP_1) | instskip(NEXT) | instid1(VALU_DEP_1)
	v_lshrrev_b32_e32 v1, s37, v1
	v_mul_lo_u32 v1, v1, s24
	s_delay_alu instid0(VALU_DEP_1) | instskip(SKIP_2) | instid1(VALU_DEP_2)
	v_sub_nc_u32_e32 v39, v0, v1
	v_add_nc_u32_e32 v0, s4, v232
	s_add_nc_u64 s[4:5], s[84:85], s[82:83]
	v_mad_co_i64_i32 v[145:146], null, s66, v39, s[80:81]
	s_delay_alu instid0(VALU_DEP_2) | instskip(NEXT) | instid1(VALU_DEP_1)
	v_mul_hi_u32 v1, s36, v0
	v_add_nc_u32_e32 v1, v0, v1
	s_delay_alu instid0(VALU_DEP_1) | instskip(NEXT) | instid1(VALU_DEP_1)
	v_lshrrev_b32_e32 v1, s37, v1
	v_mul_lo_u32 v1, v1, s24
	s_delay_alu instid0(VALU_DEP_1)
	v_sub_nc_u32_e32 v64, v0, v1
	v_xor_b32_e32 v0, 16, v217
	s_clause 0x1
	scratch_store_b32 off, v217, off offset:508
	scratch_store_b32 off, v0, off offset:576
	scratch_load_b32 v32, off, off offset:636 ; 4-byte Folded Reload
	v_cmp_gt_i32_e32 vcc_lo, 32, v0
	s_clause 0x2
	scratch_store_b32 off, v33, off offset:580
	scratch_store_b32 off, v34, off offset:584
	;; [unrolled: 1-line block ×3, first 2 shown]
	v_mad_co_i64_i32 v[147:148], null, s66, v64, s[80:81]
	s_wait_alu 0xfffd
	v_dual_cndmask_b32 v0, v217, v0 :: v_dual_mov_b32 v1, v254
	s_delay_alu instid0(VALU_DEP_1)
	v_lshlrev_b32_e32 v0, 2, v0
	scratch_store_b32 off, v0, off offset:268 ; 4-byte Folded Spill
	v_mov_b32_e32 v0, 0
	s_wait_loadcnt 0x0
	s_wait_alu 0xfffe
	v_add_co_u32 v237, vcc_lo, v32, s86
	scratch_load_b32 v32, off, off offset:640 ; 4-byte Folded Reload
	s_wait_loadcnt 0x0
	s_wait_alu 0xfffd
	v_add_co_ci_u32_e64 v239, null, s87, v32, vcc_lo
	scratch_load_b32 v32, off, off offset:644 ; 4-byte Folded Reload
	s_wait_loadcnt 0x0
	v_add_co_u32 v241, vcc_lo, v32, s86
	scratch_load_b32 v32, off, off offset:648 ; 4-byte Folded Reload
	s_wait_loadcnt 0x0
	s_wait_alu 0xfffd
	v_add_co_ci_u32_e64 v243, null, s87, v32, vcc_lo
	scratch_load_b32 v32, off, off offset:652 ; 4-byte Folded Reload
	s_wait_loadcnt 0x0
	;; [unrolled: 7-line block ×15, first 2 shown]
	v_add_co_u32 v210, vcc_lo, v32, s4
	scratch_load_b32 v32, off, off offset:760 ; 4-byte Folded Reload
	s_clause 0x8
	scratch_store_b128 off, v[201:204], off offset:144
	scratch_store_b128 off, v[56:59], off offset:128
	;; [unrolled: 1-line block ×8, first 2 shown]
	scratch_store_b32 off, v36, off offset:592
	v_mad_co_i64_i32 v[139:140], null, s66, v36, s[80:81]
	v_mad_co_i64_i32 v[141:142], null, s66, v37, s[80:81]
	;; [unrolled: 1-line block ×3, first 2 shown]
	v_mov_b32_e32 v204, v174
	s_clause 0x3
	scratch_store_b32 off, v37, off offset:596
	scratch_store_b32 off, v38, off offset:600
	;; [unrolled: 1-line block ×4, first 2 shown]
	s_wait_loadcnt 0x0
	s_wait_alu 0xfffd
	v_add_co_ci_u32_e64 v215, null, s5, v32, vcc_lo
.LBB24_250:                             ;   Parent Loop BB24_9 Depth=1
                                        ; =>  This Inner Loop Header: Depth=2
	v_add_co_u32 v64, vcc_lo, v133, v234
	s_wait_alu 0xfffd
	v_add_co_ci_u32_e64 v65, null, 0, v134, vcc_lo
	v_add_co_u32 v32, vcc_lo, v135, v234
	s_wait_alu 0xfffd
	v_add_co_ci_u32_e64 v33, null, 0, v136, vcc_lo
	global_load_b32 v34, v[64:65], off
	v_add_nc_u32_e32 v35, v118, v117
	s_add_co_i32 s56, s56, -1
	global_load_b32 v32, v[32:33], off
	s_cmp_lg_u32 s56, 0
	v_add_nc_u32_e32 v33, 0x4400, v35
	s_wait_loadcnt 0x0
	ds_store_2addr_b32 v33, v34, v32 offset1:144
	v_add_co_u32 v32, vcc_lo, v137, v234
	s_wait_alu 0xfffd
	v_add_co_ci_u32_e64 v33, null, 0, v138, vcc_lo
	global_load_b32 v34, v[32:33], off
	v_add_co_u32 v32, vcc_lo, v139, v234
	s_wait_alu 0xfffd
	v_add_co_ci_u32_e64 v33, null, 0, v140, vcc_lo
	global_load_b32 v32, v[32:33], off
	v_add_nc_u32_e32 v33, 0x4800, v35
	s_wait_loadcnt 0x0
	ds_store_2addr_b32 v33, v34, v32 offset0:32 offset1:176
	v_add_co_u32 v32, vcc_lo, v141, v234
	s_wait_alu 0xfffd
	v_add_co_ci_u32_e64 v33, null, 0, v142, vcc_lo
	global_load_b32 v34, v[32:33], off
	v_add_co_u32 v32, vcc_lo, v143, v234
	s_wait_alu 0xfffd
	v_add_co_ci_u32_e64 v33, null, 0, v144, vcc_lo
	global_load_b32 v32, v[32:33], off
	v_add_nc_u32_e32 v33, 0x4c00, v35
	s_wait_loadcnt 0x0
	ds_store_2addr_b32 v33, v34, v32 offset0:64 offset1:208
	;; [unrolled: 11-line block ×3, first 2 shown]
	v_add_co_u32 v32, vcc_lo, v214, v167
	s_wait_alu 0xfffd
	v_add_co_ci_u32_e64 v33, null, 0, v218, vcc_lo
	v_add_co_u32 v34, vcc_lo, v220, v167
	s_wait_alu 0xfffd
	v_add_co_ci_u32_e64 v35, null, 0, v223, vcc_lo
	global_load_b128 v[64:67], v[32:33], off
	global_load_b128 v[68:71], v[34:35], off
	v_add_co_u32 v32, vcc_lo, v226, v167
	s_wait_alu 0xfffd
	v_add_co_ci_u32_e64 v33, null, 0, v229, vcc_lo
	v_add_co_u32 v34, vcc_lo, v232, v167
	s_wait_alu 0xfffd
	v_add_co_ci_u32_e64 v35, null, 0, v233, vcc_lo
	s_wait_loadcnt 0x1
	ds_store_b128 v235, v[64:67]
	s_wait_loadcnt 0x0
	ds_store_b128 v128, v[68:71]
	global_load_b128 v[64:67], v[32:33], off
	global_load_b128 v[68:71], v[34:35], off
	v_add_co_u32 v32, vcc_lo, v236, v167
	s_wait_alu 0xfffd
	v_add_co_ci_u32_e64 v33, null, 0, v238, vcc_lo
	v_add_co_u32 v34, vcc_lo, v240, v167
	s_wait_alu 0xfffd
	v_add_co_ci_u32_e64 v35, null, 0, v242, vcc_lo
	s_wait_loadcnt 0x1
	ds_store_b128 v228, v[64:67]
	s_wait_loadcnt 0x0
	ds_store_b128 v132, v[68:71]
	;; [unrolled: 12-line block ×3, first 2 shown]
	global_load_b128 v[64:67], v[32:33], off
	global_load_b128 v[68:71], v[34:35], off
	s_wait_loadcnt 0x1
	ds_store_b128 v165, v[64:67]
	s_wait_loadcnt 0x0
	ds_store_b128 v225, v[68:71]
	s_wait_storecnt_dscnt 0x0
	s_barrier_signal -1
	s_barrier_wait -1
	global_inv scope:SCOPE_SE
	ds_load_b128 v[72:75], v172
	ds_load_b128 v[76:79], v172 offset:32
	s_clause 0x1
	scratch_load_b128 v[200:203], off, off offset:144
	scratch_load_b128 v[56:59], off, off offset:128
	s_wait_loadcnt_dscnt 0x101
	v_wmma_f32_16x16x16_f16 v[64:71], v[72:75], v[200:203], 0
	s_wait_loadcnt_dscnt 0x0
	s_delay_alu instid0(VALU_DEP_1)
	v_wmma_f32_16x16x16_f16 v[64:71], v[76:79], v[56:59], v[64:71]
	ds_load_b128 v[72:75], v172 offset:64
	ds_load_b128 v[76:79], v172 offset:96
	s_clause 0x1
	scratch_load_b128 v[44:47], off, off offset:208
	scratch_load_b128 v[48:51], off, off offset:160
	s_wait_loadcnt_dscnt 0x101
	v_wmma_f32_16x16x16_f16 v[64:71], v[72:75], v[44:47], v[64:71]
	s_wait_loadcnt_dscnt 0x0
	s_delay_alu instid0(VALU_DEP_1)
	v_wmma_f32_16x16x16_f16 v[64:71], v[76:79], v[48:51], v[64:71]
	ds_load_b128 v[72:75], v172 offset:128
	;; [unrolled: 10-line block ×3, first 2 shown]
	ds_load_b128 v[76:79], v172 offset:224
	s_clause 0x1
	scratch_load_b128 v[40:43], off, off offset:224
	scratch_load_b128 v[191:194], off, off offset:240
	s_wait_loadcnt_dscnt 0x101
	v_wmma_f32_16x16x16_f16 v[64:71], v[72:75], v[40:43], v[64:71]
	s_wait_loadcnt_dscnt 0x0
	s_delay_alu instid0(VALU_DEP_1)
	v_wmma_f32_16x16x16_f16 v[64:71], v[76:79], v[191:194], v[64:71]
	v_add_nc_u32_e32 v84, 0x4400, v208
	v_add_nc_u32_e32 v86, 0x4400, v205
	ds_load_b128 v[72:75], v172 offset:4352
	ds_load_b128 v[76:79], v172 offset:4384
	;; [unrolled: 1-line block ×24, first 2 shown]
	s_wait_dscnt 0x0
	s_barrier_signal -1
	s_barrier_wait -1
	global_inv scope:SCOPE_SE
	ds_load_2addr_b32 v[84:85], v84 offset1:1
	ds_load_2addr_b32 v[96:97], v86 offset1:1
	scratch_load_b32 v86, off, off offset:256 ; 4-byte Folded Reload
	ds_load_b32 v89, v208 offset:17416
	s_wait_dscnt 0x2
	v_cvt_f32_f16_e32 v87, v84
	v_lshrrev_b32_e32 v84, 16, v84
	v_cvt_f32_f16_e32 v88, v85
	v_lshrrev_b32_e32 v85, 16, v85
	s_wait_dscnt 0x0
	v_cvt_f32_f16_e32 v90, v89
	v_lshrrev_b32_e32 v89, 16, v89
	s_delay_alu instid0(VALU_DEP_3) | instskip(NEXT) | instid1(VALU_DEP_2)
	v_cvt_f32_f16_e64 v162, v85
	v_cvt_f32_f16_e32 v89, v89
	s_wait_loadcnt 0x0
	ds_load_b32 v86, v86 offset:17408
	s_wait_dscnt 0x0
	v_lshrrev_b32_e32 v91, 16, v86
	v_cvt_f32_f16_e64 v161, v86
	v_cvt_f32_f16_e32 v86, v84
	v_dual_add_f32 v84, v64, v87 :: v_dual_add_f32 v87, v67, v162
	s_delay_alu instid0(VALU_DEP_4) | instskip(SKIP_1) | instid1(VALU_DEP_4)
	v_cvt_f32_f16_e64 v163, v91
	v_add_f32_e32 v91, v68, v90
	v_dual_add_f32 v85, v65, v86 :: v_dual_add_f32 v86, v66, v88
	v_add_f32_e32 v90, v69, v89
	s_delay_alu instid0(VALU_DEP_4) | instskip(SKIP_3) | instid1(VALU_DEP_1)
	v_dual_add_f32 v89, v70, v161 :: v_dual_add_f32 v88, v71, v163
	v_wmma_f32_16x16x16_f16 v[64:71], v[72:75], v[200:203], 0
	scratch_load_b32 v73, off, off offset:264 ; 4-byte Folded Reload
	v_wmma_f32_16x16x16_f16 v[64:71], v[76:79], v[56:59], v[64:71]
	v_wmma_f32_16x16x16_f16 v[64:71], v[80:83], v[44:47], v[64:71]
	v_lshrrev_b32_e32 v81, 16, v96
	v_cvt_f32_f16_e32 v82, v97
	v_lshrrev_b32_e32 v83, 16, v97
	v_cvt_f32_f16_e32 v80, v96
	v_wmma_f32_16x16x16_f16 v[64:71], v[92:95], v[48:51], v[64:71]
	v_cvt_f32_f16_e32 v81, v81
	s_delay_alu instid0(VALU_DEP_4) | instskip(NEXT) | instid1(VALU_DEP_3)
	v_cvt_f32_f16_e32 v83, v83
	v_wmma_f32_16x16x16_f16 v[64:71], v[149:152], v[60:63], v[64:71]
	s_delay_alu instid0(VALU_DEP_1) | instskip(NEXT) | instid1(VALU_DEP_1)
	v_wmma_f32_16x16x16_f16 v[64:71], v[153:156], v[52:55], v[64:71]
	v_wmma_f32_16x16x16_f16 v[64:71], v[124:127], v[40:43], v[64:71]
	s_delay_alu instid0(VALU_DEP_1) | instskip(SKIP_2) | instid1(VALU_DEP_3)
	v_wmma_f32_16x16x16_f16 v[64:71], v[128:131], v[191:194], v[64:71]
	v_add_nc_u32_e32 v72, 0x4400, v221
	v_add_nc_u32_e32 v76, 0x4400, v204
	v_dual_add_f32 v149, v65, v81 :: v_dual_add_nc_u32 v128, 0x880, v235
	s_wait_loadcnt 0x0
	v_dual_add_f32 v93, v66, v82 :: v_dual_add_nc_u32 v74, 0x4400, v73
	scratch_load_b32 v73, off, off offset:260 ; 4-byte Folded Reload
	s_wait_loadcnt 0x0
	v_add_nc_u32_e32 v78, 0x4400, v73
	ds_load_2addr_b32 v[72:73], v72 offset1:1
	ds_load_2addr_b32 v[74:75], v74 offset1:1
	;; [unrolled: 1-line block ×4, first 2 shown]
	s_wait_dscnt 0x3
	v_cvt_f32_f16_e32 v94, v72
	v_lshrrev_b32_e32 v72, 16, v72
	v_lshrrev_b32_e32 v92, 16, v73
	v_cvt_f32_f16_e32 v73, v73
	s_delay_alu instid0(VALU_DEP_4) | instskip(NEXT) | instid1(VALU_DEP_4)
	v_dual_add_f32 v150, v67, v83 :: v_dual_add_f32 v153, v68, v94
	v_cvt_f32_f16_e32 v72, v72
	s_delay_alu instid0(VALU_DEP_4) | instskip(NEXT) | instid1(VALU_DEP_4)
	v_cvt_f32_f16_e32 v96, v92
	v_dual_add_f32 v92, v64, v80 :: v_dual_add_f32 v95, v70, v73
	s_wait_dscnt 0x2
	v_lshrrev_b32_e32 v73, 16, v74
	v_add_f32_e32 v151, v69, v72
	v_add_f32_e32 v94, v71, v96
	v_wmma_f32_16x16x16_f16 v[64:71], v[157:160], v[200:203], 0
	v_cvt_f32_f16_e32 v72, v74
	v_cvt_f32_f16_e32 v74, v75
	v_lshrrev_b32_e32 v75, 16, v75
	s_delay_alu instid0(VALU_DEP_4)
	v_wmma_f32_16x16x16_f16 v[64:71], v[196:199], v[56:59], v[64:71]
	s_wait_dscnt 0x1
	v_cvt_f32_f16_e32 v80, v76
	v_lshrrev_b32_e32 v76, 16, v76
	v_lshrrev_b32_e32 v81, 16, v77
	v_cvt_f32_f16_e32 v77, v77
	v_wmma_f32_16x16x16_f16 v[64:71], v[249:252], v[44:47], v[64:71]
	v_cvt_f32_f16_e32 v73, v73
	v_cvt_f32_f16_e32 v75, v75
	;; [unrolled: 1-line block ×4, first 2 shown]
	v_wmma_f32_16x16x16_f16 v[64:71], v[186:189], v[48:51], v[64:71]
	s_delay_alu instid0(VALU_DEP_1) | instskip(NEXT) | instid1(VALU_DEP_1)
	v_wmma_f32_16x16x16_f16 v[64:71], v[108:111], v[60:63], v[64:71]
	v_wmma_f32_16x16x16_f16 v[64:71], v[112:115], v[52:55], v[64:71]
	s_delay_alu instid0(VALU_DEP_1) | instskip(NEXT) | instid1(VALU_DEP_1)
	v_wmma_f32_16x16x16_f16 v[64:71], v[181:184], v[40:43], v[64:71]
	v_wmma_f32_16x16x16_f16 v[64:71], v[173:176], v[191:194], v[64:71]
	s_delay_alu instid0(VALU_DEP_1) | instskip(NEXT) | instid1(VALU_DEP_2)
	v_dual_add_f32 v159, v64, v72 :: v_dual_add_f32 v160, v67, v75
	v_add_f32_e32 v161, v65, v73
	s_delay_alu instid0(VALU_DEP_3) | instskip(NEXT) | instid1(VALU_DEP_4)
	v_dual_add_f32 v163, v66, v74 :: v_dual_add_f32 v196, v69, v76
	v_dual_add_f32 v197, v68, v80 :: v_dual_add_f32 v176, v70, v77
	v_add_f32_e32 v175, v71, v81
	v_wmma_f32_16x16x16_f16 v[64:71], v[168:171], v[200:203], 0
	v_add_nc_u32_e32 v80, 0x400, v185
	s_delay_alu instid0(VALU_DEP_2) | instskip(NEXT) | instid1(VALU_DEP_1)
	v_wmma_f32_16x16x16_f16 v[64:71], v[177:180], v[56:59], v[64:71]
	v_wmma_f32_16x16x16_f16 v[64:71], v[100:103], v[44:47], v[64:71]
	s_delay_alu instid0(VALU_DEP_1) | instskip(NEXT) | instid1(VALU_DEP_1)
	v_wmma_f32_16x16x16_f16 v[64:71], v[104:107], v[48:51], v[64:71]
	v_wmma_f32_16x16x16_f16 v[64:71], v[116:119], v[60:63], v[64:71]
	scratch_load_b32 v117, off, off         ; 4-byte Folded Reload
	v_add_nc_u32_e32 v118, 0, v234
	v_wmma_f32_16x16x16_f16 v[64:71], v[120:123], v[52:55], v[64:71]
	s_delay_alu instid0(VALU_DEP_1)
	v_wmma_f32_16x16x16_f16 v[64:71], v[32:35], v[40:43], v[64:71]
	v_add_nc_u32_e32 v32, 0x4400, v231
	s_wait_dscnt 0x0
	v_cvt_f32_f16_e32 v34, v78
	v_lshrrev_b32_e32 v35, 16, v78
	v_wmma_f32_16x16x16_f16 v[64:71], v[36:39], v[191:194], v[64:71]
	ds_load_2addr_b32 v[32:33], v32 offset1:1
	v_lshrrev_b32_e32 v37, 16, v79
	v_cvt_f32_f16_e32 v36, v79
	v_cvt_f32_f16_e32 v35, v35
	v_add_f32_e32 v219, v64, v34
	s_delay_alu instid0(VALU_DEP_4) | instskip(NEXT) | instid1(VALU_DEP_1)
	v_cvt_f32_f16_e32 v37, v37
	v_dual_add_f32 v224, v66, v36 :: v_dual_add_f32 v227, v67, v37
	s_wait_dscnt 0x0
	v_cvt_f32_f16_e32 v38, v32
	v_lshrrev_b32_e32 v32, 16, v32
	v_lshrrev_b32_e32 v39, 16, v33
	v_cvt_f32_f16_e32 v33, v33
	s_delay_alu instid0(VALU_DEP_4) | instskip(NEXT) | instid1(VALU_DEP_4)
	v_dual_add_f32 v221, v65, v35 :: v_dual_add_f32 v158, v68, v38
	v_cvt_f32_f16_e32 v32, v32
	s_delay_alu instid0(VALU_DEP_4) | instskip(NEXT) | instid1(VALU_DEP_2)
	v_cvt_f32_f16_e32 v39, v39
	v_dual_add_f32 v194, v70, v33 :: v_dual_add_f32 v157, v69, v32
	v_add_co_u32 v32, vcc_lo, v237, v167
	s_wait_alu 0xfffd
	v_add_co_ci_u32_e64 v33, null, 0, v239, vcc_lo
	v_add_co_u32 v36, vcc_lo, v241, v167
	s_wait_alu 0xfffd
	v_add_co_ci_u32_e64 v37, null, 0, v243, vcc_lo
	v_add_f32_e32 v168, v71, v39
	global_load_b128 v[32:35], v[32:33], off
	global_load_b128 v[36:39], v[36:37], off
	s_wait_loadcnt 0x1
	ds_store_b128 v235, v[32:35]
	s_wait_loadcnt 0x0
	ds_store_b128 v128, v[36:39]
	v_add_co_u32 v32, vcc_lo, v245, v167
	s_wait_alu 0xfffd
	v_add_co_ci_u32_e64 v33, null, 0, v248, vcc_lo
	v_add_co_u32 v36, vcc_lo, v195, v167
	s_wait_alu 0xfffd
	v_add_co_ci_u32_e64 v37, null, 0, v216, vcc_lo
	global_load_b128 v[32:35], v[32:33], off
	global_load_b128 v[36:39], v[36:37], off
	s_wait_loadcnt 0x1
	ds_store_b128 v228, v[32:35]
	s_wait_loadcnt 0x0
	ds_store_b128 v132, v[36:39]
	v_add_co_u32 v32, vcc_lo, v98, v167
	s_wait_alu 0xfffd
	v_add_co_ci_u32_e64 v33, null, 0, v99, vcc_lo
	v_add_co_u32 v36, vcc_lo, v213, v167
	s_wait_alu 0xfffd
	v_add_co_ci_u32_e64 v37, null, 0, v164, vcc_lo
	;; [unrolled: 12-line block ×3, first 2 shown]
	global_load_b128 v[32:35], v[32:33], off
	global_load_b128 v[36:39], v[36:37], off
	s_wait_loadcnt 0x1
	ds_store_b128 v165, v[32:35]
	s_wait_loadcnt 0x0
	ds_store_b128 v225, v[36:39]
	s_wait_dscnt 0x0
	s_barrier_signal -1
	s_barrier_wait -1
	global_inv scope:SCOPE_SE
	ds_load_2addr_b32 v[32:33], v80 offset0:16 offset1:32
	ds_load_2addr_b32 v[34:35], v80 offset0:84 offset1:100
	ds_load_2addr_b32 v[36:37], v212 offset1:16
	ds_load_2addr_b32 v[38:39], v222 offset1:16
	s_wait_dscnt 0x2
	v_perm_b32 v66, v34, v32, 0x7060302
	v_perm_b32 v70, v34, v32, 0x5040100
	v_perm_b32 v74, v35, v33, 0x7060302
	v_perm_b32 v78, v35, v33, 0x5040100
	ds_load_2addr_b32 v[32:33], v185 offset0:136 offset1:152
	ds_load_2addr_b32 v[34:35], v185 offset0:204 offset1:220
	s_wait_dscnt 0x2
	v_perm_b32 v67, v38, v36, 0x7060302
	v_perm_b32 v71, v38, v36, 0x5040100
	;; [unrolled: 1-line block ×4, first 2 shown]
	s_wait_dscnt 0x0
	v_perm_b32 v65, v34, v32, 0x7060302
	v_perm_b32 v69, v34, v32, 0x5040100
	;; [unrolled: 1-line block ×4, first 2 shown]
	ds_load_2addr_b32 v[32:33], v185 offset1:16
	ds_load_2addr_b32 v[34:35], v185 offset0:68 offset1:84
	s_wait_dscnt 0x0
	v_perm_b32 v64, v34, v32, 0x7060302
	v_perm_b32 v68, v34, v32, 0x5040100
	;; [unrolled: 1-line block ×4, first 2 shown]
	ds_load_2addr_b32 v[32:33], v80 offset0:48 offset1:64
	ds_load_2addr_b32 v[36:37], v80 offset0:116 offset1:132
	;; [unrolled: 1-line block ×4, first 2 shown]
	s_wait_dscnt 0x2
	v_perm_b32 v38, v37, v33, 0x7060302
	v_perm_b32 v102, v37, v33, 0x5040100
	s_wait_dscnt 0x0
	v_perm_b32 v83, v96, v80, 0x7060302
	v_perm_b32 v35, v96, v80, 0x5040100
	;; [unrolled: 1-line block ×4, first 2 shown]
	ds_load_2addr_b32 v[96:97], v185 offset0:168 offset1:184
	ds_load_2addr_b32 v[100:101], v185 offset0:236 offset1:252
	v_perm_b32 v82, v36, v32, 0x7060302
	v_perm_b32 v34, v36, v32, 0x5040100
	s_wait_dscnt 0x0
	v_perm_b32 v81, v100, v96, 0x7060302
	v_perm_b32 v33, v100, v96, 0x5040100
	;; [unrolled: 1-line block ×4, first 2 shown]
	ds_load_2addr_b32 v[96:97], v185 offset0:32 offset1:48
	ds_load_2addr_b32 v[104:105], v185 offset0:100 offset1:116
	s_wait_dscnt 0x0
	v_perm_b32 v80, v104, v96, 0x7060302
	v_perm_b32 v32, v104, v96, 0x5040100
	;; [unrolled: 1-line block ×4, first 2 shown]
	v_mov_b32_e32 v104, v253
	v_dual_add_f32 v96, 0x40051340, v84 :: v_dual_add_f32 v97, 0x40051340, v85
	v_add_f32_e32 v105, 0x40051340, v87
	s_delay_alu instid0(VALU_DEP_2) | instskip(SKIP_1) | instid1(VALU_DEP_1)
	v_max3_num_f32 v96, v104, v96, v97
	v_add_f32_e32 v97, 0x40051340, v86
	v_max3_num_f32 v96, v96, v97, v105
	v_add_f32_e32 v97, 0x40051340, v91
	v_add_f32_e32 v105, 0x40051340, v90
	s_delay_alu instid0(VALU_DEP_1) | instskip(SKIP_2) | instid1(VALU_DEP_1)
	v_max3_num_f32 v96, v96, v97, v105
	v_add_f32_e32 v97, 0x40051340, v89
	v_add_f32_e32 v105, 0x40051340, v88
	v_max3_num_f32 v96, v96, v97, v105
	v_add_f32_e32 v97, 0x40051340, v92
	v_add_f32_e32 v105, 0x40051340, v149
	s_delay_alu instid0(VALU_DEP_1) | instskip(SKIP_2) | instid1(VALU_DEP_1)
	v_max3_num_f32 v96, v96, v97, v105
	v_add_f32_e32 v97, 0x40051340, v93
	;; [unrolled: 7-line block ×7, first 2 shown]
	v_add_f32_e32 v105, 0x40051340, v168
	v_max3_num_f32 v96, v96, v97, v105
	scratch_load_b32 v97, off, off offset:268 ; 4-byte Folded Reload
	s_wait_loadcnt 0x0
	ds_bpermute_b32 v97, v97, v96
	s_wait_dscnt 0x0
	v_max_num_f32_e32 v97, v97, v97
	s_delay_alu instid0(VALU_DEP_1) | instskip(NEXT) | instid1(VALU_DEP_1)
	v_max_num_f32_e32 v253, v96, v97
	v_sub_f32_e32 v91, v91, v253
	v_sub_f32_e32 v90, v90, v253
	s_delay_alu instid0(VALU_DEP_2) | instskip(NEXT) | instid1(VALU_DEP_2)
	v_mul_f32_e32 v96, 0x3fb8aa3b, v91
	v_cmp_ngt_f32_e32 vcc_lo, 0xc2ce8ed0, v90
	s_delay_alu instid0(VALU_DEP_2) | instskip(SKIP_1) | instid1(VALU_DEP_1)
	v_fma_f32 v97, 0x3fb8aa3b, v91, -v96
	v_rndne_f32_e32 v105, v96
	v_dual_fmac_f32 v97, 0x32a5705f, v91 :: v_dual_sub_f32 v96, v96, v105
	v_cvt_i32_f32_e32 v105, v105
	s_delay_alu instid0(VALU_DEP_2) | instskip(NEXT) | instid1(VALU_DEP_1)
	v_dual_add_f32 v96, v96, v97 :: v_dual_mul_f32 v97, 0x3fb8aa3b, v90
	v_exp_f32_e32 v96, v96
	s_delay_alu instid0(VALU_DEP_1) | instskip(SKIP_1) | instid1(VALU_DEP_1)
	v_fma_f32 v106, 0x3fb8aa3b, v90, -v97
	v_rndne_f32_e32 v107, v97
	v_dual_fmac_f32 v106, 0x32a5705f, v90 :: v_dual_sub_f32 v97, v97, v107
	v_sub_f32_e32 v89, v89, v253
	v_sub_f32_e32 v88, v88, v253
	s_delay_alu instid0(TRANS32_DEP_1) | instskip(NEXT) | instid1(VALU_DEP_4)
	v_ldexp_f32 v96, v96, v105
	v_dual_sub_f32 v86, v86, v253 :: v_dual_add_f32 v97, v97, v106
	s_delay_alu instid0(VALU_DEP_4)
	v_mul_f32_e32 v106, 0x3fb8aa3b, v89
	v_sub_f32_e32 v87, v87, v253
	v_cmp_ngt_f32_e64 s4, 0xc2ce8ed0, v88
	v_sub_f32_e32 v85, v85, v253
	v_sub_f32_e32 v84, v84, v253
	v_fma_f32 v108, 0x3fb8aa3b, v89, -v106
	v_rndne_f32_e32 v109, v106
	v_sub_f32_e32 v94, v94, v253
	v_sub_f32_e32 v95, v95, v253
	s_delay_alu instid0(VALU_DEP_4) | instskip(NEXT) | instid1(VALU_DEP_4)
	v_fmac_f32_e32 v108, 0x32a5705f, v89
	v_sub_f32_e32 v106, v106, v109
	v_cvt_i32_f32_e32 v105, v109
	s_delay_alu instid0(VALU_DEP_2) | instskip(SKIP_2) | instid1(VALU_DEP_3)
	v_add_f32_e32 v106, v106, v108
	v_mul_f32_e32 v108, 0x3fb8aa3b, v88
	v_cmp_ngt_f32_e64 s5, 0xc2ce8ed0, v91
	v_exp_f32_e32 v106, v106
	s_delay_alu instid0(VALU_DEP_2) | instskip(SKIP_1) | instid1(VALU_DEP_2)
	v_fma_f32 v110, 0x3fb8aa3b, v88, -v108
	v_rndne_f32_e32 v111, v108
	v_fmac_f32_e32 v110, 0x32a5705f, v88
	s_delay_alu instid0(VALU_DEP_2) | instskip(SKIP_1) | instid1(TRANS32_DEP_2)
	v_sub_f32_e32 v108, v108, v111
	v_exp_f32_e32 v97, v97
	v_ldexp_f32 v105, v106, v105
	v_cvt_i32_f32_e32 v106, v107
	s_delay_alu instid0(VALU_DEP_3) | instskip(NEXT) | instid1(VALU_DEP_1)
	v_add_f32_e32 v108, v108, v110
	v_exp_f32_e32 v107, v108
	s_delay_alu instid0(TRANS32_DEP_2) | instid1(VALU_DEP_2)
	v_ldexp_f32 v97, v97, v106
	v_cvt_i32_f32_e32 v106, v111
	s_delay_alu instid0(TRANS32_DEP_1) | instid1(VALU_DEP_1)
	v_ldexp_f32 v106, v107, v106
	s_wait_alu 0xfffd
	s_delay_alu instid0(VALU_DEP_3) | instskip(SKIP_2) | instid1(VALU_DEP_2)
	v_cndmask_b32_e32 v107, 0, v97, vcc_lo
	v_cmp_nlt_f32_e32 vcc_lo, 0x42b17218, v90
	s_wait_alu 0xfffd
	v_cndmask_b32_e32 v186, 0x7f800000, v107, vcc_lo
	v_cmp_ngt_f32_e64 s3, 0xc2ce8ed0, v89
	s_wait_alu 0xf1ff
	s_delay_alu instid0(VALU_DEP_1)
	v_cndmask_b32_e64 v90, 0, v105, s3
	v_cmp_nlt_f32_e64 s3, 0x42b17218, v89
	v_cndmask_b32_e64 v89, 0, v106, s4
	v_cmp_nlt_f32_e64 s4, 0x42b17218, v88
	;; [unrolled: 2-line block ×3, first 2 shown]
	s_wait_alu 0xf1ff
	v_cndmask_b32_e64 v96, 0x7f800000, v90, s3
	v_cvt_f16_f32_e64 v91, v186
	v_cndmask_b32_e64 v162, 0x7f800000, v89, s4
	v_cmp_ngt_f32_e64 s3, 0xc2ce8ed0, v86
	v_cndmask_b32_e64 v97, 0x7f800000, v88, s5
	v_cvt_f16_f32_e32 v89, v96
	v_cmp_ngt_f32_e64 s4, 0xc2ce8ed0, v94
	v_cvt_f16_f32_e64 v90, v162
	s_delay_alu instid0(VALU_DEP_4) | instskip(NEXT) | instid1(VALU_DEP_2)
	v_cvt_f16_f32_e32 v88, v97
	v_pack_b32_f16 v89, v89, v90
	v_mul_f32_e32 v90, 0x3fb8aa3b, v87
	s_delay_alu instid0(VALU_DEP_3) | instskip(NEXT) | instid1(VALU_DEP_2)
	v_pack_b32_f16 v88, v88, v91
	v_fma_f32 v91, 0x3fb8aa3b, v87, -v90
	v_rndne_f32_e32 v105, v90
	s_delay_alu instid0(VALU_DEP_1) | instskip(SKIP_1) | instid1(VALU_DEP_2)
	v_dual_fmac_f32 v91, 0x32a5705f, v87 :: v_dual_sub_f32 v90, v90, v105
	v_cvt_i32_f32_e32 v105, v105
	v_dual_add_f32 v90, v90, v91 :: v_dual_mul_f32 v91, 0x3fb8aa3b, v86
	s_delay_alu instid0(VALU_DEP_1) | instskip(NEXT) | instid1(VALU_DEP_1)
	v_exp_f32_e32 v90, v90
	v_fma_f32 v106, 0x3fb8aa3b, v86, -v91
	v_rndne_f32_e32 v107, v91
	s_delay_alu instid0(VALU_DEP_1) | instskip(SKIP_1) | instid1(TRANS32_DEP_1)
	v_dual_fmac_f32 v106, 0x32a5705f, v86 :: v_dual_sub_f32 v91, v91, v107
	v_cmp_ngt_f32_e32 vcc_lo, 0xc2ce8ed0, v87
	v_ldexp_f32 v90, v90, v105
	v_cvt_i32_f32_e32 v105, v107
	s_delay_alu instid0(VALU_DEP_4) | instskip(SKIP_1) | instid1(VALU_DEP_3)
	v_add_f32_e32 v91, v91, v106
	s_wait_alu 0xfffd
	v_cndmask_b32_e32 v90, 0, v90, vcc_lo
	v_cmp_nlt_f32_e32 vcc_lo, 0x42b17218, v87
	s_delay_alu instid0(VALU_DEP_3) | instskip(SKIP_1) | instid1(VALU_DEP_2)
	v_exp_f32_e32 v91, v91
	s_wait_alu 0xfffd
	v_cndmask_b32_e32 v199, 0x7f800000, v90, vcc_lo
	v_cmp_ngt_f32_e32 vcc_lo, 0xc2ce8ed0, v85
	s_delay_alu instid0(TRANS32_DEP_1) | instskip(SKIP_1) | instid1(VALU_DEP_1)
	v_ldexp_f32 v91, v91, v105
	s_wait_alu 0xf1ff
	v_cndmask_b32_e64 v87, 0, v91, s3
	v_cmp_nlt_f32_e64 s3, 0x42b17218, v86
	s_wait_alu 0xf1ff
	s_delay_alu instid0(VALU_DEP_1) | instskip(SKIP_2) | instid1(VALU_DEP_3)
	v_cndmask_b32_e64 v211, 0x7f800000, v87, s3
	v_cvt_f16_f32_e64 v87, v199
	v_cmp_ngt_f32_e64 s3, 0xc2ce8ed0, v84
	v_cvt_f16_f32_e64 v86, v211
	s_delay_alu instid0(VALU_DEP_1) | instskip(SKIP_1) | instid1(VALU_DEP_1)
	v_pack_b32_f16 v87, v86, v87
	v_mul_f32_e32 v86, 0x3fb8aa3b, v85
	v_fma_f32 v90, 0x3fb8aa3b, v85, -v86
	v_rndne_f32_e32 v91, v86
	s_delay_alu instid0(VALU_DEP_2) | instskip(NEXT) | instid1(VALU_DEP_2)
	v_fmac_f32_e32 v90, 0x32a5705f, v85
	v_sub_f32_e32 v86, v86, v91
	v_cvt_i32_f32_e32 v91, v91
	s_delay_alu instid0(VALU_DEP_2) | instskip(SKIP_1) | instid1(VALU_DEP_2)
	v_add_f32_e32 v86, v86, v90
	v_mul_f32_e32 v90, 0x3fb8aa3b, v84
	v_exp_f32_e32 v86, v86
	s_delay_alu instid0(VALU_DEP_1) | instskip(SKIP_1) | instid1(VALU_DEP_1)
	v_fma_f32 v105, 0x3fb8aa3b, v84, -v90
	v_rndne_f32_e32 v106, v90
	v_dual_fmac_f32 v105, 0x32a5705f, v84 :: v_dual_sub_f32 v90, v90, v106
	s_delay_alu instid0(TRANS32_DEP_1) | instskip(SKIP_1) | instid1(VALU_DEP_3)
	v_ldexp_f32 v86, v86, v91
	v_cvt_i32_f32_e32 v91, v106
	v_add_f32_e32 v90, v90, v105
	s_wait_alu 0xfffd
	s_delay_alu instid0(VALU_DEP_3) | instskip(SKIP_1) | instid1(VALU_DEP_3)
	v_cndmask_b32_e32 v86, 0, v86, vcc_lo
	v_cmp_nlt_f32_e32 vcc_lo, 0x42b17218, v85
	v_exp_f32_e32 v90, v90
	s_wait_alu 0xfffd
	s_delay_alu instid0(VALU_DEP_2) | instskip(NEXT) | instid1(TRANS32_DEP_1)
	v_cndmask_b32_e32 v208, 0x7f800000, v86, vcc_lo
	v_ldexp_f32 v90, v90, v91
	s_wait_alu 0xf1ff
	s_delay_alu instid0(VALU_DEP_1) | instskip(SKIP_2) | instid1(VALU_DEP_1)
	v_cndmask_b32_e64 v85, 0, v90, s3
	v_cmp_nlt_f32_e64 s3, 0x42b17218, v84
	s_wait_alu 0xf1ff
	v_cndmask_b32_e64 v198, 0x7f800000, v85, s3
	v_cvt_f16_f32_e64 v85, v208
	v_cmp_ngt_f32_e64 s3, 0xc2ce8ed0, v95
	s_delay_alu instid0(VALU_DEP_3) | instskip(NEXT) | instid1(VALU_DEP_1)
	v_cvt_f16_f32_e64 v84, v198
	v_pack_b32_f16 v86, v84, v85
	v_sub_f32_e32 v84, v104, v253
	s_delay_alu instid0(VALU_DEP_1) | instskip(SKIP_1) | instid1(VALU_DEP_2)
	v_mul_f32_e32 v85, 0x3fb8aa3b, v84
	v_cmp_ngt_f32_e32 vcc_lo, 0xc2ce8ed0, v84
	v_fma_f32 v90, 0x3fb8aa3b, v84, -v85
	v_rndne_f32_e32 v91, v85
	s_delay_alu instid0(VALU_DEP_1) | instskip(NEXT) | instid1(VALU_DEP_1)
	v_dual_fmac_f32 v90, 0x32a5705f, v84 :: v_dual_sub_f32 v85, v85, v91
	v_add_f32_e32 v85, v85, v90
	v_cvt_i32_f32_e32 v90, v91
	s_delay_alu instid0(VALU_DEP_2) | instskip(NEXT) | instid1(TRANS32_DEP_1)
	v_exp_f32_e32 v85, v85
	v_ldexp_f32 v85, v85, v90
	s_wait_alu 0xfffd
	s_delay_alu instid0(VALU_DEP_1) | instskip(SKIP_2) | instid1(VALU_DEP_2)
	v_cndmask_b32_e32 v85, 0, v85, vcc_lo
	v_cmp_nlt_f32_e32 vcc_lo, 0x42b17218, v84
	s_wait_alu 0xfffd
	v_cndmask_b32_e32 v85, 0x7f800000, v85, vcc_lo
	v_cmp_le_f32_e32 vcc_lo, 0xc1a00000, v84
	s_wait_alu 0xfffd
	s_delay_alu instid0(VALU_DEP_2) | instskip(NEXT) | instid1(VALU_DEP_1)
	v_cndmask_b32_e32 v166, 0, v85, vcc_lo
	v_cvt_f16_f32_e64 v84, v166
	s_delay_alu instid0(VALU_DEP_1) | instskip(NEXT) | instid1(VALU_DEP_1)
	v_and_b32_e32 v84, 0xffff, v84
	v_mul_u32_u24_e32 v84, 0x10001, v84
	s_delay_alu instid0(VALU_DEP_1)
	v_pk_mul_f16 v24, v24, v84
	v_pk_mul_f16 v25, v25, v84
	;; [unrolled: 1-line block ×32, first 2 shown]
	v_add_nc_u32_e32 v84, 0x1400, v185
	v_wmma_f16_16x16x16_f16 v[24:27], v[76:79], v[86:89], v[24:27]
	v_add_nc_u32_e32 v76, 0x1000, v212
	v_add_nc_u32_e32 v77, 0x1000, v222
	v_wmma_f16_16x16x16_f16 v[20:23], v[64:67], v[86:89], v[20:23]
	v_wmma_f16_16x16x16_f16 v[12:15], v[32:35], v[86:89], v[12:15]
	;; [unrolled: 1-line block ×3, first 2 shown]
	ds_load_2addr_b32 v[32:33], v84 offset0:80 offset1:96
	ds_load_2addr_b32 v[36:37], v84 offset0:148 offset1:164
	;; [unrolled: 1-line block ×4, first 2 shown]
	v_wmma_f16_16x16x16_f16 v[28:31], v[68:71], v[86:89], v[28:31]
	v_wmma_f16_16x16x16_f16 v[16:19], v[72:75], v[86:89], v[16:19]
	;; [unrolled: 1-line block ×4, first 2 shown]
	v_add_nc_u32_e32 v88, 0x1000, v185
	s_wait_dscnt 0x2
	v_perm_b32 v66, v36, v32, 0x7060302
	v_perm_b32 v34, v36, v32, 0x5040100
	s_wait_dscnt 0x0
	v_perm_b32 v67, v64, v38, 0x7060302
	v_perm_b32 v35, v64, v38, 0x5040100
	;; [unrolled: 1-line block ×6, first 2 shown]
	ds_load_2addr_b32 v[36:37], v88 offset0:200 offset1:216
	ds_load_2addr_b32 v[38:39], v84 offset0:12 offset1:28
	s_wait_dscnt 0x0
	v_perm_b32 v65, v38, v36, 0x7060302
	v_perm_b32 v33, v38, v36, 0x5040100
	;; [unrolled: 1-line block ×4, first 2 shown]
	ds_load_2addr_b32 v[36:37], v88 offset0:64 offset1:80
	ds_load_2addr_b32 v[38:39], v88 offset0:132 offset1:148
	s_wait_dscnt 0x0
	v_perm_b32 v64, v38, v36, 0x7060302
	v_perm_b32 v32, v38, v36, 0x5040100
	;; [unrolled: 1-line block ×4, first 2 shown]
	ds_load_2addr_b32 v[36:37], v76 offset0:96 offset1:112
	ds_load_2addr_b32 v[38:39], v77 offset0:96 offset1:112
	ds_load_2addr_b32 v[76:77], v84 offset0:112 offset1:128
	ds_load_2addr_b32 v[80:81], v84 offset0:180 offset1:196
	s_wait_dscnt 0x2
	v_perm_b32 v79, v38, v36, 0x7060302
	v_perm_b32 v83, v38, v36, 0x5040100
	;; [unrolled: 1-line block ×4, first 2 shown]
	ds_load_2addr_b32 v[36:37], v84 offset0:44 offset1:60
	ds_load_2addr_b32 v[38:39], v88 offset0:232 offset1:248
	s_wait_dscnt 0x2
	v_perm_b32 v86, v81, v77, 0x7060302
	v_perm_b32 v90, v81, v77, 0x5040100
	;; [unrolled: 1-line block ×4, first 2 shown]
	s_wait_dscnt 0x0
	v_perm_b32 v77, v36, v38, 0x7060302
	v_perm_b32 v81, v36, v38, 0x5040100
	;; [unrolled: 1-line block ×4, first 2 shown]
	ds_load_2addr_b32 v[36:37], v88 offset0:96 offset1:112
	ds_load_2addr_b32 v[38:39], v88 offset0:164 offset1:180
	s_wait_dscnt 0x0
	v_perm_b32 v76, v38, v36, 0x7060302
	v_perm_b32 v80, v38, v36, 0x5040100
	v_sub_f32_e32 v36, v153, v253
	v_perm_b32 v84, v39, v37, 0x7060302
	v_perm_b32 v88, v39, v37, 0x5040100
	s_delay_alu instid0(VALU_DEP_3) | instskip(SKIP_1) | instid1(VALU_DEP_2)
	v_mul_f32_e32 v37, 0x3fb8aa3b, v36
	v_cmp_ngt_f32_e64 s5, 0xc2ce8ed0, v36
	v_fma_f32 v38, 0x3fb8aa3b, v36, -v37
	v_rndne_f32_e32 v39, v37
	s_delay_alu instid0(VALU_DEP_1) | instskip(SKIP_1) | instid1(VALU_DEP_2)
	v_dual_fmac_f32 v38, 0x32a5705f, v36 :: v_dual_sub_f32 v37, v37, v39
	v_cvt_i32_f32_e32 v39, v39
	v_dual_add_f32 v37, v37, v38 :: v_dual_sub_f32 v38, v151, v253
	s_delay_alu instid0(VALU_DEP_1) | instskip(NEXT) | instid1(VALU_DEP_1)
	v_exp_f32_e32 v37, v37
	v_mul_f32_e32 v100, 0x3fb8aa3b, v38
	v_cmp_ngt_f32_e32 vcc_lo, 0xc2ce8ed0, v38
	s_delay_alu instid0(VALU_DEP_2) | instskip(SKIP_1) | instid1(TRANS32_DEP_1)
	v_fma_f32 v101, 0x3fb8aa3b, v38, -v100
	v_rndne_f32_e32 v102, v100
	v_ldexp_f32 v37, v37, v39
	s_delay_alu instid0(VALU_DEP_3) | instskip(NEXT) | instid1(VALU_DEP_3)
	v_fmac_f32_e32 v101, 0x32a5705f, v38
	v_sub_f32_e32 v100, v100, v102
	s_wait_alu 0xf1ff
	s_delay_alu instid0(VALU_DEP_3) | instskip(SKIP_1) | instid1(VALU_DEP_3)
	v_cndmask_b32_e64 v37, 0, v37, s5
	v_cmp_nlt_f32_e64 s5, 0x42b17218, v36
	v_dual_add_f32 v100, v100, v101 :: v_dual_mul_f32 v101, 0x3fb8aa3b, v95
	s_wait_alu 0xf1ff
	s_delay_alu instid0(VALU_DEP_2) | instskip(NEXT) | instid1(VALU_DEP_2)
	v_cndmask_b32_e64 v200, 0x7f800000, v37, s5
	v_exp_f32_e32 v100, v100
	s_delay_alu instid0(VALU_DEP_2) | instskip(SKIP_1) | instid1(VALU_DEP_3)
	v_fma_f32 v103, 0x3fb8aa3b, v95, -v101
	v_rndne_f32_e32 v104, v101
	v_cvt_f16_f32_e64 v36, v200
	s_delay_alu instid0(VALU_DEP_3) | instskip(NEXT) | instid1(VALU_DEP_3)
	v_fmac_f32_e32 v103, 0x32a5705f, v95
	v_sub_f32_e32 v101, v101, v104
	v_cvt_i32_f32_e32 v39, v104
	s_delay_alu instid0(VALU_DEP_2) | instskip(SKIP_1) | instid1(VALU_DEP_2)
	v_add_f32_e32 v101, v101, v103
	v_mul_f32_e32 v103, 0x3fb8aa3b, v94
	v_exp_f32_e32 v101, v101
	s_delay_alu instid0(VALU_DEP_1) | instskip(SKIP_1) | instid1(VALU_DEP_2)
	v_fma_f32 v105, 0x3fb8aa3b, v94, -v103
	v_rndne_f32_e32 v106, v103
	v_fmac_f32_e32 v105, 0x32a5705f, v94
	s_delay_alu instid0(VALU_DEP_2) | instskip(NEXT) | instid1(TRANS32_DEP_1)
	v_sub_f32_e32 v103, v103, v106
	v_ldexp_f32 v39, v101, v39
	v_cvt_i32_f32_e32 v101, v102
	s_delay_alu instid0(VALU_DEP_3) | instskip(NEXT) | instid1(VALU_DEP_2)
	v_add_f32_e32 v103, v103, v105
	v_ldexp_f32 v100, v100, v101
	s_delay_alu instid0(VALU_DEP_2) | instskip(SKIP_2) | instid1(VALU_DEP_2)
	v_exp_f32_e32 v102, v103
	v_cvt_i32_f32_e32 v101, v106
	s_wait_alu 0xfffd
	v_cndmask_b32_e32 v100, 0, v100, vcc_lo
	v_cmp_nlt_f32_e32 vcc_lo, 0x42b17218, v38
	v_cndmask_b32_e64 v38, 0, v39, s3
	v_cmp_nlt_f32_e64 s3, 0x42b17218, v95
	s_delay_alu instid0(TRANS32_DEP_1)
	v_ldexp_f32 v101, v102, v101
	s_wait_alu 0xfffd
	v_cndmask_b32_e32 v154, 0x7f800000, v100, vcc_lo
	s_wait_alu 0xf1ff
	v_cndmask_b32_e64 v151, 0x7f800000, v38, s3
	v_cndmask_b32_e64 v39, 0, v101, s4
	v_cmp_nlt_f32_e64 s4, 0x42b17218, v94
	s_delay_alu instid0(VALU_DEP_3) | instskip(SKIP_1) | instid1(VALU_DEP_2)
	v_cvt_f16_f32_e64 v37, v151
	s_wait_alu 0xf1ff
	v_cndmask_b32_e64 v153, 0x7f800000, v39, s4
	v_cvt_f16_f32_e64 v39, v154
	s_delay_alu instid0(VALU_DEP_2) | instskip(NEXT) | instid1(VALU_DEP_2)
	v_cvt_f16_f32_e64 v38, v153
	v_pack_b32_f16 v94, v36, v39
	v_sub_f32_e32 v36, v150, v253
	s_delay_alu instid0(VALU_DEP_3) | instskip(NEXT) | instid1(VALU_DEP_2)
	v_pack_b32_f16 v95, v37, v38
	v_mul_f32_e32 v37, 0x3fb8aa3b, v36
	v_cmp_ngt_f32_e32 vcc_lo, 0xc2ce8ed0, v36
	s_delay_alu instid0(VALU_DEP_2) | instskip(SKIP_1) | instid1(VALU_DEP_1)
	v_fma_f32 v38, 0x3fb8aa3b, v36, -v37
	v_rndne_f32_e32 v39, v37
	v_dual_fmac_f32 v38, 0x32a5705f, v36 :: v_dual_sub_f32 v37, v37, v39
	v_cvt_i32_f32_e32 v39, v39
	s_delay_alu instid0(VALU_DEP_2) | instskip(SKIP_1) | instid1(VALU_DEP_2)
	v_add_f32_e32 v37, v37, v38
	v_sub_f32_e32 v38, v93, v253
	v_exp_f32_e32 v37, v37
	s_delay_alu instid0(VALU_DEP_1) | instskip(SKIP_1) | instid1(VALU_DEP_2)
	v_mul_f32_e32 v93, 0x3fb8aa3b, v38
	v_cmp_ngt_f32_e64 s3, 0xc2ce8ed0, v38
	v_fma_f32 v100, 0x3fb8aa3b, v38, -v93
	v_rndne_f32_e32 v101, v93
	s_delay_alu instid0(TRANS32_DEP_1) | instskip(NEXT) | instid1(VALU_DEP_2)
	v_ldexp_f32 v37, v37, v39
	v_dual_fmac_f32 v100, 0x32a5705f, v38 :: v_dual_sub_f32 v93, v93, v101
	v_cvt_i32_f32_e32 v39, v101
	s_wait_alu 0xfffd
	s_delay_alu instid0(VALU_DEP_3) | instskip(SKIP_3) | instid1(VALU_DEP_3)
	v_cndmask_b32_e32 v37, 0, v37, vcc_lo
	v_cmp_nlt_f32_e32 vcc_lo, 0x42b17218, v36
	v_add_f32_e32 v93, v93, v100
	s_wait_alu 0xfffd
	v_cndmask_b32_e32 v155, 0x7f800000, v37, vcc_lo
	s_delay_alu instid0(VALU_DEP_2) | instskip(NEXT) | instid1(VALU_DEP_1)
	v_exp_f32_e32 v93, v93
	v_cvt_f16_f32_e64 v37, v155
	s_delay_alu instid0(TRANS32_DEP_1) | instskip(SKIP_1) | instid1(VALU_DEP_1)
	v_ldexp_f32 v39, v93, v39
	s_wait_alu 0xf1ff
	v_cndmask_b32_e64 v36, 0, v39, s3
	v_cmp_nlt_f32_e64 s3, 0x42b17218, v38
	s_wait_alu 0xf1ff
	s_delay_alu instid0(VALU_DEP_1) | instskip(NEXT) | instid1(VALU_DEP_1)
	v_cndmask_b32_e64 v150, 0x7f800000, v36, s3
	v_cvt_f16_f32_e64 v36, v150
	s_delay_alu instid0(VALU_DEP_1) | instskip(SKIP_1) | instid1(VALU_DEP_1)
	v_pack_b32_f16 v93, v36, v37
	v_sub_f32_e32 v36, v149, v253
	v_mul_f32_e32 v37, 0x3fb8aa3b, v36
	v_cmp_ngt_f32_e32 vcc_lo, 0xc2ce8ed0, v36
	s_delay_alu instid0(VALU_DEP_2) | instskip(SKIP_1) | instid1(VALU_DEP_1)
	v_fma_f32 v38, 0x3fb8aa3b, v36, -v37
	v_rndne_f32_e32 v39, v37
	v_dual_fmac_f32 v38, 0x32a5705f, v36 :: v_dual_sub_f32 v37, v37, v39
	v_cvt_i32_f32_e32 v39, v39
	s_delay_alu instid0(VALU_DEP_2) | instskip(NEXT) | instid1(VALU_DEP_1)
	v_dual_add_f32 v37, v37, v38 :: v_dual_sub_f32 v38, v92, v253
	v_exp_f32_e32 v37, v37
	s_delay_alu instid0(VALU_DEP_1) | instskip(SKIP_1) | instid1(VALU_DEP_2)
	v_mul_f32_e32 v92, 0x3fb8aa3b, v38
	v_cmp_ngt_f32_e64 s3, 0xc2ce8ed0, v38
	v_fma_f32 v100, 0x3fb8aa3b, v38, -v92
	v_rndne_f32_e32 v101, v92
	s_delay_alu instid0(TRANS32_DEP_1) | instskip(NEXT) | instid1(VALU_DEP_3)
	v_ldexp_f32 v37, v37, v39
	v_fmac_f32_e32 v100, 0x32a5705f, v38
	s_delay_alu instid0(VALU_DEP_3)
	v_sub_f32_e32 v92, v92, v101
	v_cvt_i32_f32_e32 v39, v101
	s_wait_alu 0xfffd
	v_cndmask_b32_e32 v37, 0, v37, vcc_lo
	v_cmp_nlt_f32_e32 vcc_lo, 0x42b17218, v36
	v_add_f32_e32 v92, v92, v100
	s_wait_alu 0xfffd
	s_delay_alu instid0(VALU_DEP_3) | instskip(NEXT) | instid1(VALU_DEP_2)
	v_cndmask_b32_e32 v152, 0x7f800000, v37, vcc_lo
	v_exp_f32_e32 v92, v92
	s_delay_alu instid0(VALU_DEP_1) | instskip(NEXT) | instid1(TRANS32_DEP_1)
	v_cvt_f16_f32_e64 v37, v152
	v_ldexp_f32 v39, v92, v39
	s_wait_alu 0xf1ff
	s_delay_alu instid0(VALU_DEP_1) | instskip(SKIP_2) | instid1(VALU_DEP_1)
	v_cndmask_b32_e64 v36, 0, v39, s3
	v_cmp_nlt_f32_e64 s3, 0x42b17218, v38
	s_wait_alu 0xf1ff
	v_cndmask_b32_e64 v149, 0x7f800000, v36, s3
	s_delay_alu instid0(VALU_DEP_1) | instskip(NEXT) | instid1(VALU_DEP_1)
	v_cvt_f16_f32_e64 v36, v149
	v_pack_b32_f16 v92, v36, v37
	s_delay_alu instid0(VALU_DEP_1)
	v_wmma_f16_16x16x16_f16 v[12:15], v[80:83], v[92:95], v[12:15]
	v_add_nc_u32_e32 v81, 0x2400, v185
	v_wmma_f16_16x16x16_f16 v[8:11], v[76:79], v[92:95], v[8:11]
	v_add_nc_u32_e32 v76, 0x2000, v212
	v_add_nc_u32_e32 v78, 0x2000, v222
	v_wmma_f16_16x16x16_f16 v[28:31], v[32:35], v[92:95], v[28:31]
	v_wmma_f16_16x16x16_f16 v[20:23], v[64:67], v[92:95], v[20:23]
	;; [unrolled: 1-line block ×3, first 2 shown]
	ds_load_2addr_b32 v[32:33], v81 offset0:144 offset1:160
	ds_load_2addr_b32 v[36:37], v81 offset0:212 offset1:228
	;; [unrolled: 1-line block ×4, first 2 shown]
	v_wmma_f16_16x16x16_f16 v[24:27], v[72:75], v[92:95], v[24:27]
	v_wmma_f16_16x16x16_f16 v[4:7], v[88:91], v[92:95], v[4:7]
	v_add_nc_u32_e32 v90, 0x2000, v185
	v_wmma_f16_16x16x16_f16 v[0:3], v[84:87], v[92:95], v[0:3]
	s_wait_dscnt 0x2
	v_perm_b32 v66, v37, v33, 0x7060302
	v_perm_b32 v70, v37, v33, 0x5040100
	s_wait_dscnt 0x0
	v_perm_b32 v35, v67, v64, 0x7060302
	v_perm_b32 v39, v67, v64, 0x5040100
	;; [unrolled: 1-line block ×4, first 2 shown]
	ds_load_2addr_b32 v[68:69], v81 offset0:8 offset1:24
	ds_load_2addr_b32 v[72:73], v81 offset0:76 offset1:92
	v_perm_b32 v34, v36, v32, 0x7060302
	v_perm_b32 v38, v36, v32, 0x5040100
	s_wait_dscnt 0x0
	v_perm_b32 v33, v72, v68, 0x7060302
	v_perm_b32 v37, v72, v68, 0x5040100
	;; [unrolled: 1-line block ×4, first 2 shown]
	ds_load_2addr_b32 v[72:73], v90 offset0:128 offset1:144
	ds_load_2addr_b32 v[74:75], v90 offset0:196 offset1:212
	s_wait_dscnt 0x0
	v_perm_b32 v32, v74, v72, 0x7060302
	v_perm_b32 v36, v74, v72, 0x5040100
	v_add_nc_u32_e32 v72, 0x2600, v185
	v_perm_b32 v64, v75, v73, 0x7060302
	v_perm_b32 v68, v75, v73, 0x5040100
	ds_load_2addr_b32 v[72:73], v72 offset0:116 offset1:132
	ds_load_2addr_b32 v[76:77], v76 offset0:160 offset1:176
	;; [unrolled: 1-line block ×4, first 2 shown]
	s_wait_dscnt 0x1
	v_perm_b32 v87, v80, v77, 0x5040100
	s_wait_dscnt 0x0
	v_perm_b32 v82, v73, v84, 0x7060302
	v_perm_b32 v86, v73, v84, 0x5040100
	ds_load_2addr_b32 v[84:85], v81 offset0:40 offset1:56
	ds_load_2addr_b32 v[88:89], v81 offset0:108 offset1:124
	v_perm_b32 v74, v72, v83, 0x7060302
	v_perm_b32 v78, v72, v83, 0x5040100
	;; [unrolled: 1-line block ×5, first 2 shown]
	s_wait_dscnt 0x0
	v_perm_b32 v73, v88, v84, 0x7060302
	v_perm_b32 v77, v88, v84, 0x5040100
	;; [unrolled: 1-line block ×4, first 2 shown]
	ds_load_2addr_b32 v[88:89], v90 offset0:160 offset1:176
	ds_load_2addr_b32 v[90:91], v90 offset0:228 offset1:244
	s_wait_dscnt 0x0
	v_perm_b32 v72, v90, v88, 0x7060302
	v_perm_b32 v76, v90, v88, 0x5040100
	v_sub_f32_e32 v88, v197, v253
	v_perm_b32 v80, v91, v89, 0x7060302
	v_perm_b32 v84, v91, v89, 0x5040100
	s_delay_alu instid0(VALU_DEP_3) | instskip(SKIP_1) | instid1(VALU_DEP_2)
	v_mul_f32_e32 v89, 0x3fb8aa3b, v88
	v_cmp_ngt_f32_e64 s5, 0xc2ce8ed0, v88
	v_fma_f32 v90, 0x3fb8aa3b, v88, -v89
	v_rndne_f32_e32 v91, v89
	s_delay_alu instid0(VALU_DEP_1) | instskip(SKIP_1) | instid1(VALU_DEP_2)
	v_dual_fmac_f32 v90, 0x32a5705f, v88 :: v_dual_sub_f32 v89, v89, v91
	v_cvt_i32_f32_e32 v91, v91
	v_dual_add_f32 v89, v89, v90 :: v_dual_sub_f32 v90, v196, v253
	s_delay_alu instid0(VALU_DEP_1) | instskip(NEXT) | instid1(VALU_DEP_1)
	v_exp_f32_e32 v89, v89
	v_mul_f32_e32 v92, 0x3fb8aa3b, v90
	v_cmp_ngt_f32_e32 vcc_lo, 0xc2ce8ed0, v90
	s_delay_alu instid0(VALU_DEP_2) | instskip(SKIP_1) | instid1(TRANS32_DEP_1)
	v_fma_f32 v93, 0x3fb8aa3b, v90, -v92
	v_rndne_f32_e32 v94, v92
	v_ldexp_f32 v89, v89, v91
	s_delay_alu instid0(VALU_DEP_3) | instskip(NEXT) | instid1(VALU_DEP_3)
	v_fmac_f32_e32 v93, 0x32a5705f, v90
	v_sub_f32_e32 v92, v92, v94
	v_cvt_i32_f32_e32 v94, v94
	s_wait_alu 0xf1ff
	v_cndmask_b32_e64 v89, 0, v89, s5
	v_cmp_nlt_f32_e64 s5, 0x42b17218, v88
	v_add_f32_e32 v92, v92, v93
	v_sub_f32_e32 v93, v176, v253
	s_delay_alu instid0(VALU_DEP_2) | instskip(NEXT) | instid1(VALU_DEP_1)
	v_exp_f32_e32 v92, v92
	v_mul_f32_e32 v95, 0x3fb8aa3b, v93
	v_cmp_ngt_f32_e64 s3, 0xc2ce8ed0, v93
	s_delay_alu instid0(VALU_DEP_2) | instskip(SKIP_1) | instid1(TRANS32_DEP_1)
	v_fma_f32 v100, 0x3fb8aa3b, v93, -v95
	v_rndne_f32_e32 v101, v95
	v_ldexp_f32 v92, v92, v94
	s_delay_alu instid0(VALU_DEP_3) | instskip(NEXT) | instid1(VALU_DEP_3)
	v_fmac_f32_e32 v100, 0x32a5705f, v93
	v_sub_f32_e32 v95, v95, v101
	v_cvt_i32_f32_e32 v91, v101
	s_wait_alu 0xfffd
	v_cndmask_b32_e32 v92, 0, v92, vcc_lo
	v_cmp_nlt_f32_e32 vcc_lo, 0x42b17218, v90
	v_add_f32_e32 v95, v95, v100
	v_sub_f32_e32 v100, v175, v253
	s_wait_alu 0xfffd
	v_cndmask_b32_e32 v92, 0x7f800000, v92, vcc_lo
	s_delay_alu instid0(VALU_DEP_3) | instskip(NEXT) | instid1(VALU_DEP_2)
	v_exp_f32_e32 v95, v95
	v_mul_f32_e32 v102, 0x3fb8aa3b, v100
	v_cmp_ngt_f32_e64 s4, 0xc2ce8ed0, v100
	s_delay_alu instid0(VALU_DEP_2) | instskip(SKIP_1) | instid1(TRANS32_DEP_1)
	v_fma_f32 v103, 0x3fb8aa3b, v100, -v102
	v_rndne_f32_e32 v104, v102
	v_ldexp_f32 v91, v95, v91
	s_delay_alu instid0(VALU_DEP_3) | instskip(NEXT) | instid1(VALU_DEP_3)
	v_fmac_f32_e32 v103, 0x32a5705f, v100
	v_sub_f32_e32 v102, v102, v104
	v_cvt_i32_f32_e32 v94, v104
	s_wait_alu 0xf1ff
	v_cndmask_b32_e64 v90, 0, v91, s3
	v_cmp_nlt_f32_e64 s3, 0x42b17218, v93
	v_add_f32_e32 v102, v102, v103
	v_cndmask_b32_e64 v93, 0x7f800000, v89, s5
	s_delay_alu instid0(VALU_DEP_2) | instskip(NEXT) | instid1(VALU_DEP_1)
	v_exp_f32_e32 v95, v102
	v_cvt_f16_f32_e32 v88, v93
	s_delay_alu instid0(TRANS32_DEP_1) | instskip(NEXT) | instid1(VALU_DEP_1)
	v_ldexp_f32 v94, v95, v94
	v_cndmask_b32_e64 v91, 0, v94, s4
	v_cmp_nlt_f32_e64 s4, 0x42b17218, v100
	s_wait_alu 0xf1ff
	v_cndmask_b32_e64 v94, 0x7f800000, v90, s3
	v_cvt_f16_f32_e32 v100, v92
	s_delay_alu instid0(VALU_DEP_3) | instskip(NEXT) | instid1(VALU_DEP_3)
	v_cndmask_b32_e64 v95, 0x7f800000, v91, s4
	v_cvt_f16_f32_e32 v89, v94
	s_delay_alu instid0(VALU_DEP_2) | instskip(NEXT) | instid1(VALU_DEP_1)
	v_cvt_f16_f32_e32 v90, v95
	v_pack_b32_f16 v91, v89, v90
	v_pack_b32_f16 v90, v88, v100
	v_sub_f32_e32 v88, v160, v253
	s_delay_alu instid0(VALU_DEP_1) | instskip(SKIP_1) | instid1(VALU_DEP_2)
	v_mul_f32_e32 v89, 0x3fb8aa3b, v88
	v_cmp_ngt_f32_e32 vcc_lo, 0xc2ce8ed0, v88
	v_fma_f32 v100, 0x3fb8aa3b, v88, -v89
	v_rndne_f32_e32 v101, v89
	s_delay_alu instid0(VALU_DEP_1) | instskip(SKIP_1) | instid1(VALU_DEP_2)
	v_dual_fmac_f32 v100, 0x32a5705f, v88 :: v_dual_sub_f32 v89, v89, v101
	v_cvt_i32_f32_e32 v101, v101
	v_dual_add_f32 v89, v89, v100 :: v_dual_sub_f32 v100, v163, v253
	s_delay_alu instid0(VALU_DEP_1) | instskip(NEXT) | instid1(VALU_DEP_1)
	v_exp_f32_e32 v89, v89
	v_mul_f32_e32 v102, 0x3fb8aa3b, v100
	v_cmp_ngt_f32_e64 s3, 0xc2ce8ed0, v100
	s_delay_alu instid0(VALU_DEP_2) | instskip(SKIP_1) | instid1(TRANS32_DEP_1)
	v_fma_f32 v103, 0x3fb8aa3b, v100, -v102
	v_rndne_f32_e32 v104, v102
	v_ldexp_f32 v89, v89, v101
	s_delay_alu instid0(VALU_DEP_3) | instskip(NEXT) | instid1(VALU_DEP_3)
	v_fmac_f32_e32 v103, 0x32a5705f, v100
	v_sub_f32_e32 v102, v102, v104
	v_cvt_i32_f32_e32 v101, v104
	s_wait_alu 0xfffd
	v_cndmask_b32_e32 v89, 0, v89, vcc_lo
	v_cmp_nlt_f32_e32 vcc_lo, 0x42b17218, v88
	v_add_f32_e32 v102, v102, v103
	s_delay_alu instid0(VALU_DEP_1) | instskip(NEXT) | instid1(TRANS32_DEP_1)
	v_exp_f32_e32 v102, v102
	v_ldexp_f32 v101, v102, v101
	s_wait_alu 0xf1ff
	s_delay_alu instid0(VALU_DEP_1) | instskip(SKIP_4) | instid1(VALU_DEP_2)
	v_cndmask_b32_e64 v88, 0, v101, s3
	v_cmp_nlt_f32_e64 s3, 0x42b17218, v100
	s_wait_alu 0xfffd
	v_cndmask_b32_e32 v101, 0x7f800000, v89, vcc_lo
	s_wait_alu 0xf1ff
	v_cndmask_b32_e64 v100, 0x7f800000, v88, s3
	s_delay_alu instid0(VALU_DEP_2) | instskip(NEXT) | instid1(VALU_DEP_2)
	v_cvt_f16_f32_e32 v89, v101
	v_cvt_f16_f32_e32 v88, v100
	s_delay_alu instid0(VALU_DEP_1) | instskip(SKIP_1) | instid1(VALU_DEP_1)
	v_pack_b32_f16 v89, v88, v89
	v_sub_f32_e32 v88, v161, v253
	v_mul_f32_e32 v102, 0x3fb8aa3b, v88
	v_cmp_ngt_f32_e32 vcc_lo, 0xc2ce8ed0, v88
	s_delay_alu instid0(VALU_DEP_2) | instskip(SKIP_1) | instid1(VALU_DEP_2)
	v_fma_f32 v103, 0x3fb8aa3b, v88, -v102
	v_rndne_f32_e32 v104, v102
	v_fmac_f32_e32 v103, 0x32a5705f, v88
	s_delay_alu instid0(VALU_DEP_2) | instskip(SKIP_1) | instid1(VALU_DEP_2)
	v_sub_f32_e32 v102, v102, v104
	v_cvt_i32_f32_e32 v104, v104
	v_dual_add_f32 v102, v102, v103 :: v_dual_sub_f32 v103, v159, v253
	s_delay_alu instid0(VALU_DEP_1) | instskip(NEXT) | instid1(VALU_DEP_1)
	v_exp_f32_e32 v102, v102
	v_mul_f32_e32 v105, 0x3fb8aa3b, v103
	v_cmp_ngt_f32_e64 s3, 0xc2ce8ed0, v103
	s_delay_alu instid0(VALU_DEP_2) | instskip(SKIP_1) | instid1(TRANS32_DEP_1)
	v_fma_f32 v106, 0x3fb8aa3b, v103, -v105
	v_rndne_f32_e32 v107, v105
	v_ldexp_f32 v102, v102, v104
	s_delay_alu instid0(VALU_DEP_3) | instskip(NEXT) | instid1(VALU_DEP_3)
	v_fmac_f32_e32 v106, 0x32a5705f, v103
	v_sub_f32_e32 v105, v105, v107
	v_cvt_i32_f32_e32 v104, v107
	s_wait_alu 0xfffd
	v_cndmask_b32_e32 v102, 0, v102, vcc_lo
	v_cmp_nlt_f32_e32 vcc_lo, 0x42b17218, v88
	v_add_f32_e32 v105, v105, v106
	s_wait_alu 0xfffd
	s_delay_alu instid0(VALU_DEP_3) | instskip(NEXT) | instid1(VALU_DEP_2)
	v_cndmask_b32_e32 v102, 0x7f800000, v102, vcc_lo
	v_exp_f32_e32 v105, v105
	s_delay_alu instid0(TRANS32_DEP_1) | instskip(SKIP_1) | instid1(VALU_DEP_1)
	v_ldexp_f32 v104, v105, v104
	s_wait_alu 0xf1ff
	v_cndmask_b32_e64 v88, 0, v104, s3
	v_cmp_nlt_f32_e64 s3, 0x42b17218, v103
	v_cvt_f16_f32_e32 v104, v102
	s_wait_alu 0xf1ff
	s_delay_alu instid0(VALU_DEP_2) | instskip(NEXT) | instid1(VALU_DEP_1)
	v_cndmask_b32_e64 v103, 0x7f800000, v88, s3
	v_cvt_f16_f32_e32 v88, v103
	s_delay_alu instid0(VALU_DEP_1) | instskip(NEXT) | instid1(VALU_DEP_1)
	v_pack_b32_f16 v88, v88, v104
	v_wmma_f16_16x16x16_f16 v[28:31], v[36:39], v[88:91], v[28:31]
	v_wmma_f16_16x16x16_f16 v[20:23], v[32:35], v[88:91], v[20:23]
	;; [unrolled: 1-line block ×8, first 2 shown]
	v_add_nc_u32_e32 v90, 0x3400, v185
	v_add_nc_u32_e32 v76, 0x3800, v185
	;; [unrolled: 1-line block ×4, first 2 shown]
	ds_load_2addr_b32 v[32:33], v90 offset0:208 offset1:224
	ds_load_2addr_b32 v[36:37], v76 offset0:20 offset1:36
	ds_load_2addr_b32 v[64:65], v78 offset0:192 offset1:208
	ds_load_2addr_b32 v[67:68], v81 offset0:192 offset1:208
	v_add_nc_u32_e32 v91, 0x3000, v185
	s_wait_dscnt 0x2
	v_perm_b32 v66, v37, v33, 0x7060302
	v_perm_b32 v70, v37, v33, 0x5040100
	s_wait_dscnt 0x0
	v_perm_b32 v35, v67, v64, 0x7060302
	v_perm_b32 v39, v67, v64, 0x5040100
	;; [unrolled: 1-line block ×4, first 2 shown]
	ds_load_2addr_b32 v[68:69], v90 offset0:72 offset1:88
	ds_load_2addr_b32 v[72:73], v90 offset0:140 offset1:156
	v_perm_b32 v34, v36, v32, 0x7060302
	v_perm_b32 v38, v36, v32, 0x5040100
	s_wait_dscnt 0x0
	v_perm_b32 v33, v72, v68, 0x7060302
	v_perm_b32 v37, v72, v68, 0x5040100
	;; [unrolled: 1-line block ×4, first 2 shown]
	ds_load_2addr_b32 v[72:73], v91 offset0:192 offset1:208
	ds_load_2addr_b32 v[74:75], v90 offset0:4 offset1:20
	s_wait_dscnt 0x0
	v_perm_b32 v32, v74, v72, 0x7060302
	v_perm_b32 v36, v74, v72, 0x5040100
	v_add_nc_u32_e32 v72, 0x3600, v185
	v_perm_b32 v64, v75, v73, 0x7060302
	v_perm_b32 v68, v75, v73, 0x5040100
	ds_load_2addr_b32 v[72:73], v72 offset0:112 offset1:128
	ds_load_2addr_b32 v[76:77], v76 offset0:52 offset1:68
	;; [unrolled: 1-line block ×4, first 2 shown]
	s_wait_dscnt 0x2
	v_perm_b32 v82, v77, v73, 0x7060302
	v_perm_b32 v86, v77, v73, 0x5040100
	s_wait_dscnt 0x0
	v_perm_b32 v75, v83, v79, 0x7060302
	v_perm_b32 v79, v83, v79, 0x5040100
	;; [unrolled: 1-line block ×4, first 2 shown]
	ds_load_2addr_b32 v[84:85], v90 offset0:104 offset1:120
	ds_load_2addr_b32 v[88:89], v90 offset0:172 offset1:188
	v_perm_b32 v74, v76, v72, 0x7060302
	v_perm_b32 v78, v76, v72, 0x5040100
	s_wait_dscnt 0x0
	v_perm_b32 v73, v88, v84, 0x7060302
	v_perm_b32 v77, v88, v84, 0x5040100
	;; [unrolled: 1-line block ×4, first 2 shown]
	ds_load_2addr_b32 v[88:89], v91 offset0:224 offset1:240
	ds_load_2addr_b32 v[90:91], v90 offset0:36 offset1:52
	s_wait_dscnt 0x0
	v_perm_b32 v72, v90, v88, 0x7060302
	v_perm_b32 v76, v90, v88, 0x5040100
	v_sub_f32_e32 v88, v158, v253
	v_perm_b32 v80, v91, v89, 0x7060302
	v_perm_b32 v84, v91, v89, 0x5040100
	s_delay_alu instid0(VALU_DEP_3) | instskip(SKIP_1) | instid1(VALU_DEP_2)
	v_mul_f32_e32 v89, 0x3fb8aa3b, v88
	v_cmp_ngt_f32_e64 s5, 0xc2ce8ed0, v88
	v_fma_f32 v90, 0x3fb8aa3b, v88, -v89
	v_rndne_f32_e32 v91, v89
	s_delay_alu instid0(VALU_DEP_1) | instskip(SKIP_1) | instid1(VALU_DEP_2)
	v_dual_fmac_f32 v90, 0x32a5705f, v88 :: v_dual_sub_f32 v89, v89, v91
	v_cvt_i32_f32_e32 v91, v91
	v_add_f32_e32 v89, v89, v90
	v_sub_f32_e32 v90, v157, v253
	s_delay_alu instid0(VALU_DEP_1) | instskip(SKIP_1) | instid1(VALU_DEP_2)
	v_mul_f32_e32 v104, 0x3fb8aa3b, v90
	v_cmp_ngt_f32_e32 vcc_lo, 0xc2ce8ed0, v90
	v_fma_f32 v105, 0x3fb8aa3b, v90, -v104
	v_rndne_f32_e32 v106, v104
	s_delay_alu instid0(VALU_DEP_2) | instskip(NEXT) | instid1(VALU_DEP_2)
	v_fmac_f32_e32 v105, 0x32a5705f, v90
	v_sub_f32_e32 v104, v104, v106
	v_cvt_i32_f32_e32 v106, v106
	s_delay_alu instid0(VALU_DEP_2) | instskip(SKIP_1) | instid1(VALU_DEP_2)
	v_add_f32_e32 v104, v104, v105
	v_sub_f32_e32 v105, v194, v253
	v_exp_f32_e32 v104, v104
	s_delay_alu instid0(TRANS32_DEP_1) | instskip(SKIP_1) | instid1(VALU_DEP_1)
	v_ldexp_f32 v104, v104, v106
	s_wait_alu 0xfffd
	v_dual_mul_f32 v107, 0x3fb8aa3b, v105 :: v_dual_cndmask_b32 v104, 0, v104
	s_delay_alu instid0(VALU_DEP_1) | instskip(SKIP_2) | instid1(VALU_DEP_3)
	v_fma_f32 v108, 0x3fb8aa3b, v105, -v107
	v_rndne_f32_e32 v109, v107
	v_cmp_nlt_f32_e32 vcc_lo, 0x42b17218, v90
	v_fmac_f32_e32 v108, 0x32a5705f, v105
	s_wait_alu 0xfffd
	s_delay_alu instid0(VALU_DEP_3) | instskip(SKIP_1) | instid1(VALU_DEP_1)
	v_dual_sub_f32 v107, v107, v109 :: v_dual_cndmask_b32 v104, 0x7f800000, v104
	v_exp_f32_e32 v89, v89
	v_dual_add_f32 v107, v107, v108 :: v_dual_sub_f32 v108, v168, v253
	s_delay_alu instid0(VALU_DEP_1) | instskip(NEXT) | instid1(VALU_DEP_1)
	v_exp_f32_e32 v107, v107
	v_mul_f32_e32 v110, 0x3fb8aa3b, v108
	s_delay_alu instid0(TRANS32_DEP_2)
	v_ldexp_f32 v89, v89, v91
	v_cvt_i32_f32_e32 v91, v109
	v_cmp_ngt_f32_e64 s3, 0xc2ce8ed0, v105
	v_cmp_ngt_f32_e64 s4, 0xc2ce8ed0, v108
	v_fma_f32 v111, 0x3fb8aa3b, v108, -v110
	v_rndne_f32_e32 v112, v110
	s_wait_alu 0xf1ff
	v_cndmask_b32_e64 v89, 0, v89, s5
	v_cmp_nlt_f32_e64 s5, 0x42b17218, v88
	v_ldexp_f32 v91, v107, v91
	v_fmac_f32_e32 v111, 0x32a5705f, v108
	v_sub_f32_e32 v110, v110, v112
	v_cvt_i32_f32_e32 v106, v112
	s_delay_alu instid0(VALU_DEP_4) | instskip(SKIP_1) | instid1(VALU_DEP_4)
	v_cndmask_b32_e64 v90, 0, v91, s3
	v_cmp_nlt_f32_e64 s3, 0x42b17218, v105
	v_add_f32_e32 v110, v110, v111
	s_wait_alu 0xf1ff
	v_cndmask_b32_e64 v105, 0x7f800000, v89, s5
	s_delay_alu instid0(VALU_DEP_2) | instskip(NEXT) | instid1(VALU_DEP_1)
	v_exp_f32_e32 v107, v110
	v_cvt_f16_f32_e32 v88, v105
	s_delay_alu instid0(TRANS32_DEP_1) | instskip(NEXT) | instid1(VALU_DEP_1)
	v_ldexp_f32 v106, v107, v106
	v_cndmask_b32_e64 v91, 0, v106, s4
	v_cmp_nlt_f32_e64 s4, 0x42b17218, v108
	v_cndmask_b32_e64 v106, 0x7f800000, v90, s3
	v_cvt_f16_f32_e32 v108, v104
	s_wait_alu 0xf1ff
	s_delay_alu instid0(VALU_DEP_3) | instskip(NEXT) | instid1(VALU_DEP_3)
	v_cndmask_b32_e64 v107, 0x7f800000, v91, s4
	v_cvt_f16_f32_e32 v89, v106
	s_delay_alu instid0(VALU_DEP_2) | instskip(NEXT) | instid1(VALU_DEP_1)
	v_cvt_f16_f32_e32 v90, v107
	v_pack_b32_f16 v91, v89, v90
	v_pack_b32_f16 v90, v88, v108
	v_sub_f32_e32 v88, v227, v253
	s_delay_alu instid0(VALU_DEP_1) | instskip(SKIP_1) | instid1(VALU_DEP_2)
	v_mul_f32_e32 v89, 0x3fb8aa3b, v88
	v_cmp_ngt_f32_e32 vcc_lo, 0xc2ce8ed0, v88
	v_fma_f32 v108, 0x3fb8aa3b, v88, -v89
	v_rndne_f32_e32 v109, v89
	s_delay_alu instid0(VALU_DEP_1) | instskip(SKIP_1) | instid1(VALU_DEP_2)
	v_dual_fmac_f32 v108, 0x32a5705f, v88 :: v_dual_sub_f32 v89, v89, v109
	v_cvt_i32_f32_e32 v109, v109
	v_dual_add_f32 v89, v89, v108 :: v_dual_sub_f32 v108, v224, v253
	s_delay_alu instid0(VALU_DEP_1) | instskip(NEXT) | instid1(VALU_DEP_1)
	v_exp_f32_e32 v89, v89
	v_cmp_ngt_f32_e64 s3, 0xc2ce8ed0, v108
	s_delay_alu instid0(TRANS32_DEP_1) | instskip(SKIP_1) | instid1(VALU_DEP_1)
	v_ldexp_f32 v89, v89, v109
	s_wait_alu 0xfffd
	v_dual_mul_f32 v110, 0x3fb8aa3b, v108 :: v_dual_cndmask_b32 v89, 0, v89
	s_delay_alu instid0(VALU_DEP_1) | instskip(SKIP_2) | instid1(VALU_DEP_3)
	v_fma_f32 v111, 0x3fb8aa3b, v108, -v110
	v_rndne_f32_e32 v112, v110
	v_cmp_nlt_f32_e32 vcc_lo, 0x42b17218, v88
	v_fmac_f32_e32 v111, 0x32a5705f, v108
	s_delay_alu instid0(VALU_DEP_3) | instskip(SKIP_1) | instid1(VALU_DEP_2)
	v_sub_f32_e32 v110, v110, v112
	v_cvt_i32_f32_e32 v109, v112
	v_add_f32_e32 v110, v110, v111
	s_delay_alu instid0(VALU_DEP_1) | instskip(NEXT) | instid1(TRANS32_DEP_1)
	v_exp_f32_e32 v110, v110
	v_ldexp_f32 v109, v110, v109
	scratch_load_b32 v110, off, off offset:4 ; 4-byte Folded Reload
	s_wait_alu 0xf1ff
	v_cndmask_b32_e64 v88, 0, v109, s3
	v_cmp_nlt_f32_e64 s3, 0x42b17218, v108
	s_wait_alu 0xfffd
	v_cndmask_b32_e32 v109, 0x7f800000, v89, vcc_lo
	s_wait_alu 0xf1ff
	s_delay_alu instid0(VALU_DEP_2) | instskip(NEXT) | instid1(VALU_DEP_2)
	v_cndmask_b32_e64 v108, 0x7f800000, v88, s3
	v_cvt_f16_f32_e32 v89, v109
	s_delay_alu instid0(VALU_DEP_2) | instskip(NEXT) | instid1(VALU_DEP_1)
	v_cvt_f16_f32_e32 v88, v108
	v_pack_b32_f16 v89, v88, v89
	v_sub_f32_e32 v88, v221, v253
	s_delay_alu instid0(VALU_DEP_1) | instskip(SKIP_2) | instid1(VALU_DEP_1)
	v_cmp_ngt_f32_e32 vcc_lo, 0xc2ce8ed0, v88
	s_wait_loadcnt 0x0
	v_dual_mul_f32 v110, 0x3fb8aa3b, v88 :: v_dual_add_nc_u32 v221, 40, v110
	v_fma_f32 v111, 0x3fb8aa3b, v88, -v110
	v_rndne_f32_e32 v112, v110
	s_delay_alu instid0(VALU_DEP_2) | instskip(NEXT) | instid1(VALU_DEP_2)
	v_fmac_f32_e32 v111, 0x32a5705f, v88
	v_sub_f32_e32 v110, v110, v112
	v_cvt_i32_f32_e32 v112, v112
	s_delay_alu instid0(VALU_DEP_2) | instskip(NEXT) | instid1(VALU_DEP_1)
	v_dual_add_f32 v110, v110, v111 :: v_dual_sub_f32 v111, v219, v253
	v_exp_f32_e32 v110, v110
	s_delay_alu instid0(VALU_DEP_1) | instskip(SKIP_1) | instid1(VALU_DEP_2)
	v_mul_f32_e32 v113, 0x3fb8aa3b, v111
	v_cmp_ngt_f32_e64 s3, 0xc2ce8ed0, v111
	v_fma_f32 v114, 0x3fb8aa3b, v111, -v113
	v_rndne_f32_e32 v115, v113
	s_delay_alu instid0(TRANS32_DEP_1) | instskip(NEXT) | instid1(VALU_DEP_3)
	v_ldexp_f32 v110, v110, v112
	v_fmac_f32_e32 v114, 0x32a5705f, v111
	s_delay_alu instid0(VALU_DEP_3) | instskip(SKIP_1) | instid1(VALU_DEP_3)
	v_cvt_i32_f32_e32 v112, v115
	s_wait_alu 0xfffd
	v_cndmask_b32_e32 v110, 0, v110, vcc_lo
	v_cmp_nlt_f32_e32 vcc_lo, 0x42b17218, v88
	s_wait_alu 0xfffd
	s_delay_alu instid0(VALU_DEP_2) | instskip(NEXT) | instid1(VALU_DEP_1)
	v_dual_sub_f32 v113, v113, v115 :: v_dual_cndmask_b32 v110, 0x7f800000, v110
	v_add_f32_e32 v113, v113, v114
	v_add_co_u32 v133, vcc_lo, 0x80, v133
	s_wait_alu 0xfffd
	v_add_co_ci_u32_e64 v134, null, 0, v134, vcc_lo
	s_delay_alu instid0(VALU_DEP_3)
	v_exp_f32_e32 v113, v113
	v_add_co_u32 v135, vcc_lo, 0x80, v135
	s_wait_alu 0xfffd
	v_add_co_ci_u32_e64 v136, null, 0, v136, vcc_lo
	v_add_co_u32 v137, vcc_lo, 0x80, v137
	s_wait_alu 0xfffd
	v_add_co_ci_u32_e64 v138, null, 0, v138, vcc_lo
	v_add_co_u32 v139, vcc_lo, 0x80, v139
	s_delay_alu instid0(TRANS32_DEP_1)
	v_ldexp_f32 v112, v113, v112
	s_wait_alu 0xfffd
	v_add_co_ci_u32_e64 v140, null, 0, v140, vcc_lo
	v_add_co_u32 v141, vcc_lo, 0x80, v141
	s_wait_alu 0xf1ff
	v_cndmask_b32_e64 v88, 0, v112, s3
	v_cmp_nlt_f32_e64 s3, 0x42b17218, v111
	v_cvt_f16_f32_e32 v112, v110
	s_wait_alu 0xfffd
	v_add_co_ci_u32_e64 v142, null, 0, v142, vcc_lo
	v_add_co_u32 v143, vcc_lo, 0x80, v143
	s_wait_alu 0xf1ff
	v_cndmask_b32_e64 v111, 0x7f800000, v88, s3
	s_wait_alu 0xfffd
	v_add_co_ci_u32_e64 v144, null, 0, v144, vcc_lo
	v_add_co_u32 v145, vcc_lo, 0x80, v145
	s_delay_alu instid0(VALU_DEP_3) | instskip(SKIP_3) | instid1(VALU_DEP_3)
	v_cvt_f16_f32_e32 v88, v111
	s_wait_alu 0xfffd
	v_add_co_ci_u32_e64 v146, null, 0, v146, vcc_lo
	v_add_co_u32 v147, vcc_lo, 0x80, v147
	v_pack_b32_f16 v88, v88, v112
	s_wait_alu 0xfffd
	v_add_co_ci_u32_e64 v148, null, 0, v148, vcc_lo
	v_add_co_u32 v237, vcc_lo, v237, s68
	s_delay_alu instid0(VALU_DEP_3)
	v_wmma_f16_16x16x16_f16 v[20:23], v[32:35], v[88:91], v[20:23]
	v_add_f32_e32 v32, v198, v208
	scratch_load_b32 v208, off, off offset:4 ; 4-byte Folded Reload
	v_mov_b32_e32 v33, v254
	s_wait_alu 0xfffd
	v_add_co_ci_u32_e64 v239, null, s69, v239, vcc_lo
	v_add_f32_e32 v32, v211, v32
	v_add_co_u32 v241, vcc_lo, v241, s68
	s_wait_alu 0xfffd
	v_add_co_ci_u32_e64 v243, null, s69, v243, vcc_lo
	s_delay_alu instid0(VALU_DEP_3) | instskip(SKIP_3) | instid1(VALU_DEP_3)
	v_add_f32_e32 v32, v199, v32
	v_add_co_u32 v245, vcc_lo, v245, s68
	s_wait_alu 0xfffd
	v_add_co_ci_u32_e64 v248, null, s69, v248, vcc_lo
	v_add_f32_e32 v32, v97, v32
	v_add_co_u32 v195, vcc_lo, v195, s68
	s_wait_alu 0xfffd
	v_add_co_ci_u32_e64 v216, null, s69, v216, vcc_lo
	s_delay_alu instid0(VALU_DEP_3) | instskip(SKIP_3) | instid1(VALU_DEP_3)
	v_add_f32_e32 v32, v186, v32
	v_add_co_u32 v98, vcc_lo, v98, s68
	s_wait_alu 0xfffd
	v_add_co_ci_u32_e64 v99, null, s69, v99, vcc_lo
	v_add_f32_e32 v32, v96, v32
	v_add_co_u32 v213, vcc_lo, v213, s68
	s_wait_alu 0xfffd
	v_add_co_ci_u32_e64 v164, null, s69, v164, vcc_lo
	s_delay_alu instid0(VALU_DEP_3) | instskip(SKIP_3) | instid1(VALU_DEP_3)
	v_add_f32_e32 v32, v162, v32
	v_add_co_u32 v217, vcc_lo, v217, s68
	s_wait_alu 0xfffd
	v_add_co_ci_u32_e64 v206, null, s69, v206, vcc_lo
	v_add_f32_e32 v32, v149, v32
	v_add_co_u32 v207, vcc_lo, v207, s68
	s_wait_alu 0xfffd
	v_add_co_ci_u32_e64 v209, null, s69, v209, vcc_lo
	s_delay_alu instid0(VALU_DEP_3) | instskip(SKIP_3) | instid1(VALU_DEP_3)
	v_add_f32_e32 v32, v152, v32
	v_add_co_u32 v214, vcc_lo, v214, s70
	s_wait_alu 0xfffd
	v_add_co_ci_u32_e64 v218, null, s71, v218, vcc_lo
	v_add_f32_e32 v32, v150, v32
	v_add_co_u32 v220, vcc_lo, v220, s70
	s_wait_alu 0xfffd
	v_add_co_ci_u32_e64 v223, null, s71, v223, vcc_lo
	s_delay_alu instid0(VALU_DEP_3) | instskip(SKIP_3) | instid1(VALU_DEP_3)
	v_add_f32_e32 v32, v155, v32
	v_add_co_u32 v226, vcc_lo, v226, s70
	s_wait_alu 0xfffd
	v_add_co_ci_u32_e64 v229, null, s71, v229, vcc_lo
	v_add_f32_e32 v32, v200, v32
	v_add_co_u32 v232, vcc_lo, v232, s70
	s_wait_alu 0xfffd
	v_add_co_ci_u32_e64 v233, null, s71, v233, vcc_lo
	s_delay_alu instid0(VALU_DEP_3) | instskip(SKIP_3) | instid1(VALU_DEP_3)
	v_add_f32_e32 v32, v154, v32
	v_add_co_u32 v236, vcc_lo, v236, s70
	s_wait_alu 0xfffd
	v_add_co_ci_u32_e64 v238, null, s71, v238, vcc_lo
	v_add_f32_e32 v32, v151, v32
	v_add_co_u32 v240, vcc_lo, v240, s70
	s_wait_alu 0xfffd
	v_add_co_ci_u32_e64 v242, null, s71, v242, vcc_lo
	s_delay_alu instid0(VALU_DEP_3) | instskip(SKIP_3) | instid1(VALU_DEP_3)
	v_add_f32_e32 v32, v153, v32
	v_add_co_u32 v244, vcc_lo, v244, s70
	s_wait_alu 0xfffd
	v_add_co_ci_u32_e64 v246, null, s71, v246, vcc_lo
	v_add_f32_e32 v32, v103, v32
	v_add_co_u32 v210, vcc_lo, v210, s70
	v_wmma_f16_16x16x16_f16 v[28:31], v[36:39], v[88:91], v[28:31]
	v_wmma_f16_16x16x16_f16 v[24:27], v[68:71], v[88:91], v[24:27]
	s_delay_alu instid0(VALU_DEP_4)
	v_add_f32_e32 v32, v102, v32
	v_wmma_f16_16x16x16_f16 v[16:19], v[64:67], v[88:91], v[16:19]
	v_wmma_f16_16x16x16_f16 v[12:15], v[76:79], v[88:91], v[12:15]
	;; [unrolled: 1-line block ×4, first 2 shown]
	v_add_f32_e32 v32, v100, v32
	v_wmma_f16_16x16x16_f16 v[0:3], v[80:83], v[88:91], v[0:3]
	s_wait_alu 0xfffd
	v_add_co_ci_u32_e64 v215, null, s71, v215, vcc_lo
	s_wait_loadcnt 0x0
	v_add_f32_e32 v32, v101, v32
	s_barrier_signal -1
	s_barrier_wait -1
	global_inv scope:SCOPE_SE
	v_add_f32_e32 v32, v93, v32
	s_delay_alu instid0(VALU_DEP_1) | instskip(NEXT) | instid1(VALU_DEP_1)
	v_add_f32_e32 v32, v92, v32
	v_add_f32_e32 v32, v94, v32
	s_delay_alu instid0(VALU_DEP_1) | instskip(NEXT) | instid1(VALU_DEP_1)
	v_add_f32_e32 v32, v95, v32
	;; [unrolled: 3-line block ×6, first 2 shown]
	v_dual_fmac_f32 v254, v33, v166 :: v_dual_add_nc_u32 v205, 32, v208
	s_cbranch_scc1 .LBB24_250
; %bb.251:                              ;   in Loop: Header=BB24_9 Depth=1
	s_clause 0x2
	scratch_load_b32 v32, off, off offset:580 th:TH_LOAD_LU
	scratch_load_b32 v149, off, off offset:304
	scratch_load_b64 v[113:114], off, off offset:312
	v_mov_b32_e32 v174, v204
	v_mov_b32_e32 v252, v230
	v_mov_b32_e32 v106, 32
	s_lshl_b32 s56, s33, 6
	v_dual_mov_b32 v233, v235 :: v_dual_mov_b32 v116, 0
	s_mov_b64 s[4:5], s[56:57]
	s_wait_loadcnt 0x2
	v_mad_co_i64_i32 v[78:79], null, v32, s38, 0
	scratch_load_b32 v32, off, off offset:584 th:TH_LOAD_LU ; 4-byte Folded Reload
	s_wait_loadcnt 0x2
	v_add_nc_u32_e32 v232, 28, v149
	v_add_nc_u32_e32 v246, 24, v149
	;; [unrolled: 1-line block ×5, first 2 shown]
	s_wait_loadcnt 0x0
	v_mad_co_i64_i32 v[70:71], null, v32, s38, 0
	scratch_load_b32 v32, off, off offset:588 th:TH_LOAD_LU ; 4-byte Folded Reload
	s_wait_loadcnt 0x0
	v_mad_co_i64_i32 v[74:75], null, v32, s38, 0
	scratch_load_b32 v32, off, off offset:592 th:TH_LOAD_LU ; 4-byte Folded Reload
	;; [unrolled: 3-line block ×5, first 2 shown]
	s_wait_loadcnt 0x0
	v_mad_co_i64_i32 v[66:67], null, v32, s38, 0
	s_clause 0x1f
	scratch_load_b32 v32, off, off offset:608 th:TH_LOAD_LU
	scratch_load_b32 v114, off, off offset:320
	scratch_load_b32 v115, off, off offset:324
	scratch_load_b32 v119, off, off offset:328
	scratch_load_b32 v120, off, off offset:332
	scratch_load_b32 v121, off, off offset:336
	scratch_load_b32 v122, off, off offset:340
	scratch_load_b32 v173, off, off offset:264
	scratch_load_b32 v123, off, off offset:344
	scratch_load_b32 v124, off, off offset:348
	scratch_load_b64 v[146:147], off, off offset:8
	scratch_load_b64 v[150:151], off, off offset:16
	scratch_load_b64 v[152:153], off, off offset:24
	scratch_load_b64 v[177:178], off, off offset:32
	scratch_load_b64 v[179:180], off, off offset:40
	scratch_load_b64 v[181:182], off, off offset:48
	scratch_load_b64 v[183:184], off, off offset:56
	scratch_load_b64 v[187:188], off, off offset:64
	scratch_load_b64 v[125:126], off, off offset:72
	scratch_load_b64 v[156:157], off, off offset:80
	scratch_load_b64 v[158:159], off, off offset:88
	scratch_load_b64 v[160:161], off, off offset:96
	scratch_load_b64 v[162:163], off, off offset:104
	scratch_load_b64 v[175:176], off, off offset:112
	scratch_load_b32 v209, off, off offset:260
	scratch_load_b32 v191, off, off offset:256
	scratch_load_b64 v[230:231], off, off offset:628
	scratch_load_b32 v127, off, off offset:352
	scratch_load_b32 v148, off, off offset:356
	;; [unrolled: 1-line block ×5, first 2 shown]
	s_clause 0x1f
	scratch_load_b32 v189, off, off offset:388
	scratch_load_b32 v194, off, off offset:400
	;; [unrolled: 1-line block ×14, first 2 shown]
	scratch_load_b64 v[218:219], off, off offset:500
	; meta instruction
	scratch_load_b32 v107, off, off offset:512
	scratch_load_b32 v108, off, off offset:516
	scratch_load_b32 v109, off, off offset:520
	scratch_load_b32 v110, off, off offset:524
	scratch_load_b32 v111, off, off offset:528
	scratch_load_b32 v112, off, off offset:532
	scratch_load_b32 v129, off, off offset:536
	scratch_load_b32 v130, off, off offset:540
	scratch_load_b32 v131, off, off offset:544
	scratch_load_b32 v133, off, off offset:548
	scratch_load_b32 v134, off, off offset:552
	scratch_load_b32 v135, off, off offset:556
	scratch_load_b32 v136, off, off offset:560
	scratch_load_b32 v137, off, off offset:564
	scratch_load_b32 v138, off, off offset:568
	scratch_load_b32 v139, off, off offset:572
	scratch_load_b128 v[101:104], off, off offset:240
	s_clause 0x8
	scratch_load_b128 v[140:143], off, off offset:224
	scratch_load_b128 v[40:43], off, off offset:176
	;; [unrolled: 1-line block ×5, first 2 shown]
	scratch_load_b32 v105, off, off offset:576
	scratch_load_b128 v[201:204], off, off offset:144
	scratch_load_b64 v[235:236], off, off offset:120
	scratch_load_b128 v[56:59], off, off offset:128
	s_wait_loadcnt 0x3e
	v_mad_co_i64_i32 v[64:65], null, v32, s38, 0
	s_branch .LBB24_253
.LBB24_252:                             ;   in Loop: Header=BB24_9 Depth=1
	v_dual_mov_b32 v31, 0 :: v_dual_mov_b32 v254, 0
	v_mov_b32_e32 v23, 0
	v_mov_b32_e32 v253, 0xfeffffff
	s_mov_b64 s[4:5], 0
	s_delay_alu instid0(VALU_DEP_3)
	v_mov_b32_e32 v30, v31
	v_dual_mov_b32 v28, v31 :: v_dual_mov_b32 v29, v31
	v_dual_mov_b32 v22, v23 :: v_dual_mov_b32 v21, v23
	;; [unrolled: 1-line block ×14, first 2 shown]
	v_mov_b32_e32 v0, v23
.LBB24_253:                             ;   in Loop: Header=BB24_9 Depth=1
	v_lshlrev_b32_e32 v34, 1, v115
	s_wait_alu 0xfffe
	s_lshl_b64 s[82:83], s[4:5], 1
	v_lshlrev_b64_e32 v[32:33], 1, v[78:79]
	s_add_nc_u64 s[80:81], s[80:81], s[82:83]
	v_lshlrev_b64_e32 v[36:37], 1, v[74:75]
	s_wait_alu 0xfffe
	v_add_co_u32 v78, s3, s80, v34
	v_lshlrev_b64_e32 v[34:35], 1, v[70:71]
	s_wait_alu 0xf1ff
	v_add_co_ci_u32_e64 v79, null, s81, 0, s3
	s_delay_alu instid0(VALU_DEP_3) | instskip(SKIP_2) | instid1(VALU_DEP_3)
	v_add_co_u32 v32, vcc_lo, v78, v32
	v_lshlrev_b64_e32 v[38:39], 1, v[76:77]
	s_wait_alu 0xfffd
	v_add_co_ci_u32_e64 v33, null, v79, v33, vcc_lo
	v_add_co_u32 v34, vcc_lo, v78, v34
	v_lshlrev_b64_e32 v[70:71], 1, v[72:73]
	s_wait_alu 0xfffd
	v_add_co_ci_u32_e64 v35, null, v79, v35, vcc_lo
	;; [unrolled: 4-line block ×5, first 2 shown]
	v_add_co_u32 v68, vcc_lo, v78, v68
	s_wait_alu 0xfffd
	v_add_co_ci_u32_e64 v69, null, v79, v69, vcc_lo
	v_add_co_u32 v66, vcc_lo, v78, v66
	s_wait_alu 0xfffd
	v_add_co_ci_u32_e64 v67, null, v79, v67, vcc_lo
	v_add_co_u32 v64, vcc_lo, v78, v64
	s_wait_alu 0xfffd
	v_add_co_ci_u32_e64 v65, null, v79, v65, vcc_lo
	s_clause 0x7
	global_load_b32 v32, v[32:33], off
	global_load_b32 v33, v[34:35], off
	;; [unrolled: 1-line block ×8, first 2 shown]
	v_add_nc_u32_e32 v64, v118, v117
	s_mul_u64 s[80:81], s[4:5], s[26:27]
	s_mul_u64 s[4:5], s[4:5], s[34:35]
	s_wait_alu 0xfffe
	s_lshl_b64 s[80:81], s[80:81], 2
	s_lshl_b64 s[4:5], s[4:5], 2
	v_add_nc_u32_e32 v65, 0x4400, v64
	s_wait_alu 0xfffe
	s_add_nc_u64 s[78:79], s[78:79], s[80:81]
	s_add_nc_u64 s[4:5], s[76:77], s[4:5]
	s_cmp_lg_u64 s[74:75], 0
	s_wait_loadcnt 0x6
	ds_store_2addr_b32 v65, v32, v33 offset1:144
	v_add_nc_u32_e32 v32, 0x4800, v64
	s_wait_loadcnt 0x4
	ds_store_2addr_b32 v32, v34, v35 offset0:32 offset1:176
	v_add_nc_u32_e32 v32, 0x4c00, v64
	s_wait_loadcnt 0x2
	ds_store_2addr_b32 v32, v36, v37 offset0:64 offset1:208
	;; [unrolled: 3-line block ×3, first 2 shown]
	s_wait_alu 0xfffe
	v_add_co_u32 v32, vcc_lo, s78, v125
	s_wait_alu 0xfffd
	v_add_co_ci_u32_e64 v33, null, s79, v126, vcc_lo
	s_delay_alu instid0(VALU_DEP_2) | instskip(SKIP_1) | instid1(VALU_DEP_2)
	v_add_co_u32 v32, vcc_lo, v32, v247
	s_wait_alu 0xfffd
	v_add_co_ci_u32_e64 v33, null, 0, v33, vcc_lo
	v_add_co_u32 v34, vcc_lo, s78, v156
	s_wait_alu 0xfffd
	v_add_co_ci_u32_e64 v35, null, s79, v157, vcc_lo
	s_delay_alu instid0(VALU_DEP_2) | instskip(SKIP_1) | instid1(VALU_DEP_2)
	v_add_co_u32 v36, vcc_lo, v34, v247
	s_wait_alu 0xfffd
	v_add_co_ci_u32_e64 v37, null, 0, v35, vcc_lo
	s_clause 0x1
	global_load_b128 v[32:35], v[32:33], off
	global_load_b128 v[36:39], v[36:37], off
	s_wait_loadcnt 0x1
	ds_store_b128 v233, v[32:35]
	s_wait_loadcnt 0x0
	ds_store_b128 v128, v[36:39]
	v_add_co_u32 v32, vcc_lo, s78, v158
	s_wait_alu 0xfffd
	v_add_co_ci_u32_e64 v33, null, s79, v159, vcc_lo
	s_delay_alu instid0(VALU_DEP_2) | instskip(SKIP_1) | instid1(VALU_DEP_2)
	v_add_co_u32 v32, vcc_lo, v32, v247
	s_wait_alu 0xfffd
	v_add_co_ci_u32_e64 v33, null, 0, v33, vcc_lo
	v_add_co_u32 v34, vcc_lo, s78, v160
	s_wait_alu 0xfffd
	v_add_co_ci_u32_e64 v35, null, s79, v161, vcc_lo
	s_delay_alu instid0(VALU_DEP_2) | instskip(SKIP_1) | instid1(VALU_DEP_2)
	v_add_co_u32 v36, vcc_lo, v34, v247
	s_wait_alu 0xfffd
	v_add_co_ci_u32_e64 v37, null, 0, v35, vcc_lo
	s_clause 0x1
	global_load_b128 v[32:35], v[32:33], off
	global_load_b128 v[36:39], v[36:37], off
	s_wait_loadcnt 0x1
	ds_store_b128 v228, v[32:35]
	s_wait_loadcnt 0x0
	ds_store_b128 v132, v[36:39]
	;; [unrolled: 21-line block ×3, first 2 shown]
	v_add_co_u32 v32, vcc_lo, s78, v230
	s_wait_alu 0xfffd
	v_add_co_ci_u32_e64 v33, null, s79, v231, vcc_lo
	s_delay_alu instid0(VALU_DEP_2) | instskip(SKIP_1) | instid1(VALU_DEP_2)
	v_add_co_u32 v32, vcc_lo, v32, v247
	s_wait_alu 0xfffd
	v_add_co_ci_u32_e64 v33, null, 0, v33, vcc_lo
	v_add_co_u32 v34, vcc_lo, s78, v235
	s_wait_alu 0xfffd
	v_add_co_ci_u32_e64 v35, null, s79, v236, vcc_lo
	s_delay_alu instid0(VALU_DEP_2) | instskip(SKIP_1) | instid1(VALU_DEP_2)
	v_add_co_u32 v36, vcc_lo, v34, v247
	s_wait_alu 0xfffd
	v_add_co_ci_u32_e64 v37, null, 0, v35, vcc_lo
	s_clause 0x1
	global_load_b128 v[32:35], v[32:33], off
	global_load_b128 v[36:39], v[36:37], off
	v_cmp_lt_i32_e32 vcc_lo, v105, v106
	s_wait_loadcnt 0x1
	ds_store_b128 v165, v[32:35]
	s_wait_loadcnt 0x0
	ds_store_b128 v225, v[36:39]
	s_wait_dscnt 0x0
	s_barrier_signal -1
	s_barrier_wait -1
	global_inv scope:SCOPE_SE
	ds_load_b128 v[32:35], v172
	ds_load_b128 v[36:39], v172 offset:32
	s_wait_dscnt 0x1
	v_wmma_f32_16x16x16_f16 v[65:72], v[32:35], v[201:204], 0
	s_wait_dscnt 0x0
	s_delay_alu instid0(VALU_DEP_1)
	v_wmma_f32_16x16x16_f16 v[65:72], v[36:39], v[56:59], v[65:72]
	ds_load_b128 v[32:35], v172 offset:4352
	ds_load_b128 v[36:39], v172 offset:4384
	s_wait_dscnt 0x1
	v_wmma_f32_16x16x16_f16 v[73:80], v[32:35], v[201:204], 0
	s_wait_dscnt 0x0
	s_delay_alu instid0(VALU_DEP_1)
	v_wmma_f32_16x16x16_f16 v[73:80], v[36:39], v[56:59], v[73:80]
	ds_load_b128 v[32:35], v172 offset:8704
	;; [unrolled: 7-line block ×4, first 2 shown]
	ds_load_b128 v[36:39], v172 offset:96
	s_wait_dscnt 0x1
	v_wmma_f32_16x16x16_f16 v[65:72], v[32:35], v[52:55], v[65:72]
	ds_load_b128 v[32:35], v172 offset:4416
	ds_load_b128 v[56:59], v172 offset:4448
	s_wait_dscnt 0x2
	v_wmma_f32_16x16x16_f16 v[65:72], v[36:39], v[48:51], v[65:72]
	s_wait_dscnt 0x1
	v_wmma_f32_16x16x16_f16 v[73:80], v[32:35], v[52:55], v[73:80]
	ds_load_b128 v[32:35], v172 offset:8768
	ds_load_b128 v[60:63], v172 offset:8800
	s_wait_dscnt 0x2
	v_wmma_f32_16x16x16_f16 v[73:80], v[56:59], v[48:51], v[73:80]
	;; [unrolled: 6-line block ×10, first 2 shown]
	s_wait_dscnt 0x1
	v_wmma_f32_16x16x16_f16 v[81:88], v[32:35], v[140:143], v[81:88]
	ds_load_b128 v[32:35], v172 offset:13248
	ds_load_b128 v[48:51], v172 offset:13280
	s_wait_loadcnt_dscnt 0x0
	s_barrier_signal -1
	s_barrier_wait -1
	global_inv scope:SCOPE_SE
	v_wmma_f32_16x16x16_f16 v[81:88], v[44:47], v[101:104], v[81:88]
	v_wmma_f32_16x16x16_f16 v[89:96], v[32:35], v[140:143], v[89:96]
	v_add_nc_u32_e32 v32, 0x4400, v208
	v_add_nc_u32_e32 v34, 0x4400, v205
	s_delay_alu instid0(VALU_DEP_3)
	v_wmma_f32_16x16x16_f16 v[89:96], v[48:51], v[101:104], v[89:96]
	ds_load_2addr_b32 v[32:33], v32 offset1:1
	ds_load_2addr_b32 v[34:35], v34 offset1:1
	ds_load_b32 v36, v191 offset:17408
	ds_load_b32 v39, v208 offset:17416
	s_wait_dscnt 0x3
	v_cvt_f32_f16_e32 v37, v32
	v_lshrrev_b32_e32 v32, 16, v32
	v_cvt_f32_f16_e32 v38, v33
	v_lshrrev_b32_e32 v33, 16, v33
	s_wait_dscnt 0x1
	v_lshrrev_b32_e32 v41, 16, v36
	v_cvt_f32_f16_e32 v36, v36
	v_cvt_f32_f16_e32 v32, v32
	v_add_f32_e32 v58, v65, v37
	v_cvt_f32_f16_e32 v33, v33
	v_cvt_f32_f16_e32 v41, v41
	v_add_f32_e32 v63, v67, v38
	v_dual_add_f32 v59, v66, v32 :: v_dual_add_nc_u32 v32, 0x4400, v221
	s_delay_alu instid0(VALU_DEP_4) | instskip(NEXT) | instid1(VALU_DEP_4)
	v_add_f32_e32 v65, v68, v33
	v_add_f32_e32 v66, v72, v41
	v_lshrrev_b32_e32 v41, 16, v34
	v_add_f32_e32 v67, v71, v36
	ds_load_2addr_b32 v[32:33], v32 offset1:1
	s_wait_dscnt 0x1
	v_cvt_f32_f16_e32 v40, v39
	v_lshrrev_b32_e32 v39, 16, v39
	v_add_nc_u32_e32 v36, 0x4400, v174
	v_add_nc_u32_e32 v38, 0x4400, v209
	v_cvt_f32_f16_e32 v42, v35
	v_add_f32_e32 v69, v69, v40
	v_cvt_f32_f16_e32 v39, v39
	v_cvt_f32_f16_e32 v40, v34
	v_add_nc_u32_e32 v34, 0x4400, v173
	v_lshrrev_b32_e32 v43, 16, v35
	v_cvt_f32_f16_e32 v41, v41
	v_add_f32_e32 v68, v70, v39
	ds_load_2addr_b32 v[34:35], v34 offset1:1
	ds_load_2addr_b32 v[36:37], v36 offset1:1
	;; [unrolled: 1-line block ×3, first 2 shown]
	v_cvt_f32_f16_e32 v43, v43
	v_add_f32_e32 v55, v74, v41
	s_wait_dscnt 0x3
	v_cvt_f32_f16_e32 v44, v32
	v_lshrrev_b32_e32 v32, 16, v32
	v_lshrrev_b32_e32 v45, 16, v33
	v_cvt_f32_f16_e32 v33, v33
	s_delay_alu instid0(VALU_DEP_4) | instskip(NEXT) | instid1(VALU_DEP_4)
	v_dual_add_f32 v57, v76, v43 :: v_dual_add_f32 v64, v77, v44
	v_cvt_f32_f16_e32 v32, v32
	s_delay_alu instid0(VALU_DEP_4) | instskip(NEXT) | instid1(VALU_DEP_2)
	v_cvt_f32_f16_e32 v45, v45
	v_dual_add_f32 v61, v79, v33 :: v_dual_add_f32 v62, v78, v32
	s_wait_dscnt 0x2
	v_cvt_f32_f16_e32 v32, v34
	s_wait_dscnt 0x1
	v_lshrrev_b32_e32 v41, 16, v37
	v_cvt_f32_f16_e32 v37, v37
	v_add_f32_e32 v54, v73, v40
	v_cvt_f32_f16_e32 v40, v36
	v_lshrrev_b32_e32 v36, 16, v36
	v_lshrrev_b32_e32 v33, 16, v34
	v_cvt_f32_f16_e32 v34, v35
	v_lshrrev_b32_e32 v35, 16, v35
	v_cvt_f32_f16_e32 v41, v41
	v_cvt_f32_f16_e32 v36, v36
	;; [unrolled: 1-line block ×3, first 2 shown]
	v_add_f32_e32 v47, v83, v34
	v_cvt_f32_f16_e32 v35, v35
	v_add_f32_e32 v50, v88, v41
	v_add_f32_e32 v52, v86, v36
	s_wait_dscnt 0x0
	v_cvt_f32_f16_e32 v36, v39
	v_dual_add_f32 v60, v80, v45 :: v_dual_add_f32 v45, v81, v32
	v_add_nc_u32_e32 v32, 0x68, v208
	v_dual_add_f32 v46, v82, v33 :: v_dual_add_f32 v49, v84, v35
	v_cvt_f32_f16_e32 v34, v38
	v_lshrrev_b32_e32 v35, 16, v38
	s_delay_alu instid0(VALU_DEP_4) | instskip(SKIP_2) | instid1(VALU_DEP_4)
	v_dual_add_f32 v51, v87, v37 :: v_dual_add_nc_u32 v32, 0x4400, v32
	v_lshrrev_b32_e32 v37, 16, v39
	v_add_f32_e32 v53, v85, v40
	v_cvt_f32_f16_e32 v35, v35
	ds_load_2addr_b32 v[32:33], v32 offset1:1
	v_add_f32_e32 v39, v91, v36
	v_cvt_f32_f16_e32 v40, v37
	v_dual_add_f32 v37, v89, v34 :: v_dual_add_f32 v34, 0x40051340, v65
	s_delay_alu instid0(VALU_DEP_2)
	v_add_f32_e32 v40, v92, v40
	s_wait_dscnt 0x0
	v_cvt_f32_f16_e32 v41, v32
	v_lshrrev_b32_e32 v32, 16, v32
	v_lshrrev_b32_e32 v38, 16, v33
	v_cvt_f32_f16_e32 v33, v33
	s_delay_alu instid0(VALU_DEP_3) | instskip(SKIP_1) | instid1(VALU_DEP_3)
	v_cvt_f32_f16_e32 v32, v32
	v_add_f32_e32 v56, v75, v42
	v_dual_add_f32 v42, v95, v33 :: v_dual_add_f32 v33, 0x40051340, v59
	v_cvt_f32_f16_e32 v48, v38
	s_delay_alu instid0(VALU_DEP_4) | instskip(SKIP_1) | instid1(VALU_DEP_3)
	v_dual_add_f32 v43, v94, v32 :: v_dual_add_f32 v32, 0x40051340, v58
	v_add_f32_e32 v38, v90, v35
	v_dual_add_f32 v44, v93, v41 :: v_dual_add_f32 v41, v96, v48
	s_delay_alu instid0(VALU_DEP_3) | instskip(SKIP_1) | instid1(VALU_DEP_1)
	v_max3_num_f32 v32, v253, v32, v33
	v_add_f32_e32 v33, 0x40051340, v63
	v_max3_num_f32 v32, v32, v33, v34
	v_dual_add_f32 v33, 0x40051340, v69 :: v_dual_add_f32 v34, 0x40051340, v68
	s_delay_alu instid0(VALU_DEP_1) | instskip(SKIP_1) | instid1(VALU_DEP_1)
	v_max3_num_f32 v32, v32, v33, v34
	v_dual_add_f32 v33, 0x40051340, v67 :: v_dual_add_f32 v34, 0x40051340, v66
	v_max3_num_f32 v32, v32, v33, v34
	v_dual_add_f32 v33, 0x40051340, v54 :: v_dual_add_f32 v34, 0x40051340, v55
	s_delay_alu instid0(VALU_DEP_1) | instskip(SKIP_1) | instid1(VALU_DEP_1)
	v_max3_num_f32 v32, v32, v33, v34
	v_dual_add_f32 v33, 0x40051340, v56 :: v_dual_add_f32 v34, 0x40051340, v57
	;; [unrolled: 5-line block ×7, first 2 shown]
	v_max3_num_f32 v32, v32, v33, v34
	s_wait_alu 0xfffd
	v_cndmask_b32_e32 v33, v217, v105, vcc_lo
	s_delay_alu instid0(VALU_DEP_1) | instskip(SKIP_3) | instid1(VALU_DEP_1)
	v_lshlrev_b32_e32 v36, 2, v33
	ds_bpermute_b32 v33, v36, v32
	s_wait_dscnt 0x0
	v_max_num_f32_e32 v33, v33, v33
	v_max_num_f32_e32 v48, v32, v33
	s_delay_alu instid0(VALU_DEP_1) | instskip(NEXT) | instid1(VALU_DEP_1)
	v_sub_f32_e32 v32, v253, v48
	v_mul_f32_e32 v33, 0x3fb8aa3b, v32
	v_cmp_ngt_f32_e32 vcc_lo, 0xc2ce8ed0, v32
	s_delay_alu instid0(VALU_DEP_2) | instskip(SKIP_1) | instid1(VALU_DEP_1)
	v_fma_f32 v34, 0x3fb8aa3b, v32, -v33
	v_rndne_f32_e32 v35, v33
	v_dual_fmac_f32 v34, 0x32a5705f, v32 :: v_dual_sub_f32 v33, v33, v35
	s_delay_alu instid0(VALU_DEP_1) | instskip(SKIP_3) | instid1(VALU_DEP_4)
	v_add_f32_e32 v33, v33, v34
	v_cvt_i32_f32_e32 v34, v35
	v_dual_sub_f32 v65, v65, v48 :: v_dual_add_nc_u32 v88, 0x400, v185
	v_sub_f32_e32 v63, v63, v48
	v_exp_f32_e32 v33, v33
	v_sub_f32_e32 v68, v68, v48
	v_sub_f32_e32 v67, v67, v48
	;; [unrolled: 1-line block ×6, first 2 shown]
	v_cmp_ngt_f32_e64 s3, 0xc2ce8ed0, v67
	v_sub_f32_e32 v56, v56, v48
	v_sub_f32_e32 v55, v55, v48
	v_ldexp_f32 v33, v33, v34
	v_sub_f32_e32 v60, v60, v48
	v_sub_f32_e32 v52, v52, v48
	v_sub_f32_e32 v46, v46, v48
	s_wait_alu 0xfffd
	v_dual_sub_f32 v42, v42, v48 :: v_dual_cndmask_b32 v33, 0, v33
	v_cmp_nlt_f32_e32 vcc_lo, 0x42b17218, v32
	v_sub_f32_e32 v44, v44, v48
	v_sub_f32_e32 v40, v40, v48
	;; [unrolled: 1-line block ×4, first 2 shown]
	s_wait_alu 0xfffd
	v_cndmask_b32_e32 v33, 0x7f800000, v33, vcc_lo
	v_cmp_le_f32_e32 vcc_lo, 0xc1a00000, v32
	v_sub_f32_e32 v66, v66, v48
	v_sub_f32_e32 v61, v61, v48
	;; [unrolled: 1-line block ×3, first 2 shown]
	s_wait_alu 0xfffd
	v_dual_sub_f32 v51, v51, v48 :: v_dual_cndmask_b32 v70, 0, v33
	v_sub_f32_e32 v47, v47, v48
	v_sub_f32_e32 v53, v53, v48
	v_sub_f32_e32 v49, v49, v48
	v_sub_f32_e32 v45, v45, v48
	v_cvt_f16_f32_e32 v32, v70
	v_sub_f32_e32 v50, v50, v48
	v_sub_f32_e32 v43, v43, v48
	;; [unrolled: 1-line block ×4, first 2 shown]
	v_and_b32_e32 v32, 0xffff, v32
	v_sub_f32_e32 v39, v39, v48
	s_delay_alu instid0(VALU_DEP_2) | instskip(NEXT) | instid1(VALU_DEP_1)
	v_mul_u32_u24_e32 v71, 0x10001, v32
	v_pk_mul_f16 v32, v20, v71
	v_pk_mul_f16 v20, v24, v71
	v_add_co_u32 v24, vcc_lo, s4, v146
	v_pk_mul_f16 v33, v21, v71
	v_pk_mul_f16 v21, v25, v71
	s_wait_alu 0xfffd
	v_add_co_ci_u32_e64 v25, null, s5, v147, vcc_lo
	v_add_co_u32 v24, vcc_lo, v24, v247
	v_pk_mul_f16 v34, v22, v71
	v_pk_mul_f16 v22, v26, v71
	s_wait_alu 0xfffd
	v_add_co_ci_u32_e64 v25, null, 0, v25, vcc_lo
	;; [unrolled: 5-line block ×3, first 2 shown]
	v_pk_mul_f16 v28, v28, v71
	v_pk_mul_f16 v29, v29, v71
	;; [unrolled: 1-line block ×24, first 2 shown]
	v_add_co_u32 v71, vcc_lo, v26, v247
	s_wait_alu 0xfffd
	v_add_co_ci_u32_e64 v72, null, 0, v27, vcc_lo
	s_clause 0x1
	global_load_b128 v[24:27], v[24:25], off
	global_load_b128 v[71:74], v[71:72], off
	s_wait_loadcnt 0x1
	ds_store_b128 v233, v[24:27]
	s_wait_loadcnt 0x0
	ds_store_b128 v128, v[71:74]
	v_add_co_u32 v24, vcc_lo, s4, v152
	s_wait_alu 0xfffd
	v_add_co_ci_u32_e64 v25, null, s5, v153, vcc_lo
	s_delay_alu instid0(VALU_DEP_2) | instskip(SKIP_1) | instid1(VALU_DEP_2)
	v_add_co_u32 v24, vcc_lo, v24, v247
	s_wait_alu 0xfffd
	v_add_co_ci_u32_e64 v25, null, 0, v25, vcc_lo
	v_add_co_u32 v26, vcc_lo, s4, v177
	s_wait_alu 0xfffd
	v_add_co_ci_u32_e64 v27, null, s5, v178, vcc_lo
	s_delay_alu instid0(VALU_DEP_2) | instskip(SKIP_1) | instid1(VALU_DEP_2)
	v_add_co_u32 v71, vcc_lo, v26, v247
	s_wait_alu 0xfffd
	v_add_co_ci_u32_e64 v72, null, 0, v27, vcc_lo
	s_clause 0x1
	global_load_b128 v[24:27], v[24:25], off
	global_load_b128 v[71:74], v[71:72], off
	s_wait_loadcnt 0x1
	ds_store_b128 v228, v[24:27]
	s_wait_loadcnt 0x0
	ds_store_b128 v132, v[71:74]
	v_add_co_u32 v24, vcc_lo, s4, v179
	s_wait_alu 0xfffd
	v_add_co_ci_u32_e64 v25, null, s5, v180, vcc_lo
	s_delay_alu instid0(VALU_DEP_2) | instskip(SKIP_1) | instid1(VALU_DEP_2)
	v_add_co_u32 v24, vcc_lo, v24, v247
	s_wait_alu 0xfffd
	v_add_co_ci_u32_e64 v25, null, 0, v25, vcc_lo
	v_add_co_u32 v26, vcc_lo, s4, v181
	s_wait_alu 0xfffd
	v_add_co_ci_u32_e64 v27, null, s5, v182, vcc_lo
	s_delay_alu instid0(VALU_DEP_2) | instskip(SKIP_1) | instid1(VALU_DEP_2)
	v_add_co_u32 v71, vcc_lo, v26, v247
	s_wait_alu 0xfffd
	v_add_co_ci_u32_e64 v72, null, 0, v27, vcc_lo
	s_clause 0x1
	global_load_b128 v[24:27], v[24:25], off
	global_load_b128 v[71:74], v[71:72], off
	s_wait_loadcnt 0x1
	ds_store_b128 v252, v[24:27]
	s_wait_loadcnt 0x0
	ds_store_b128 v190, v[71:74]
	v_add_co_u32 v24, vcc_lo, s4, v183
	s_wait_alu 0xfffd
	v_add_co_ci_u32_e64 v25, null, s5, v184, vcc_lo
	s_delay_alu instid0(VALU_DEP_2) | instskip(SKIP_1) | instid1(VALU_DEP_2)
	v_add_co_u32 v24, vcc_lo, v24, v247
	s_wait_alu 0xfffd
	v_add_co_ci_u32_e64 v25, null, 0, v25, vcc_lo
	v_add_co_u32 v26, vcc_lo, s4, v187
	s_wait_alu 0xfffd
	v_add_co_ci_u32_e64 v27, null, s5, v188, vcc_lo
	v_cmp_ngt_f32_e64 s4, 0xc2ce8ed0, v66
	s_delay_alu instid0(VALU_DEP_3) | instskip(SKIP_1) | instid1(VALU_DEP_3)
	v_add_co_u32 v71, vcc_lo, v26, v247
	s_wait_alu 0xfffd
	v_add_co_ci_u32_e64 v72, null, 0, v27, vcc_lo
	s_clause 0x1
	global_load_b128 v[24:27], v[24:25], off
	global_load_b128 v[71:74], v[71:72], off
	s_wait_loadcnt 0x1
	ds_store_b128 v165, v[24:27]
	s_wait_loadcnt 0x0
	ds_store_b128 v225, v[71:74]
	s_wait_dscnt 0x0
	s_barrier_signal -1
	s_barrier_wait -1
	global_inv scope:SCOPE_SE
	ds_load_2addr_b32 v[24:25], v185 offset0:136 offset1:152
	ds_load_2addr_b32 v[26:27], v185 offset0:204 offset1:220
	;; [unrolled: 1-line block ×4, first 2 shown]
	v_cmp_ngt_f32_e32 vcc_lo, 0xc2ce8ed0, v68
	s_wait_dscnt 0x2
	v_perm_b32 v72, v26, v24, 0x7060302
	v_perm_b32 v76, v26, v24, 0x5040100
	;; [unrolled: 1-line block ×4, first 2 shown]
	ds_load_2addr_b32 v[24:25], v185 offset1:16
	ds_load_2addr_b32 v[26:27], v185 offset0:68 offset1:84
	s_wait_dscnt 0x2
	v_perm_b32 v81, v78, v75, 0x7060302
	v_perm_b32 v85, v78, v75, 0x5040100
	;; [unrolled: 1-line block ×4, first 2 shown]
	s_wait_dscnt 0x0
	v_perm_b32 v71, v26, v24, 0x7060302
	v_perm_b32 v75, v26, v24, 0x5040100
	v_add_nc_u32_e32 v24, v122, v120
	v_perm_b32 v79, v27, v25, 0x7060302
	v_perm_b32 v83, v27, v25, 0x5040100
	v_add_nc_u32_e32 v25, v122, v121
	ds_load_2addr_b32 v[26:27], v24 offset1:16
	ds_load_2addr_b32 v[86:87], v25 offset1:16
	s_wait_dscnt 0x0
	v_perm_b32 v78, v86, v26, 0x5040100
	v_perm_b32 v74, v86, v26, 0x7060302
	;; [unrolled: 1-line block ×4, first 2 shown]
	ds_load_2addr_b32 v[26:27], v88 offset0:48 offset1:64
	ds_load_2addr_b32 v[90:91], v88 offset0:116 offset1:132
	;; [unrolled: 1-line block ×4, first 2 shown]
	s_wait_dscnt 0x2
	v_perm_b32 v89, v90, v26, 0x7060302
	v_perm_b32 v93, v90, v26, 0x5040100
	s_wait_dscnt 0x0
	v_perm_b32 v88, v97, v94, 0x7060302
	v_perm_b32 v92, v97, v94, 0x5040100
	;; [unrolled: 1-line block ×6, first 2 shown]
	ds_load_2addr_b32 v[26:27], v185 offset0:32 offset1:48
	ds_load_2addr_b32 v[98:99], v185 offset0:100 offset1:116
	s_wait_dscnt 0x0
	v_perm_b32 v87, v98, v26, 0x7060302
	v_perm_b32 v91, v98, v26, 0x5040100
	v_sub_f32_e32 v26, v69, v48
	v_perm_b32 v95, v99, v27, 0x7060302
	v_perm_b32 v99, v99, v27, 0x5040100
	s_delay_alu instid0(VALU_DEP_3) | instskip(SKIP_1) | instid1(VALU_DEP_2)
	v_mul_f32_e32 v27, 0x3fb8aa3b, v26
	v_cmp_ngt_f32_e64 s5, 0xc2ce8ed0, v26
	v_fma_f32 v69, 0x3fb8aa3b, v26, -v27
	v_rndne_f32_e32 v90, v27
	s_delay_alu instid0(VALU_DEP_2) | instskip(NEXT) | instid1(VALU_DEP_2)
	v_fmac_f32_e32 v69, 0x32a5705f, v26
	v_sub_f32_e32 v27, v27, v90
	v_cvt_i32_f32_e32 v90, v90
	s_delay_alu instid0(VALU_DEP_2) | instskip(SKIP_1) | instid1(VALU_DEP_2)
	v_add_f32_e32 v27, v27, v69
	v_mul_f32_e32 v69, 0x3fb8aa3b, v68
	v_exp_f32_e32 v27, v27
	s_delay_alu instid0(VALU_DEP_1) | instskip(SKIP_1) | instid1(VALU_DEP_1)
	v_fma_f32 v94, 0x3fb8aa3b, v68, -v69
	v_rndne_f32_e32 v98, v69
	v_dual_fmac_f32 v94, 0x32a5705f, v68 :: v_dual_sub_f32 v69, v69, v98
	s_delay_alu instid0(TRANS32_DEP_1) | instskip(SKIP_1) | instid1(VALU_DEP_3)
	v_ldexp_f32 v27, v27, v90
	v_cvt_i32_f32_e32 v90, v98
	v_dual_add_f32 v69, v69, v94 :: v_dual_mul_f32 v94, 0x3fb8aa3b, v67
	s_wait_alu 0xf1ff
	s_delay_alu instid0(VALU_DEP_3) | instskip(SKIP_1) | instid1(VALU_DEP_3)
	v_cndmask_b32_e64 v27, 0, v27, s5
	v_cmp_nlt_f32_e64 s5, 0x42b17218, v26
	v_exp_f32_e32 v69, v69
	v_fma_f32 v102, 0x3fb8aa3b, v67, -v94
	v_rndne_f32_e32 v103, v94
	s_delay_alu instid0(VALU_DEP_2) | instskip(NEXT) | instid1(VALU_DEP_2)
	v_fmac_f32_e32 v102, 0x32a5705f, v67
	v_sub_f32_e32 v94, v94, v103
	s_delay_alu instid0(TRANS32_DEP_1) | instskip(NEXT) | instid1(VALU_DEP_2)
	v_ldexp_f32 v69, v69, v90
	v_add_f32_e32 v94, v94, v102
	s_wait_alu 0xfffd
	s_delay_alu instid0(VALU_DEP_2) | instskip(SKIP_1) | instid1(VALU_DEP_3)
	v_dual_mul_f32 v102, 0x3fb8aa3b, v66 :: v_dual_cndmask_b32 v69, 0, v69
	v_cmp_nlt_f32_e32 vcc_lo, 0x42b17218, v68
	v_exp_f32_e32 v90, v94
	s_delay_alu instid0(VALU_DEP_2) | instskip(SKIP_2) | instid1(VALU_DEP_3)
	v_fma_f32 v104, 0x3fb8aa3b, v66, -v102
	v_rndne_f32_e32 v105, v102
	v_cvt_i32_f32_e32 v94, v103
	v_fmac_f32_e32 v104, 0x32a5705f, v66
	s_delay_alu instid0(VALU_DEP_3)
	v_sub_f32_e32 v102, v102, v105
	v_cvt_i32_f32_e32 v98, v105
	s_delay_alu instid0(TRANS32_DEP_1) | instid1(VALU_DEP_4)
	v_ldexp_f32 v90, v90, v94
	s_delay_alu instid0(VALU_DEP_3) | instskip(NEXT) | instid1(VALU_DEP_2)
	v_add_f32_e32 v102, v102, v104
	v_cndmask_b32_e64 v68, 0, v90, s3
	v_cmp_nlt_f32_e64 s3, 0x42b17218, v67
	s_delay_alu instid0(VALU_DEP_3) | instskip(SKIP_1) | instid1(VALU_DEP_1)
	v_exp_f32_e32 v94, v102
	s_wait_alu 0xf1ff
	v_cndmask_b32_e64 v26, 0x7f800000, v68, s3
	v_cmp_ngt_f32_e64 s3, 0xc2ce8ed0, v63
	s_delay_alu instid0(TRANS32_DEP_1) | instskip(NEXT) | instid1(VALU_DEP_1)
	v_ldexp_f32 v94, v94, v98
	v_cndmask_b32_e64 v67, 0, v94, s4
	v_cmp_nlt_f32_e64 s4, 0x42b17218, v66
	v_cndmask_b32_e64 v66, 0x7f800000, v27, s5
	v_cmp_ngt_f32_e64 s5, 0xc2ce8ed0, v64
	s_wait_alu 0xf1ff
	s_delay_alu instid0(VALU_DEP_3)
	v_cndmask_b32_e64 v27, 0x7f800000, v67, s4
	s_wait_alu 0xfffd
	v_cndmask_b32_e32 v67, 0x7f800000, v69, vcc_lo
	v_cvt_f16_f32_e32 v68, v66
	v_cvt_f16_f32_e32 v69, v26
	v_cmp_ngt_f32_e32 vcc_lo, 0xc2ce8ed0, v65
	v_cvt_f16_f32_e32 v90, v27
	v_cvt_f16_f32_e32 v94, v67
	s_delay_alu instid0(VALU_DEP_2) | instskip(NEXT) | instid1(VALU_DEP_2)
	v_pack_b32_f16 v106, v69, v90
	v_pack_b32_f16 v105, v68, v94
	v_mul_f32_e32 v68, 0x3fb8aa3b, v65
	s_delay_alu instid0(VALU_DEP_1) | instskip(SKIP_1) | instid1(VALU_DEP_1)
	v_fma_f32 v69, 0x3fb8aa3b, v65, -v68
	v_rndne_f32_e32 v90, v68
	v_dual_fmac_f32 v69, 0x32a5705f, v65 :: v_dual_sub_f32 v68, v68, v90
	v_cvt_i32_f32_e32 v90, v90
	s_delay_alu instid0(VALU_DEP_2) | instskip(NEXT) | instid1(VALU_DEP_1)
	v_dual_add_f32 v68, v68, v69 :: v_dual_mul_f32 v69, 0x3fb8aa3b, v63
	v_exp_f32_e32 v68, v68
	s_delay_alu instid0(VALU_DEP_1) | instskip(SKIP_1) | instid1(VALU_DEP_1)
	v_fma_f32 v94, 0x3fb8aa3b, v63, -v69
	v_rndne_f32_e32 v98, v69
	v_dual_fmac_f32 v94, 0x32a5705f, v63 :: v_dual_sub_f32 v69, v69, v98
	s_delay_alu instid0(TRANS32_DEP_1) | instskip(SKIP_2) | instid1(VALU_DEP_2)
	v_ldexp_f32 v68, v68, v90
	v_cvt_i32_f32_e32 v90, v98
	s_wait_alu 0xfffd
	v_dual_add_f32 v69, v69, v94 :: v_dual_cndmask_b32 v68, 0, v68
	v_cmp_nlt_f32_e32 vcc_lo, 0x42b17218, v65
	s_delay_alu instid0(VALU_DEP_2) | instskip(NEXT) | instid1(TRANS32_DEP_1)
	v_exp_f32_e32 v69, v69
	v_ldexp_f32 v69, v69, v90
	s_delay_alu instid0(VALU_DEP_1) | instskip(SKIP_2) | instid1(VALU_DEP_1)
	v_cndmask_b32_e64 v65, 0, v69, s3
	v_cmp_nlt_f32_e64 s3, 0x42b17218, v63
	s_wait_alu 0xf1ff
	v_cndmask_b32_e64 v63, 0x7f800000, v65, s3
	s_wait_alu 0xfffd
	v_cndmask_b32_e32 v65, 0x7f800000, v68, vcc_lo
	v_cmp_ngt_f32_e32 vcc_lo, 0xc2ce8ed0, v59
	v_cmp_ngt_f32_e64 s3, 0xc2ce8ed0, v58
	v_cvt_f16_f32_e32 v68, v63
	s_delay_alu instid0(VALU_DEP_4) | instskip(NEXT) | instid1(VALU_DEP_1)
	v_cvt_f16_f32_e32 v69, v65
	v_pack_b32_f16 v104, v68, v69
	v_mul_f32_e32 v68, 0x3fb8aa3b, v59
	s_delay_alu instid0(VALU_DEP_1) | instskip(SKIP_1) | instid1(VALU_DEP_1)
	v_fma_f32 v69, 0x3fb8aa3b, v59, -v68
	v_rndne_f32_e32 v90, v68
	v_dual_fmac_f32 v69, 0x32a5705f, v59 :: v_dual_sub_f32 v68, v68, v90
	v_cvt_i32_f32_e32 v90, v90
	s_delay_alu instid0(VALU_DEP_2) | instskip(NEXT) | instid1(VALU_DEP_1)
	v_dual_add_f32 v68, v68, v69 :: v_dual_mul_f32 v69, 0x3fb8aa3b, v58
	v_exp_f32_e32 v68, v68
	s_delay_alu instid0(VALU_DEP_1) | instskip(SKIP_1) | instid1(VALU_DEP_2)
	v_fma_f32 v94, 0x3fb8aa3b, v58, -v69
	v_rndne_f32_e32 v98, v69
	v_fmac_f32_e32 v94, 0x32a5705f, v58
	s_delay_alu instid0(VALU_DEP_2) | instskip(NEXT) | instid1(TRANS32_DEP_1)
	v_sub_f32_e32 v69, v69, v98
	v_ldexp_f32 v68, v68, v90
	v_cvt_i32_f32_e32 v90, v98
	s_wait_alu 0xfffd
	s_delay_alu instid0(VALU_DEP_2) | instskip(SKIP_1) | instid1(VALU_DEP_2)
	v_dual_add_f32 v69, v69, v94 :: v_dual_cndmask_b32 v68, 0, v68
	v_cmp_nlt_f32_e32 vcc_lo, 0x42b17218, v59
	v_exp_f32_e32 v69, v69
	s_delay_alu instid0(TRANS32_DEP_1) | instskip(SKIP_1) | instid1(VALU_DEP_1)
	v_ldexp_f32 v69, v69, v90
	s_wait_alu 0xf1ff
	v_cndmask_b32_e64 v59, 0, v69, s3
	v_cmp_nlt_f32_e64 s3, 0x42b17218, v58
	s_wait_alu 0xf1ff
	s_delay_alu instid0(VALU_DEP_1)
	v_cndmask_b32_e64 v58, 0x7f800000, v59, s3
	s_wait_alu 0xfffd
	v_cndmask_b32_e32 v59, 0x7f800000, v68, vcc_lo
	v_cmp_ngt_f32_e32 vcc_lo, 0xc2ce8ed0, v62
	v_cmp_ngt_f32_e64 s3, 0xc2ce8ed0, v61
	v_cvt_f16_f32_e32 v68, v58
	s_delay_alu instid0(VALU_DEP_4) | instskip(NEXT) | instid1(VALU_DEP_1)
	v_cvt_f16_f32_e32 v69, v59
	v_pack_b32_f16 v103, v68, v69
	s_delay_alu instid0(VALU_DEP_1)
	v_wmma_f16_16x16x16_f16 v[32:35], v[71:74], v[103:106], v[32:35]
	ds_load_2addr_b32 v[68:69], v24 offset0:32 offset1:48
	ds_load_2addr_b32 v[71:72], v25 offset0:32 offset1:48
	v_wmma_f16_16x16x16_f16 v[28:31], v[75:78], v[103:106], v[28:31]
	v_wmma_f16_16x16x16_f16 v[20:23], v[83:86], v[103:106], v[20:23]
	;; [unrolled: 1-line block ×3, first 2 shown]
	s_wait_dscnt 0x0
	v_perm_b32 v94, v71, v68, 0x5040100
	v_perm_b32 v90, v71, v68, 0x7060302
	v_mul_f32_e32 v68, 0x3fb8aa3b, v64
	v_perm_b32 v102, v72, v69, 0x5040100
	v_perm_b32 v98, v72, v69, 0x7060302
	v_wmma_f16_16x16x16_f16 v[12:15], v[91:94], v[103:106], v[12:15]
	v_add_nc_u32_e32 v94, 0x1400, v185
	v_fma_f32 v69, 0x3fb8aa3b, v64, -v68
	v_rndne_f32_e32 v71, v68
	v_wmma_f16_16x16x16_f16 v[0:3], v[95:98], v[103:106], v[0:3]
	v_add_nc_u32_e32 v97, 0x1000, v185
	v_add_nc_u32_e32 v95, 0x1000, v24
	s_delay_alu instid0(VALU_DEP_4)
	v_dual_fmac_f32 v69, 0x32a5705f, v64 :: v_dual_sub_f32 v68, v68, v71
	v_cvt_i32_f32_e32 v71, v71
	v_cmp_ngt_f32_e64 s4, 0xc2ce8ed0, v60
	v_add_nc_u32_e32 v96, 0x1000, v25
	v_wmma_f16_16x16x16_f16 v[8:11], v[87:90], v[103:106], v[8:11]
	v_dual_add_f32 v68, v68, v69 :: v_dual_mul_f32 v69, 0x3fb8aa3b, v62
	v_wmma_f16_16x16x16_f16 v[4:7], v[99:102], v[103:106], v[4:7]
	v_add_nc_u32_e32 v99, 0x2000, v185
	v_add_nc_u32_e32 v98, 0x2000, v25
	s_delay_alu instid0(VALU_DEP_4) | instskip(SKIP_2) | instid1(VALU_DEP_1)
	v_exp_f32_e32 v68, v68
	v_fma_f32 v72, 0x3fb8aa3b, v62, -v69
	v_rndne_f32_e32 v73, v69
	v_dual_fmac_f32 v72, 0x32a5705f, v62 :: v_dual_sub_f32 v69, v69, v73
	s_delay_alu instid0(TRANS32_DEP_1) | instskip(SKIP_1) | instid1(VALU_DEP_3)
	v_ldexp_f32 v68, v68, v71
	v_cvt_i32_f32_e32 v71, v73
	v_dual_add_f32 v69, v69, v72 :: v_dual_mul_f32 v72, 0x3fb8aa3b, v61
	s_delay_alu instid0(VALU_DEP_1) | instskip(NEXT) | instid1(VALU_DEP_1)
	v_exp_f32_e32 v69, v69
	v_fma_f32 v74, 0x3fb8aa3b, v61, -v72
	v_rndne_f32_e32 v75, v72
	s_delay_alu instid0(VALU_DEP_2) | instskip(NEXT) | instid1(VALU_DEP_2)
	v_fmac_f32_e32 v74, 0x32a5705f, v61
	v_sub_f32_e32 v72, v72, v75
	s_delay_alu instid0(TRANS32_DEP_1) | instskip(NEXT) | instid1(VALU_DEP_2)
	v_ldexp_f32 v69, v69, v71
	v_add_f32_e32 v72, v72, v74
	s_wait_alu 0xfffd
	s_delay_alu instid0(VALU_DEP_2) | instskip(SKIP_1) | instid1(VALU_DEP_3)
	v_dual_mul_f32 v74, 0x3fb8aa3b, v60 :: v_dual_cndmask_b32 v69, 0, v69
	v_cmp_nlt_f32_e32 vcc_lo, 0x42b17218, v62
	v_exp_f32_e32 v71, v72
	s_delay_alu instid0(VALU_DEP_2) | instskip(SKIP_2) | instid1(VALU_DEP_3)
	v_fma_f32 v76, 0x3fb8aa3b, v60, -v74
	v_rndne_f32_e32 v77, v74
	v_cvt_i32_f32_e32 v72, v75
	v_fmac_f32_e32 v76, 0x32a5705f, v60
	s_delay_alu instid0(VALU_DEP_3)
	v_sub_f32_e32 v74, v74, v77
	s_delay_alu instid0(TRANS32_DEP_1) | instid1(VALU_DEP_3)
	v_ldexp_f32 v71, v71, v72
	v_cvt_i32_f32_e32 v72, v77
	s_delay_alu instid0(VALU_DEP_3) | instskip(SKIP_1) | instid1(VALU_DEP_3)
	v_add_f32_e32 v74, v74, v76
	s_wait_alu 0xf1ff
	v_cndmask_b32_e64 v71, 0, v71, s3
	v_cmp_nlt_f32_e64 s3, 0x42b17218, v61
	s_delay_alu instid0(VALU_DEP_3) | instskip(NEXT) | instid1(TRANS32_DEP_1)
	v_exp_f32_e32 v62, v74
	v_ldexp_f32 v62, v62, v72
	s_delay_alu instid0(VALU_DEP_1)
	v_cndmask_b32_e64 v61, 0, v62, s4
	v_cmp_nlt_f32_e64 s4, 0x42b17218, v60
	v_cndmask_b32_e64 v60, 0, v68, s5
	v_cmp_nlt_f32_e64 s5, 0x42b17218, v64
	s_wait_alu 0xfffd
	v_cndmask_b32_e32 v64, 0x7f800000, v69, vcc_lo
	v_cmp_ngt_f32_e32 vcc_lo, 0xc2ce8ed0, v57
	s_wait_alu 0xf1ff
	v_cndmask_b32_e64 v61, 0x7f800000, v61, s4
	v_cmp_ngt_f32_e64 s4, 0xc2ce8ed0, v50
	v_cndmask_b32_e64 v62, 0x7f800000, v60, s5
	v_cndmask_b32_e64 v60, 0x7f800000, v71, s3
	v_cvt_f16_f32_e32 v72, v64
	v_cvt_f16_f32_e32 v71, v61
	v_cmp_ngt_f32_e64 s3, 0xc2ce8ed0, v56
	v_cvt_f16_f32_e32 v68, v62
	v_cvt_f16_f32_e32 v69, v60
	v_cmp_ngt_f32_e64 s5, 0xc2ce8ed0, v53
	s_delay_alu instid0(VALU_DEP_3) | instskip(SKIP_1) | instid1(VALU_DEP_4)
	v_pack_b32_f16 v73, v68, v72
	v_mul_f32_e32 v68, 0x3fb8aa3b, v57
	v_pack_b32_f16 v74, v69, v71
	s_delay_alu instid0(VALU_DEP_2) | instskip(SKIP_1) | instid1(VALU_DEP_1)
	v_fma_f32 v69, 0x3fb8aa3b, v57, -v68
	v_rndne_f32_e32 v71, v68
	v_dual_fmac_f32 v69, 0x32a5705f, v57 :: v_dual_sub_f32 v68, v68, v71
	v_cvt_i32_f32_e32 v71, v71
	s_delay_alu instid0(VALU_DEP_2) | instskip(NEXT) | instid1(VALU_DEP_1)
	v_dual_add_f32 v68, v68, v69 :: v_dual_mul_f32 v69, 0x3fb8aa3b, v56
	v_exp_f32_e32 v68, v68
	s_delay_alu instid0(VALU_DEP_1) | instskip(SKIP_1) | instid1(VALU_DEP_1)
	v_fma_f32 v72, 0x3fb8aa3b, v56, -v69
	v_rndne_f32_e32 v75, v69
	v_dual_fmac_f32 v72, 0x32a5705f, v56 :: v_dual_sub_f32 v69, v69, v75
	s_delay_alu instid0(TRANS32_DEP_1) | instskip(SKIP_1) | instid1(VALU_DEP_3)
	v_ldexp_f32 v68, v68, v71
	v_cvt_i32_f32_e32 v71, v75
	v_add_f32_e32 v69, v69, v72
	s_wait_alu 0xfffd
	s_delay_alu instid0(VALU_DEP_3) | instskip(SKIP_1) | instid1(VALU_DEP_3)
	v_cndmask_b32_e32 v68, 0, v68, vcc_lo
	v_cmp_nlt_f32_e32 vcc_lo, 0x42b17218, v57
	v_exp_f32_e32 v69, v69
	s_delay_alu instid0(TRANS32_DEP_1) | instskip(SKIP_1) | instid1(VALU_DEP_1)
	v_ldexp_f32 v69, v69, v71
	s_wait_alu 0xf1ff
	v_cndmask_b32_e64 v57, 0, v69, s3
	v_cmp_nlt_f32_e64 s3, 0x42b17218, v56
	s_wait_alu 0xf1ff
	s_delay_alu instid0(VALU_DEP_1) | instskip(SKIP_3) | instid1(VALU_DEP_3)
	v_cndmask_b32_e64 v56, 0x7f800000, v57, s3
	s_wait_alu 0xfffd
	v_cndmask_b32_e32 v57, 0x7f800000, v68, vcc_lo
	v_cmp_ngt_f32_e64 s3, 0xc2ce8ed0, v54
	v_cvt_f16_f32_e32 v68, v56
	s_delay_alu instid0(VALU_DEP_3) | instskip(NEXT) | instid1(VALU_DEP_1)
	v_cvt_f16_f32_e32 v69, v57
	v_pack_b32_f16 v72, v68, v69
	v_mul_f32_e32 v68, 0x3fb8aa3b, v55
	s_delay_alu instid0(VALU_DEP_1) | instskip(SKIP_1) | instid1(VALU_DEP_1)
	v_fma_f32 v69, 0x3fb8aa3b, v55, -v68
	v_rndne_f32_e32 v71, v68
	v_sub_f32_e32 v68, v68, v71
	s_delay_alu instid0(VALU_DEP_3) | instskip(SKIP_2) | instid1(VALU_DEP_3)
	v_fmac_f32_e32 v69, 0x32a5705f, v55
	v_cvt_i32_f32_e32 v71, v71
	v_cmp_ngt_f32_e32 vcc_lo, 0xc2ce8ed0, v55
	v_dual_add_f32 v68, v68, v69 :: v_dual_mul_f32 v69, 0x3fb8aa3b, v54
	s_delay_alu instid0(VALU_DEP_1) | instskip(NEXT) | instid1(VALU_DEP_1)
	v_exp_f32_e32 v68, v68
	v_fma_f32 v75, 0x3fb8aa3b, v54, -v69
	v_rndne_f32_e32 v76, v69
	s_delay_alu instid0(VALU_DEP_2) | instskip(NEXT) | instid1(VALU_DEP_2)
	v_fmac_f32_e32 v75, 0x32a5705f, v54
	v_sub_f32_e32 v69, v69, v76
	s_delay_alu instid0(TRANS32_DEP_1) | instskip(SKIP_2) | instid1(VALU_DEP_2)
	v_ldexp_f32 v68, v68, v71
	v_cvt_i32_f32_e32 v71, v76
	s_wait_alu 0xfffd
	v_dual_add_f32 v69, v69, v75 :: v_dual_cndmask_b32 v68, 0, v68
	v_cmp_nlt_f32_e32 vcc_lo, 0x42b17218, v55
	s_delay_alu instid0(VALU_DEP_2) | instskip(NEXT) | instid1(TRANS32_DEP_1)
	v_exp_f32_e32 v69, v69
	v_ldexp_f32 v69, v69, v71
	s_wait_alu 0xf1ff
	s_delay_alu instid0(VALU_DEP_1) | instskip(SKIP_2) | instid1(VALU_DEP_1)
	v_cndmask_b32_e64 v55, 0, v69, s3
	v_cmp_nlt_f32_e64 s3, 0x42b17218, v54
	s_wait_alu 0xf1ff
	v_cndmask_b32_e64 v54, 0x7f800000, v55, s3
	s_wait_alu 0xfffd
	v_cndmask_b32_e32 v55, 0x7f800000, v68, vcc_lo
	v_cmp_ngt_f32_e32 vcc_lo, 0xc2ce8ed0, v52
	v_cmp_ngt_f32_e64 s3, 0xc2ce8ed0, v51
	v_cvt_f16_f32_e32 v68, v54
	s_delay_alu instid0(VALU_DEP_4) | instskip(NEXT) | instid1(VALU_DEP_1)
	v_cvt_f16_f32_e32 v69, v55
	v_pack_b32_f16 v71, v68, v69
	ds_load_2addr_b32 v[68:69], v94 offset0:80 offset1:96
	ds_load_2addr_b32 v[82:83], v95 offset0:64 offset1:80
	;; [unrolled: 1-line block ×8, first 2 shown]
	s_wait_dscnt 0x5
	v_perm_b32 v78, v84, v82, 0x5040100
	s_wait_dscnt 0x4
	v_perm_b32 v77, v79, v68, 0x5040100
	s_wait_dscnt 0x2
	v_perm_b32 v76, v88, v86, 0x5040100
	s_wait_dscnt 0x0
	v_perm_b32 v75, v92, v90, 0x5040100
	v_perm_b32 v81, v80, v69, 0x5040100
	s_delay_alu instid0(VALU_DEP_2)
	v_wmma_f16_16x16x16_f16 v[28:31], v[75:78], v[71:74], v[28:31]
	v_perm_b32 v75, v92, v90, 0x7060302
	v_perm_b32 v76, v88, v86, 0x7060302
	;; [unrolled: 1-line block ×6, first 2 shown]
	s_delay_alu instid0(VALU_DEP_3)
	v_wmma_f16_16x16x16_f16 v[32:35], v[75:78], v[71:74], v[32:35]
	v_perm_b32 v77, v80, v69, 0x7060302
	v_perm_b32 v80, v89, v87, 0x5040100
	;; [unrolled: 1-line block ×5, first 2 shown]
	s_delay_alu instid0(VALU_DEP_4)
	v_wmma_f16_16x16x16_f16 v[20:23], v[79:82], v[71:74], v[20:23]
	ds_load_2addr_b32 v[68:69], v94 offset0:44 offset1:60
	ds_load_2addr_b32 v[82:83], v94 offset0:112 offset1:128
	;; [unrolled: 1-line block ×4, first 2 shown]
	v_wmma_f16_16x16x16_f16 v[16:19], v[75:78], v[71:74], v[16:19]
	s_wait_dscnt 0x1
	v_perm_b32 v93, v86, v83, 0x5040100
	s_wait_dscnt 0x0
	v_perm_b32 v80, v68, v89, 0x7060302
	v_perm_b32 v84, v68, v89, 0x5040100
	;; [unrolled: 1-line block ×4, first 2 shown]
	ds_load_2addr_b32 v[68:69], v97 offset0:96 offset1:112
	ds_load_2addr_b32 v[90:91], v97 offset0:164 offset1:180
	v_perm_b32 v89, v86, v83, 0x7060302
	v_perm_b32 v81, v85, v82, 0x7060302
	;; [unrolled: 1-line block ×3, first 2 shown]
	s_wait_dscnt 0x0
	v_perm_b32 v79, v90, v68, 0x7060302
	v_perm_b32 v83, v90, v68, 0x5040100
	;; [unrolled: 1-line block ×4, first 2 shown]
	ds_load_2addr_b32 v[68:69], v95 offset0:96 offset1:112
	ds_load_2addr_b32 v[94:95], v96 offset0:96 offset1:112
	s_wait_dscnt 0x0
	v_perm_b32 v86, v94, v68, 0x5040100
	v_perm_b32 v82, v94, v68, 0x7060302
	v_perm_b32 v94, v95, v69, 0x5040100
	v_perm_b32 v90, v95, v69, 0x7060302
	v_mul_f32_e32 v68, 0x3fb8aa3b, v53
	v_wmma_f16_16x16x16_f16 v[12:15], v[83:86], v[71:74], v[12:15]
	v_wmma_f16_16x16x16_f16 v[8:11], v[79:82], v[71:74], v[8:11]
	;; [unrolled: 1-line block ×4, first 2 shown]
	v_fma_f32 v69, 0x3fb8aa3b, v53, -v68
	v_rndne_f32_e32 v71, v68
	v_add_nc_u32_e32 v90, 0x2000, v24
	s_delay_alu instid0(VALU_DEP_2) | instskip(SKIP_1) | instid1(VALU_DEP_2)
	v_dual_fmac_f32 v69, 0x32a5705f, v53 :: v_dual_sub_f32 v68, v68, v71
	v_cvt_i32_f32_e32 v71, v71
	v_dual_add_f32 v68, v68, v69 :: v_dual_mul_f32 v69, 0x3fb8aa3b, v52
	s_delay_alu instid0(VALU_DEP_1) | instskip(NEXT) | instid1(VALU_DEP_1)
	v_exp_f32_e32 v68, v68
	v_fma_f32 v72, 0x3fb8aa3b, v52, -v69
	v_rndne_f32_e32 v73, v69
	s_delay_alu instid0(VALU_DEP_1) | instskip(NEXT) | instid1(TRANS32_DEP_1)
	v_dual_fmac_f32 v72, 0x32a5705f, v52 :: v_dual_sub_f32 v69, v69, v73
	v_ldexp_f32 v68, v68, v71
	v_cvt_i32_f32_e32 v71, v73
	s_delay_alu instid0(VALU_DEP_3) | instskip(NEXT) | instid1(VALU_DEP_1)
	v_add_f32_e32 v69, v69, v72
	v_exp_f32_e32 v69, v69
	s_delay_alu instid0(TRANS32_DEP_1) | instskip(SKIP_2) | instid1(VALU_DEP_2)
	v_ldexp_f32 v69, v69, v71
	v_mul_f32_e32 v71, 0x3fb8aa3b, v51
	s_wait_alu 0xfffd
	v_cndmask_b32_e32 v69, 0, v69, vcc_lo
	s_delay_alu instid0(VALU_DEP_2) | instskip(SKIP_3) | instid1(VALU_DEP_3)
	v_fma_f32 v72, 0x3fb8aa3b, v51, -v71
	v_rndne_f32_e32 v73, v71
	v_cmp_nlt_f32_e32 vcc_lo, 0x42b17218, v52
	v_mul_f32_e32 v52, 0x3fb8aa3b, v50
	v_dual_fmac_f32 v72, 0x32a5705f, v51 :: v_dual_sub_f32 v71, v71, v73
	s_wait_alu 0xfffd
	v_cndmask_b32_e32 v94, 0x7f800000, v69, vcc_lo
	s_delay_alu instid0(VALU_DEP_3) | instskip(SKIP_3) | instid1(VALU_DEP_4)
	v_rndne_f32_e32 v74, v52
	v_cmp_ngt_f32_e32 vcc_lo, 0xc2ce8ed0, v49
	v_add_f32_e32 v71, v71, v72
	v_fma_f32 v72, 0x3fb8aa3b, v50, -v52
	v_sub_f32_e32 v52, v52, v74
	s_delay_alu instid0(VALU_DEP_3) | instskip(NEXT) | instid1(VALU_DEP_2)
	v_exp_f32_e32 v71, v71
	v_fmac_f32_e32 v72, 0x32a5705f, v50
	s_delay_alu instid0(VALU_DEP_1) | instskip(SKIP_1) | instid1(VALU_DEP_2)
	v_add_f32_e32 v52, v52, v72
	v_cvt_i32_f32_e32 v72, v73
	v_exp_f32_e32 v52, v52
	s_delay_alu instid0(TRANS32_DEP_2) | instid1(VALU_DEP_1)
	v_ldexp_f32 v71, v71, v72
	v_cvt_i32_f32_e32 v72, v74
	s_wait_alu 0xf1ff
	s_delay_alu instid0(VALU_DEP_2)
	v_cndmask_b32_e64 v71, 0, v71, s3
	v_cmp_nlt_f32_e64 s3, 0x42b17218, v51
	s_delay_alu instid0(TRANS32_DEP_1) | instid1(VALU_DEP_3)
	v_ldexp_f32 v52, v52, v72
	s_wait_alu 0xf1ff
	s_delay_alu instid0(VALU_DEP_2) | instskip(SKIP_1) | instid1(VALU_DEP_3)
	v_cndmask_b32_e64 v92, 0x7f800000, v71, s3
	v_cmp_ngt_f32_e64 s3, 0xc2ce8ed0, v47
	v_cndmask_b32_e64 v51, 0, v52, s4
	v_cmp_nlt_f32_e64 s4, 0x42b17218, v50
	v_cndmask_b32_e64 v50, 0, v68, s5
	v_cmp_nlt_f32_e64 s5, 0x42b17218, v53
	v_cvt_f16_f32_e32 v53, v94
	s_wait_alu 0xf1ff
	v_cndmask_b32_e64 v93, 0x7f800000, v51, s4
	v_cvt_f16_f32_e32 v51, v92
	v_cndmask_b32_e64 v91, 0x7f800000, v50, s5
	v_cmp_ngt_f32_e64 s4, 0xc2ce8ed0, v41
	s_delay_alu instid0(VALU_DEP_4) | instskip(NEXT) | instid1(VALU_DEP_3)
	v_cvt_f16_f32_e32 v52, v93
	v_cvt_f16_f32_e32 v50, v91
	s_delay_alu instid0(VALU_DEP_2) | instskip(NEXT) | instid1(VALU_DEP_2)
	v_pack_b32_f16 v52, v51, v52
	v_pack_b32_f16 v51, v50, v53
	v_mul_f32_e32 v50, 0x3fb8aa3b, v49
	s_delay_alu instid0(VALU_DEP_1) | instskip(SKIP_1) | instid1(VALU_DEP_1)
	v_fma_f32 v53, 0x3fb8aa3b, v49, -v50
	v_rndne_f32_e32 v68, v50
	v_dual_fmac_f32 v53, 0x32a5705f, v49 :: v_dual_sub_f32 v50, v50, v68
	v_cvt_i32_f32_e32 v68, v68
	s_delay_alu instid0(VALU_DEP_2) | instskip(NEXT) | instid1(VALU_DEP_1)
	v_dual_add_f32 v50, v50, v53 :: v_dual_mul_f32 v53, 0x3fb8aa3b, v47
	v_exp_f32_e32 v50, v50
	s_delay_alu instid0(VALU_DEP_1) | instskip(SKIP_1) | instid1(VALU_DEP_2)
	v_fma_f32 v69, 0x3fb8aa3b, v47, -v53
	v_rndne_f32_e32 v71, v53
	v_fmac_f32_e32 v69, 0x32a5705f, v47
	s_delay_alu instid0(VALU_DEP_2) | instskip(NEXT) | instid1(TRANS32_DEP_1)
	v_sub_f32_e32 v53, v53, v71
	v_ldexp_f32 v50, v50, v68
	v_cvt_i32_f32_e32 v68, v71
	s_wait_alu 0xfffd
	s_delay_alu instid0(VALU_DEP_2) | instskip(SKIP_1) | instid1(VALU_DEP_2)
	v_dual_add_f32 v53, v53, v69 :: v_dual_cndmask_b32 v50, 0, v50
	v_cmp_nlt_f32_e32 vcc_lo, 0x42b17218, v49
	v_exp_f32_e32 v53, v53
	s_wait_alu 0xfffd
	s_delay_alu instid0(VALU_DEP_2) | instskip(SKIP_1) | instid1(VALU_DEP_2)
	v_cndmask_b32_e32 v95, 0x7f800000, v50, vcc_lo
	v_cmp_ngt_f32_e32 vcc_lo, 0xc2ce8ed0, v46
	v_cvt_f16_f32_e32 v50, v95
	s_delay_alu instid0(TRANS32_DEP_1) | instskip(NEXT) | instid1(VALU_DEP_1)
	v_ldexp_f32 v53, v53, v68
	v_cndmask_b32_e64 v49, 0, v53, s3
	v_cmp_nlt_f32_e64 s3, 0x42b17218, v47
	s_wait_alu 0xf1ff
	s_delay_alu instid0(VALU_DEP_1) | instskip(SKIP_1) | instid1(VALU_DEP_2)
	v_cndmask_b32_e64 v47, 0x7f800000, v49, s3
	v_cmp_ngt_f32_e64 s3, 0xc2ce8ed0, v45
	v_cvt_f16_f32_e32 v49, v47
	s_delay_alu instid0(VALU_DEP_1) | instskip(SKIP_1) | instid1(VALU_DEP_1)
	v_pack_b32_f16 v50, v49, v50
	v_mul_f32_e32 v49, 0x3fb8aa3b, v46
	v_fma_f32 v53, 0x3fb8aa3b, v46, -v49
	v_rndne_f32_e32 v68, v49
	s_delay_alu instid0(VALU_DEP_2) | instskip(NEXT) | instid1(VALU_DEP_2)
	v_fmac_f32_e32 v53, 0x32a5705f, v46
	v_sub_f32_e32 v49, v49, v68
	v_cvt_i32_f32_e32 v68, v68
	s_delay_alu instid0(VALU_DEP_2) | instskip(SKIP_1) | instid1(VALU_DEP_2)
	v_add_f32_e32 v49, v49, v53
	v_mul_f32_e32 v53, 0x3fb8aa3b, v45
	v_exp_f32_e32 v49, v49
	s_delay_alu instid0(VALU_DEP_1) | instskip(SKIP_1) | instid1(VALU_DEP_2)
	v_fma_f32 v69, 0x3fb8aa3b, v45, -v53
	v_rndne_f32_e32 v71, v53
	v_fmac_f32_e32 v69, 0x32a5705f, v45
	s_delay_alu instid0(VALU_DEP_2) | instskip(NEXT) | instid1(TRANS32_DEP_1)
	v_sub_f32_e32 v53, v53, v71
	v_ldexp_f32 v49, v49, v68
	v_cvt_i32_f32_e32 v68, v71
	s_delay_alu instid0(VALU_DEP_3) | instskip(SKIP_1) | instid1(VALU_DEP_3)
	v_add_f32_e32 v53, v53, v69
	s_wait_alu 0xfffd
	v_cndmask_b32_e32 v49, 0, v49, vcc_lo
	v_cmp_nlt_f32_e32 vcc_lo, 0x42b17218, v46
	s_delay_alu instid0(VALU_DEP_3) | instskip(SKIP_1) | instid1(VALU_DEP_2)
	v_exp_f32_e32 v53, v53
	s_wait_alu 0xfffd
	v_cndmask_b32_e32 v97, 0x7f800000, v49, vcc_lo
	v_cmp_ngt_f32_e32 vcc_lo, 0xc2ce8ed0, v43
	s_delay_alu instid0(TRANS32_DEP_1) | instskip(SKIP_1) | instid1(VALU_DEP_1)
	v_ldexp_f32 v53, v53, v68
	s_wait_alu 0xf1ff
	v_cndmask_b32_e64 v46, 0, v53, s3
	v_cmp_nlt_f32_e64 s3, 0x42b17218, v45
	v_add_nc_u32_e32 v53, 0x2400, v185
	s_wait_alu 0xf1ff
	s_delay_alu instid0(VALU_DEP_2) | instskip(SKIP_2) | instid1(VALU_DEP_3)
	v_cndmask_b32_e64 v96, 0x7f800000, v46, s3
	v_cvt_f16_f32_e32 v46, v97
	v_cmp_ngt_f32_e64 s3, 0xc2ce8ed0, v42
	v_cvt_f16_f32_e32 v45, v96
	s_delay_alu instid0(VALU_DEP_1)
	v_pack_b32_f16 v49, v45, v46
	ds_load_2addr_b32 v[45:46], v53 offset0:144 offset1:160
	ds_load_2addr_b32 v[68:69], v90 offset0:128 offset1:144
	;; [unrolled: 1-line block ×8, first 2 shown]
	s_wait_dscnt 0x5
	v_perm_b32 v74, v78, v68, 0x5040100
	s_wait_dscnt 0x4
	v_perm_b32 v73, v75, v45, 0x5040100
	;; [unrolled: 2-line block ×4, first 2 shown]
	v_perm_b32 v77, v76, v46, 0x5040100
	s_delay_alu instid0(VALU_DEP_2)
	v_wmma_f16_16x16x16_f16 v[28:31], v[71:74], v[49:52], v[28:31]
	v_perm_b32 v71, v86, v84, 0x7060302
	v_perm_b32 v72, v82, v80, 0x7060302
	;; [unrolled: 1-line block ×6, first 2 shown]
	v_add_nc_u32_e32 v45, 0x2600, v185
	s_delay_alu instid0(VALU_DEP_4)
	v_wmma_f16_16x16x16_f16 v[32:35], v[71:74], v[49:52], v[32:35]
	v_perm_b32 v73, v76, v46, 0x7060302
	v_perm_b32 v76, v83, v81, 0x5040100
	;; [unrolled: 1-line block ×5, first 2 shown]
	s_delay_alu instid0(VALU_DEP_4)
	v_wmma_f16_16x16x16_f16 v[20:23], v[75:78], v[49:52], v[20:23]
	ds_load_2addr_b32 v[45:46], v45 offset0:116 offset1:132
	ds_load_2addr_b32 v[68:69], v53 offset0:40 offset1:56
	;; [unrolled: 1-line block ×4, first 2 shown]
	v_wmma_f16_16x16x16_f16 v[16:19], v[71:74], v[49:52], v[16:19]
	s_wait_dscnt 0x1
	v_perm_b32 v77, v45, v78, 0x5040100
	s_wait_dscnt 0x0
	v_perm_b32 v76, v81, v68, 0x5040100
	v_perm_b32 v80, v81, v68, 0x7060302
	;; [unrolled: 1-line block ×7, first 2 shown]
	ds_load_2addr_b32 v[45:46], v99 offset0:160 offset1:176
	ds_load_2addr_b32 v[68:69], v99 offset0:228 offset1:244
	s_wait_dscnt 0x0
	v_perm_b32 v79, v68, v45, 0x7060302
	v_perm_b32 v75, v68, v45, 0x5040100
	;; [unrolled: 1-line block ×4, first 2 shown]
	ds_load_2addr_b32 v[45:46], v90 offset0:160 offset1:176
	ds_load_2addr_b32 v[68:69], v98 offset0:160 offset1:176
	v_add_nc_u32_e32 v98, 0x3000, v185
	s_wait_dscnt 0x0
	v_perm_b32 v78, v68, v45, 0x5040100
	v_perm_b32 v82, v68, v45, 0x7060302
	;; [unrolled: 1-line block ×4, first 2 shown]
	v_mul_f32_e32 v45, 0x3fb8aa3b, v44
	v_wmma_f16_16x16x16_f16 v[12:15], v[75:78], v[49:52], v[12:15]
	v_wmma_f16_16x16x16_f16 v[8:11], v[79:82], v[49:52], v[8:11]
	;; [unrolled: 1-line block ×4, first 2 shown]
	v_fma_f32 v46, 0x3fb8aa3b, v44, -v45
	v_rndne_f32_e32 v49, v45
	v_add_nc_u32_e32 v77, 0x3800, v185
	v_add_nc_u32_e32 v79, 0x3400, v185
	;; [unrolled: 1-line block ×3, first 2 shown]
	s_delay_alu instid0(VALU_DEP_4) | instskip(SKIP_1) | instid1(VALU_DEP_2)
	v_dual_fmac_f32 v46, 0x32a5705f, v44 :: v_dual_sub_f32 v45, v45, v49
	v_cvt_i32_f32_e32 v49, v49
	v_dual_add_f32 v45, v45, v46 :: v_dual_add_nc_u32 v82, 0x3000, v25
	v_mul_f32_e32 v46, 0x3fb8aa3b, v43
	s_delay_alu instid0(VALU_DEP_2) | instskip(NEXT) | instid1(VALU_DEP_1)
	v_exp_f32_e32 v45, v45
	v_fma_f32 v50, 0x3fb8aa3b, v43, -v46
	v_rndne_f32_e32 v51, v46
	s_delay_alu instid0(VALU_DEP_2) | instskip(NEXT) | instid1(VALU_DEP_2)
	v_fmac_f32_e32 v50, 0x32a5705f, v43
	v_sub_f32_e32 v46, v46, v51
	s_delay_alu instid0(TRANS32_DEP_1) | instskip(SKIP_1) | instid1(VALU_DEP_3)
	v_ldexp_f32 v45, v45, v49
	v_cvt_i32_f32_e32 v49, v51
	v_add_f32_e32 v46, v46, v50
	s_delay_alu instid0(VALU_DEP_1) | instskip(NEXT) | instid1(TRANS32_DEP_1)
	v_exp_f32_e32 v46, v46
	v_ldexp_f32 v46, v46, v49
	v_mul_f32_e32 v49, 0x3fb8aa3b, v42
	v_cmp_ngt_f32_e64 s5, 0xc2ce8ed0, v44
	s_wait_alu 0xfffd
	s_delay_alu instid0(VALU_DEP_3) | instskip(NEXT) | instid1(VALU_DEP_3)
	v_cndmask_b32_e32 v46, 0, v46, vcc_lo
	v_fma_f32 v50, 0x3fb8aa3b, v42, -v49
	v_rndne_f32_e32 v51, v49
	v_cmp_nlt_f32_e32 vcc_lo, 0x42b17218, v43
	s_delay_alu instid0(VALU_DEP_2) | instskip(SKIP_3) | instid1(VALU_DEP_3)
	v_dual_fmac_f32 v50, 0x32a5705f, v42 :: v_dual_sub_f32 v49, v49, v51
	s_wait_alu 0xfffd
	v_cndmask_b32_e32 v86, 0x7f800000, v46, vcc_lo
	v_cmp_ngt_f32_e32 vcc_lo, 0xc2ce8ed0, v40
	v_dual_add_f32 v49, v49, v50 :: v_dual_mul_f32 v50, 0x3fb8aa3b, v41
	s_delay_alu instid0(VALU_DEP_1) | instskip(NEXT) | instid1(VALU_DEP_1)
	v_exp_f32_e32 v43, v49
	v_fma_f32 v52, 0x3fb8aa3b, v41, -v50
	v_rndne_f32_e32 v53, v50
	v_cvt_i32_f32_e32 v49, v51
	s_delay_alu instid0(VALU_DEP_3) | instskip(NEXT) | instid1(VALU_DEP_3)
	v_fmac_f32_e32 v52, 0x32a5705f, v41
	v_sub_f32_e32 v50, v50, v53
	s_delay_alu instid0(TRANS32_DEP_1) | instid1(VALU_DEP_3)
	v_ldexp_f32 v43, v43, v49
	s_delay_alu instid0(VALU_DEP_2) | instskip(SKIP_1) | instid1(VALU_DEP_2)
	v_add_f32_e32 v50, v50, v52
	s_wait_alu 0xf1ff
	v_cndmask_b32_e64 v43, 0, v43, s3
	v_cmp_nlt_f32_e64 s3, 0x42b17218, v42
	s_delay_alu instid0(VALU_DEP_3) | instskip(SKIP_2) | instid1(VALU_DEP_2)
	v_exp_f32_e32 v49, v50
	v_cvt_i32_f32_e32 v50, v53
	s_wait_alu 0xf1ff
	v_cndmask_b32_e64 v84, 0x7f800000, v43, s3
	v_cmp_ngt_f32_e64 s3, 0xc2ce8ed0, v39
	s_delay_alu instid0(TRANS32_DEP_1) | instid1(VALU_DEP_3)
	v_ldexp_f32 v49, v49, v50
	s_delay_alu instid0(VALU_DEP_1)
	v_cndmask_b32_e64 v42, 0, v49, s4
	v_cmp_nlt_f32_e64 s4, 0x42b17218, v41
	v_cndmask_b32_e64 v41, 0, v45, s5
	v_cmp_nlt_f32_e64 s5, 0x42b17218, v44
	v_cvt_f16_f32_e32 v44, v86
	s_wait_alu 0xf1ff
	v_cndmask_b32_e64 v85, 0x7f800000, v42, s4
	v_cvt_f16_f32_e32 v42, v84
	v_cndmask_b32_e64 v83, 0x7f800000, v41, s5
	s_delay_alu instid0(VALU_DEP_3) | instskip(NEXT) | instid1(VALU_DEP_2)
	v_cvt_f16_f32_e32 v43, v85
	v_cvt_f16_f32_e32 v41, v83
	s_delay_alu instid0(VALU_DEP_2) | instskip(SKIP_1) | instid1(VALU_DEP_3)
	v_pack_b32_f16 v42, v42, v43
	v_mul_f32_e32 v43, 0x3fb8aa3b, v40
	v_pack_b32_f16 v41, v41, v44
	s_delay_alu instid0(VALU_DEP_2) | instskip(SKIP_1) | instid1(VALU_DEP_1)
	v_fma_f32 v44, 0x3fb8aa3b, v40, -v43
	v_rndne_f32_e32 v45, v43
	v_dual_fmac_f32 v44, 0x32a5705f, v40 :: v_dual_sub_f32 v43, v43, v45
	v_cvt_i32_f32_e32 v45, v45
	s_delay_alu instid0(VALU_DEP_2) | instskip(NEXT) | instid1(VALU_DEP_1)
	v_dual_add_f32 v43, v43, v44 :: v_dual_mul_f32 v44, 0x3fb8aa3b, v39
	v_exp_f32_e32 v43, v43
	s_delay_alu instid0(VALU_DEP_1) | instskip(SKIP_1) | instid1(VALU_DEP_2)
	v_fma_f32 v46, 0x3fb8aa3b, v39, -v44
	v_rndne_f32_e32 v49, v44
	v_fmac_f32_e32 v46, 0x32a5705f, v39
	s_delay_alu instid0(TRANS32_DEP_1) | instskip(NEXT) | instid1(VALU_DEP_3)
	v_ldexp_f32 v43, v43, v45
	v_cvt_i32_f32_e32 v45, v49
	s_wait_alu 0xfffd
	s_delay_alu instid0(VALU_DEP_2) | instskip(SKIP_2) | instid1(VALU_DEP_2)
	v_cndmask_b32_e32 v43, 0, v43, vcc_lo
	v_cmp_nlt_f32_e32 vcc_lo, 0x42b17218, v40
	s_wait_alu 0xfffd
	v_cndmask_b32_e32 v88, 0x7f800000, v43, vcc_lo
	v_cmp_ngt_f32_e32 vcc_lo, 0xc2ce8ed0, v38
	v_sub_f32_e32 v44, v44, v49
	s_delay_alu instid0(VALU_DEP_1) | instskip(NEXT) | instid1(VALU_DEP_1)
	v_add_f32_e32 v44, v44, v46
	v_exp_f32_e32 v44, v44
	s_delay_alu instid0(TRANS32_DEP_1) | instskip(NEXT) | instid1(VALU_DEP_1)
	v_ldexp_f32 v44, v44, v45
	v_cndmask_b32_e64 v40, 0, v44, s3
	v_cmp_nlt_f32_e64 s3, 0x42b17218, v39
	s_wait_alu 0xf1ff
	s_delay_alu instid0(VALU_DEP_1) | instskip(SKIP_2) | instid1(VALU_DEP_3)
	v_cndmask_b32_e64 v87, 0x7f800000, v40, s3
	v_cvt_f16_f32_e32 v40, v88
	v_cmp_ngt_f32_e64 s3, 0xc2ce8ed0, v37
	v_cvt_f16_f32_e32 v39, v87
	s_delay_alu instid0(VALU_DEP_1) | instskip(SKIP_1) | instid1(VALU_DEP_1)
	v_pack_b32_f16 v40, v39, v40
	v_mul_f32_e32 v39, 0x3fb8aa3b, v38
	v_fma_f32 v43, 0x3fb8aa3b, v38, -v39
	v_rndne_f32_e32 v44, v39
	s_delay_alu instid0(VALU_DEP_2) | instskip(NEXT) | instid1(VALU_DEP_2)
	v_fmac_f32_e32 v43, 0x32a5705f, v38
	v_sub_f32_e32 v39, v39, v44
	v_cvt_i32_f32_e32 v44, v44
	s_delay_alu instid0(VALU_DEP_2) | instskip(SKIP_1) | instid1(VALU_DEP_2)
	v_add_f32_e32 v39, v39, v43
	v_mul_f32_e32 v43, 0x3fb8aa3b, v37
	v_exp_f32_e32 v39, v39
	s_delay_alu instid0(VALU_DEP_1) | instskip(SKIP_1) | instid1(VALU_DEP_2)
	v_fma_f32 v45, 0x3fb8aa3b, v37, -v43
	v_rndne_f32_e32 v46, v43
	v_fmac_f32_e32 v45, 0x32a5705f, v37
	s_delay_alu instid0(VALU_DEP_2) | instskip(NEXT) | instid1(TRANS32_DEP_1)
	v_sub_f32_e32 v43, v43, v46
	v_ldexp_f32 v39, v39, v44
	v_cvt_i32_f32_e32 v44, v46
	s_delay_alu instid0(VALU_DEP_3) | instskip(SKIP_1) | instid1(VALU_DEP_3)
	v_add_f32_e32 v43, v43, v45
	s_wait_alu 0xfffd
	v_cndmask_b32_e32 v39, 0, v39, vcc_lo
	v_cmp_nlt_f32_e32 vcc_lo, 0x42b17218, v38
	s_delay_alu instid0(VALU_DEP_3) | instskip(SKIP_1) | instid1(VALU_DEP_2)
	v_exp_f32_e32 v43, v43
	s_wait_alu 0xfffd
	v_cndmask_b32_e32 v90, 0x7f800000, v39, vcc_lo
	s_delay_alu instid0(TRANS32_DEP_1) | instskip(SKIP_1) | instid1(VALU_DEP_1)
	v_ldexp_f32 v43, v43, v44
	s_wait_alu 0xf1ff
	v_cndmask_b32_e64 v38, 0, v43, s3
	v_cmp_nlt_f32_e64 s3, 0x42b17218, v37
	s_wait_alu 0xf1ff
	s_delay_alu instid0(VALU_DEP_1) | instskip(SKIP_1) | instid1(VALU_DEP_2)
	v_cndmask_b32_e64 v89, 0x7f800000, v38, s3
	v_cvt_f16_f32_e32 v38, v90
	v_cvt_f16_f32_e32 v37, v89
	s_delay_alu instid0(VALU_DEP_1)
	v_pack_b32_f16 v39, v37, v38
	ds_load_2addr_b32 v[24:25], v79 offset0:208 offset1:224
	ds_load_2addr_b32 v[37:38], v78 offset0:192 offset1:208
	;; [unrolled: 1-line block ×8, first 2 shown]
	s_wait_dscnt 0x5
	v_perm_b32 v46, v52, v37, 0x5040100
	s_wait_dscnt 0x4
	v_perm_b32 v45, v68, v24, 0x5040100
	;; [unrolled: 2-line block ×4, first 2 shown]
	v_perm_b32 v51, v69, v25, 0x5040100
	s_delay_alu instid0(VALU_DEP_2)
	v_wmma_f16_16x16x16_f16 v[28:31], v[43:46], v[39:42], v[28:31]
	v_perm_b32 v43, v75, v73, 0x7060302
	v_perm_b32 v44, v71, v49, 0x7060302
	;; [unrolled: 1-line block ×6, first 2 shown]
	v_add_nc_u32_e32 v24, 0x3600, v185
	s_delay_alu instid0(VALU_DEP_4)
	v_wmma_f16_16x16x16_f16 v[32:35], v[43:46], v[39:42], v[32:35]
	v_perm_b32 v44, v72, v50, 0x7060302
	v_perm_b32 v50, v72, v50, 0x5040100
	v_perm_b32 v45, v69, v25, 0x7060302
	v_perm_b32 v46, v53, v38, 0x7060302
	v_perm_b32 v43, v76, v74, 0x7060302
	s_delay_alu instid0(VALU_DEP_4)
	v_wmma_f16_16x16x16_f16 v[20:23], v[49:52], v[39:42], v[20:23]
	ds_load_2addr_b32 v[24:25], v24 offset0:112 offset1:128
	ds_load_2addr_b32 v[37:38], v77 offset0:52 offset1:68
	;; [unrolled: 1-line block ×4, first 2 shown]
	v_wmma_f16_16x16x16_f16 v[16:19], v[43:46], v[39:42], v[16:19]
	s_wait_dscnt 0x2
	v_perm_b32 v51, v37, v24, 0x7060302
	v_perm_b32 v73, v37, v24, 0x5040100
	;; [unrolled: 1-line block ×4, first 2 shown]
	ds_load_2addr_b32 v[24:25], v98 offset0:224 offset1:240
	ds_load_2addr_b32 v[37:38], v79 offset0:36 offset1:52
	s_wait_dscnt 0x2
	v_perm_b32 v50, v68, v52, 0x7060302
	v_perm_b32 v72, v68, v52, 0x5040100
	;; [unrolled: 1-line block ×4, first 2 shown]
	s_wait_dscnt 0x0
	v_perm_b32 v49, v37, v24, 0x7060302
	v_perm_b32 v71, v37, v24, 0x5040100
	;; [unrolled: 1-line block ×4, first 2 shown]
	ds_load_2addr_b32 v[24:25], v78 offset0:224 offset1:240
	ds_load_2addr_b32 v[37:38], v82 offset0:224 offset1:240
	s_wait_loadcnt_dscnt 0x0
	s_barrier_signal -1
	s_barrier_wait -1
	global_inv scope:SCOPE_SE
	v_perm_b32 v74, v37, v24, 0x5040100
	v_perm_b32 v52, v37, v24, 0x7060302
	v_add_f32_e32 v24, v58, v59
	v_perm_b32 v82, v38, v25, 0x5040100
	v_perm_b32 v78, v38, v25, 0x7060302
	v_wmma_f16_16x16x16_f16 v[12:15], v[71:74], v[39:42], v[12:15]
	v_wmma_f16_16x16x16_f16 v[8:11], v[49:52], v[39:42], v[8:11]
	v_add_f32_e32 v24, v63, v24
	v_wmma_f16_16x16x16_f16 v[4:7], v[79:82], v[39:42], v[4:7]
	v_wmma_f16_16x16x16_f16 v[0:3], v[75:78], v[39:42], v[0:3]
	s_delay_alu instid0(VALU_DEP_3) | instskip(NEXT) | instid1(VALU_DEP_1)
	v_add_f32_e32 v24, v65, v24
	v_add_f32_e32 v24, v66, v24
	s_delay_alu instid0(VALU_DEP_1) | instskip(NEXT) | instid1(VALU_DEP_1)
	v_add_f32_e32 v24, v67, v24
	v_add_f32_e32 v24, v26, v24
	s_delay_alu instid0(VALU_DEP_1) | instskip(NEXT) | instid1(VALU_DEP_1)
	;; [unrolled: 3-line block ×14, first 2 shown]
	v_add_f32_e32 v24, v85, v24
	v_fmac_f32_e32 v24, v254, v70
	ds_bpermute_b32 v25, v36, v24
	s_wait_dscnt 0x0
	v_add_f32_e32 v49, v24, v25
	s_cbranch_scc0 .LBB24_256
; %bb.254:                              ;   in Loop: Header=BB24_9 Depth=1
	scratch_load_b32 v24, off, off offset:288 ; 4-byte Folded Reload
	v_max_num_f32_e32 v25, v48, v48
	s_mov_b32 s3, 0
	s_wait_loadcnt 0x0
	v_lshlrev_b32_e32 v24, 2, v24
	global_load_b32 v24, v24, s[74:75]
	s_wait_loadcnt 0x0
	v_max_num_f32_e32 v26, v24, v24
	s_delay_alu instid0(VALU_DEP_1) | instskip(NEXT) | instid1(VALU_DEP_1)
	v_max_num_f32_e32 v50, v25, v26
	v_sub_f32_e32 v25, v48, v50
	v_sub_f32_e32 v24, v24, v50
	s_delay_alu instid0(VALU_DEP_2) | instskip(SKIP_1) | instid1(VALU_DEP_2)
	v_mul_f32_e32 v26, 0x3fb8aa3b, v25
	v_cmp_ngt_f32_e32 vcc_lo, 0xc2ce8ed0, v25
	v_fma_f32 v27, 0x3fb8aa3b, v25, -v26
	v_rndne_f32_e32 v36, v26
	s_delay_alu instid0(VALU_DEP_1) | instskip(SKIP_1) | instid1(VALU_DEP_2)
	v_dual_fmac_f32 v27, 0x32a5705f, v25 :: v_dual_sub_f32 v26, v26, v36
	v_cvt_i32_f32_e32 v36, v36
	v_dual_add_f32 v26, v26, v27 :: v_dual_mul_f32 v27, 0x3fb8aa3b, v24
	s_delay_alu instid0(VALU_DEP_1) | instskip(NEXT) | instid1(VALU_DEP_1)
	v_exp_f32_e32 v26, v26
	v_fma_f32 v37, 0x3fb8aa3b, v24, -v27
	v_rndne_f32_e32 v38, v27
	s_delay_alu instid0(VALU_DEP_1) | instskip(NEXT) | instid1(TRANS32_DEP_1)
	v_sub_f32_e32 v27, v27, v38
	v_ldexp_f32 v26, v26, v36
	s_delay_alu instid0(VALU_DEP_4) | instskip(SKIP_2) | instid1(VALU_DEP_2)
	v_fmac_f32_e32 v37, 0x32a5705f, v24
	v_cvt_i32_f32_e32 v36, v38
	s_wait_alu 0xfffd
	v_dual_cndmask_b32 v26, 0, v26 :: v_dual_add_f32 v27, v27, v37
	v_cmp_nlt_f32_e32 vcc_lo, 0x42b17218, v25
	s_delay_alu instid0(VALU_DEP_2) | instskip(SKIP_1) | instid1(VALU_DEP_2)
	v_exp_f32_e32 v27, v27
	s_wait_alu 0xfffd
	v_cndmask_b32_e32 v26, 0x7f800000, v26, vcc_lo
	v_cmp_le_f32_e32 vcc_lo, 0xc1a00000, v25
	s_wait_alu 0xfffd
	s_delay_alu instid0(VALU_DEP_2) | instskip(NEXT) | instid1(TRANS32_DEP_1)
	v_cndmask_b32_e32 v25, 0, v26, vcc_lo
	v_ldexp_f32 v26, v27, v36
	s_delay_alu instid0(VALU_DEP_2) | instskip(NEXT) | instid1(VALU_DEP_1)
	v_cvt_f16_f32_e32 v27, v25
	v_and_b32_e32 v27, 0xffff, v27
	v_cmp_ngt_f32_e32 vcc_lo, 0xc2ce8ed0, v24
	s_delay_alu instid0(VALU_DEP_2) | instskip(SKIP_3) | instid1(VALU_DEP_3)
	v_mul_u32_u24_e32 v52, 0x10001, v27
	s_wait_alu 0xfffd
	v_cndmask_b32_e32 v26, 0, v26, vcc_lo
	v_cmp_nlt_f32_e32 vcc_lo, 0x42b17218, v24
	v_pk_mul_f16 v66, v28, v52
	v_pk_mul_f16 v65, v29, v52
	s_wait_alu 0xfffd
	v_cndmask_b32_e32 v51, 0x7f800000, v26, vcc_lo
	v_pk_mul_f16 v64, v30, v52
	v_pk_mul_f16 v63, v31, v52
	;; [unrolled: 1-line block ×4, first 2 shown]
	v_fmac_f32_e32 v51, v49, v25
	v_pk_mul_f16 v46, v34, v52
	v_pk_mul_f16 v47, v35, v52
	;; [unrolled: 1-line block ×26, first 2 shown]
	s_branch .LBB24_257
.LBB24_255:                             ;   in Loop: Header=BB24_9 Depth=1
                                        ; implicit-def: $vgpr63
                                        ; implicit-def: $vgpr64
                                        ; implicit-def: $vgpr65
                                        ; implicit-def: $vgpr66
                                        ; implicit-def: $vgpr67
                                        ; implicit-def: $vgpr58
                                        ; implicit-def: $vgpr60
                                        ; implicit-def: $vgpr62
                                        ; implicit-def: $vgpr56
                                        ; implicit-def: $vgpr57
                                        ; implicit-def: $vgpr59
                                        ; implicit-def: $vgpr61
                                        ; implicit-def: $vgpr52
                                        ; implicit-def: $vgpr53
                                        ; implicit-def: $vgpr54
                                        ; implicit-def: $vgpr55
                                        ; implicit-def: $vgpr49
                                        ; implicit-def: $vgpr44_vgpr45_vgpr46_vgpr47
                                        ; implicit-def: $vgpr40_vgpr41_vgpr42_vgpr43
                                        ; implicit-def: $vgpr36_vgpr37_vgpr38_vgpr39
                                        ; implicit-def: $vgpr24_vgpr25_vgpr26_vgpr27
	scratch_load_b32 v208, off, off offset:4 ; 4-byte Folded Reload
	s_branch .LBB24_86
.LBB24_256:                             ;   in Loop: Header=BB24_9 Depth=1
	s_mov_b32 s3, -1
                                        ; implicit-def: $vgpr63
                                        ; implicit-def: $vgpr64
                                        ; implicit-def: $vgpr65
                                        ; implicit-def: $vgpr66
                                        ; implicit-def: $vgpr67
                                        ; implicit-def: $vgpr58
                                        ; implicit-def: $vgpr60
                                        ; implicit-def: $vgpr62
                                        ; implicit-def: $vgpr56
                                        ; implicit-def: $vgpr57
                                        ; implicit-def: $vgpr59
                                        ; implicit-def: $vgpr61
                                        ; implicit-def: $vgpr52
                                        ; implicit-def: $vgpr53
                                        ; implicit-def: $vgpr54
                                        ; implicit-def: $vgpr55
                                        ; implicit-def: $vgpr51
                                        ; implicit-def: $vgpr50
                                        ; implicit-def: $vgpr44_vgpr45_vgpr46_vgpr47
                                        ; implicit-def: $vgpr40_vgpr41_vgpr42_vgpr43
                                        ; implicit-def: $vgpr36_vgpr37_vgpr38_vgpr39
                                        ; implicit-def: $vgpr24_vgpr25_vgpr26_vgpr27
.LBB24_257:                             ;   in Loop: Header=BB24_9 Depth=1
	s_clause 0x2
	scratch_load_b64 v[68:69], off, off offset:272
	scratch_load_b32 v220, off, off offset:308
	scratch_load_b32 v193, off, off offset:280
	s_wait_alu 0xfffe
	s_and_not1_b32 vcc_lo, exec_lo, s3
	s_wait_loadcnt 0x2
	v_mov_b32_e32 v229, v68
	s_wait_alu 0xfffe
	s_cbranch_vccnz .LBB24_259
; %bb.258:                              ;   in Loop: Header=BB24_9 Depth=1
	v_dual_mov_b32 v27, v3 :: v_dual_mov_b32 v26, v2
	v_dual_mov_b32 v39, v11 :: v_dual_mov_b32 v38, v10
	;; [unrolled: 1-line block ×17, first 2 shown]
.LBB24_259:                             ;   in Loop: Header=BB24_9 Depth=1
	s_and_saveexec_b32 s3, s2
	s_cbranch_execz .LBB24_261
; %bb.260:                              ;   in Loop: Header=BB24_9 Depth=1
	scratch_load_b32 v0, off, off offset:624 ; 4-byte Folded Reload
	s_wait_loadcnt 0x0
	ds_store_2addr_b32 v0, v50, v51 offset0:64 offset1:65
.LBB24_261:                             ;   in Loop: Header=BB24_9 Depth=1
	s_wait_alu 0xfffe
	s_or_b32 exec_lo, exec_lo, s3
	v_perm_b32 v0, v44, v66, 0x5040100
	v_perm_b32 v1, v44, v66, 0x7060302
	v_add_nc_u32_e32 v8, v123, v124
	v_perm_b32 v2, v45, v65, 0x5040100
	v_perm_b32 v3, v45, v65, 0x7060302
	v_perm_b32 v4, v46, v64, 0x5040100
	v_perm_b32 v5, v46, v64, 0x7060302
	v_perm_b32 v6, v47, v63, 0x5040100
	v_perm_b32 v7, v47, v63, 0x7060302
	v_perm_b32 v9, v40, v62, 0x5040100
	v_perm_b32 v10, v40, v62, 0x7060302
	s_wait_loadcnt_dscnt 0x0
	s_barrier_signal -1
	s_barrier_wait -1
	global_inv scope:SCOPE_SE
	v_perm_b32 v11, v41, v60, 0x5040100
	v_perm_b32 v12, v41, v60, 0x7060302
	;; [unrolled: 1-line block ×6, first 2 shown]
	ds_store_2addr_b32 v8, v0, v1 offset1:1
	ds_store_2addr_b32 v8, v2, v3 offset0:2 offset1:3
	ds_store_2addr_b32 v8, v4, v5 offset0:4 offset1:5
	;; [unrolled: 1-line block ×7, first 2 shown]
	v_perm_b32 v0, v36, v61, 0x5040100
	v_perm_b32 v1, v36, v61, 0x7060302
	v_perm_b32 v2, v37, v59, 0x5040100
	v_perm_b32 v3, v37, v59, 0x7060302
	v_perm_b32 v4, v38, v57, 0x5040100
	v_perm_b32 v5, v38, v57, 0x7060302
	v_perm_b32 v6, v39, v56, 0x5040100
	v_perm_b32 v7, v39, v56, 0x7060302
	v_perm_b32 v9, v24, v55, 0x5040100
	v_perm_b32 v10, v24, v55, 0x7060302
	v_perm_b32 v11, v25, v54, 0x5040100
	v_perm_b32 v12, v25, v54, 0x7060302
	v_perm_b32 v13, v26, v53, 0x5040100
	v_perm_b32 v14, v26, v53, 0x7060302
	v_perm_b32 v15, v27, v52, 0x5040100
	v_perm_b32 v16, v27, v52, 0x7060302
	ds_store_2addr_b32 v8, v0, v1 offset0:32 offset1:33
	ds_store_2addr_b32 v8, v2, v3 offset0:34 offset1:35
	ds_store_2addr_b32 v8, v4, v5 offset0:36 offset1:37
	ds_store_2addr_b32 v8, v6, v7 offset0:38 offset1:39
	ds_store_2addr_b32 v8, v9, v10 offset0:48 offset1:49
	ds_store_2addr_b32 v8, v11, v12 offset0:50 offset1:51
	ds_store_2addr_b32 v8, v13, v14 offset0:52 offset1:53
	ds_store_2addr_b32 v8, v15, v16 offset0:54 offset1:55
	v_mov_b32_e32 v0, 50
	s_wait_loadcnt_dscnt 0x0
	s_barrier_signal -1
	s_barrier_wait -1
	global_inv scope:SCOPE_SE
	s_and_saveexec_b32 s33, s50
	s_cbranch_execz .LBB24_263
; %bb.262:                              ;   in Loop: Header=BB24_9 Depth=1
	scratch_load_b32 v2, off, off offset:620 ; 4-byte Folded Reload
	ds_load_2addr_b32 v[0:1], v148 offset1:32
	s_wait_dscnt 0x0
	v_lshrrev_b32_e32 v3, 16, v1
	v_cvt_f32_f16_e32 v1, v1
	s_delay_alu instid0(VALU_DEP_2) | instskip(NEXT) | instid1(VALU_DEP_2)
	v_cvt_f32_f16_e32 v3, v3
	v_add_f32_e32 v6, 0, v1
	s_wait_loadcnt 0x0
	ds_load_b32 v7, v2 offset:260
	v_cvt_f32_f16_e32 v2, v0
	v_lshrrev_b32_e32 v0, 16, v0
	s_delay_alu instid0(VALU_DEP_1) | instskip(NEXT) | instid1(VALU_DEP_1)
	v_cvt_f32_f16_e32 v0, v0
	v_dual_add_f32 v2, 0, v2 :: v_dual_add_f32 v5, 0, v0
	v_mad_co_u64_u32 v[0:1], null, v139, s25, v[113:114]
	s_wait_dscnt 0x0
	s_delay_alu instid0(VALU_DEP_2) | instskip(NEXT) | instid1(VALU_DEP_3)
	v_div_scale_f32 v4, null, v7, v7, v2
	v_div_scale_f32 v10, null, v7, v7, v5
	v_div_scale_f32 v15, vcc_lo, v2, v7, v2
	s_delay_alu instid0(VALU_DEP_3) | instskip(NEXT) | instid1(VALU_DEP_2)
	v_rcp_f32_e32 v9, v4
	v_rcp_f32_e32 v13, v10
	v_div_scale_f32 v16, s3, v6, v7, v6
	v_div_scale_f32 v17, s4, v5, v7, v5
	v_lshl_add_u32 v0, v0, 6, v229
	s_delay_alu instid0(TRANS32_DEP_2) | instskip(SKIP_2) | instid1(VALU_DEP_3)
	v_fma_f32 v1, -v4, v9, 1.0
	v_add_f32_e32 v8, 0, v3
	v_div_scale_f32 v3, null, v7, v7, v6
	v_fmac_f32_e32 v9, v1, v9
	s_delay_alu instid0(VALU_DEP_3) | instskip(NEXT) | instid1(VALU_DEP_3)
	v_div_scale_f32 v11, null, v7, v7, v8
	v_rcp_f32_e32 v12, v3
	v_fma_f32 v1, -v10, v13, 1.0
	v_div_scale_f32 v20, s5, v8, v7, v8
	s_delay_alu instid0(VALU_DEP_3) | instskip(NEXT) | instid1(VALU_DEP_2)
	v_rcp_f32_e32 v14, v11
	v_fmac_f32_e32 v13, v1, v13
	s_delay_alu instid0(TRANS32_DEP_2) | instskip(NEXT) | instid1(VALU_DEP_2)
	v_fma_f32 v18, -v3, v12, 1.0
	v_mul_f32_e32 v21, v17, v13
	s_delay_alu instid0(TRANS32_DEP_1) | instskip(NEXT) | instid1(VALU_DEP_3)
	v_fma_f32 v19, -v11, v14, 1.0
	v_fmac_f32_e32 v12, v18, v12
	v_mul_f32_e32 v18, v15, v9
	s_delay_alu instid0(VALU_DEP_4) | instskip(NEXT) | instid1(VALU_DEP_3)
	v_fma_f32 v24, -v10, v21, v17
	v_dual_fmac_f32 v14, v19, v14 :: v_dual_mul_f32 v19, v16, v12
	s_delay_alu instid0(VALU_DEP_3) | instskip(NEXT) | instid1(VALU_DEP_2)
	v_fma_f32 v1, -v4, v18, v15
	v_fma_f32 v23, -v3, v19, v16
	s_delay_alu instid0(VALU_DEP_3) | instskip(NEXT) | instid1(VALU_DEP_3)
	v_mul_f32_e32 v22, v20, v14
	v_fmac_f32_e32 v18, v1, v9
	v_ashrrev_i32_e32 v1, 31, v0
	s_delay_alu instid0(VALU_DEP_4) | instskip(NEXT) | instid1(VALU_DEP_4)
	v_fmac_f32_e32 v19, v23, v12
	v_fma_f32 v25, -v11, v22, v20
	s_delay_alu instid0(VALU_DEP_4)
	v_fma_f32 v4, -v4, v18, v15
	v_fmac_f32_e32 v21, v24, v13
	v_lshlrev_b64_e32 v[0:1], 3, v[0:1]
	v_fma_f32 v3, -v3, v19, v16
	v_fmac_f32_e32 v22, v25, v14
	s_wait_alu 0xfffd
	v_div_fmas_f32 v4, v4, v9, v18
	v_fma_f32 v9, -v10, v21, v17
	s_mov_b32 vcc_lo, s4
	v_fma_f32 v10, -v11, v22, v20
	s_delay_alu instid0(VALU_DEP_3)
	v_div_fixup_f32 v2, v4, v7, v2
	s_wait_alu 0xfffe
	v_div_fmas_f32 v4, v9, v13, v21
	s_mov_b32 vcc_lo, s3
	s_wait_alu 0xfffe
	v_div_fmas_f32 v9, v3, v12, v19
	s_mov_b32 vcc_lo, s5
	v_div_fixup_f32 v3, v4, v7, v5
	s_wait_alu 0xfffe
	v_div_fmas_f32 v10, v10, v14, v22
	v_add_co_u32 v4, vcc_lo, s72, v0
	s_wait_alu 0xfffd
	v_add_co_ci_u32_e64 v5, null, s73, v1, vcc_lo
	v_mov_b32_e32 v0, 0
	v_div_fixup_f32 v6, v9, v7, v6
	v_div_fixup_f32 v7, v10, v7, v8
	s_clause 0x1
	global_store_b64 v[4:5], v[2:3], off
	global_store_b64 v[4:5], v[6:7], off offset:256
.LBB24_263:                             ;   in Loop: Header=BB24_9 Depth=1
	s_or_b32 exec_lo, exec_lo, s33
	s_mov_b32 s3, -1
	s_mov_b32 s4, exec_lo
	v_cmpx_gt_i32_e32 50, v0
; %bb.264:                              ;   in Loop: Header=BB24_9 Depth=1
	v_cmp_eq_u32_e32 vcc_lo, 0, v0
	s_or_not1_b32 s3, vcc_lo, exec_lo
; %bb.265:                              ;   in Loop: Header=BB24_9 Depth=1
	s_wait_alu 0xfffe
	s_or_b32 exec_lo, exec_lo, s4
                                        ; implicit-def: $vgpr1
                                        ; implicit-def: $vgpr2
	s_and_saveexec_b32 s33, s3
	s_cbranch_execz .LBB24_353
; %bb.266:                              ;   in Loop: Header=BB24_9 Depth=1
	v_mov_b32_e32 v0, 50
	s_and_saveexec_b32 s50, s30
	s_cbranch_execz .LBB24_268
; %bb.267:                              ;   in Loop: Header=BB24_9 Depth=1
	s_clause 0x1
	scratch_load_b32 v0, off, off offset:284
	scratch_load_b32 v2, off, off offset:764
	s_wait_loadcnt 0x1
	ds_load_2addr_b32 v[0:1], v0 offset1:32
	s_wait_loadcnt 0x0
	ds_load_b32 v7, v2 offset:260
	s_wait_dscnt 0x1
	v_cvt_f32_f16_e32 v2, v0
	v_lshrrev_b32_e32 v0, 16, v0
	v_lshrrev_b32_e32 v3, 16, v1
	v_cvt_f32_f16_e32 v1, v1
	s_delay_alu instid0(VALU_DEP_3) | instskip(SKIP_1) | instid1(VALU_DEP_4)
	v_cvt_f32_f16_e32 v0, v0
	v_add_f32_e32 v2, 0, v2
	v_cvt_f32_f16_e32 v3, v3
	s_delay_alu instid0(VALU_DEP_3) | instskip(SKIP_1) | instid1(VALU_DEP_3)
	v_dual_add_f32 v6, 0, v1 :: v_dual_add_f32 v5, 0, v0
	s_wait_dscnt 0x0
	v_div_scale_f32 v4, null, v7, v7, v2
	v_mad_co_u64_u32 v[0:1], null, v138, s25, v[113:114]
	s_delay_alu instid0(VALU_DEP_3) | instskip(NEXT) | instid1(VALU_DEP_3)
	v_div_scale_f32 v10, null, v7, v7, v5
	v_rcp_f32_e32 v9, v4
	v_div_scale_f32 v15, vcc_lo, v2, v7, v2
	s_delay_alu instid0(VALU_DEP_2) | instskip(SKIP_3) | instid1(TRANS32_DEP_2)
	v_rcp_f32_e32 v13, v10
	v_div_scale_f32 v16, s3, v6, v7, v6
	v_div_scale_f32 v17, s4, v5, v7, v5
	v_lshl_add_u32 v0, v0, 6, v229
	v_fma_f32 v1, -v4, v9, 1.0
	v_add_f32_e32 v8, 0, v3
	v_div_scale_f32 v3, null, v7, v7, v6
	s_delay_alu instid0(VALU_DEP_3) | instskip(NEXT) | instid1(VALU_DEP_3)
	v_fmac_f32_e32 v9, v1, v9
	v_div_scale_f32 v11, null, v7, v7, v8
	s_delay_alu instid0(VALU_DEP_3) | instskip(SKIP_2) | instid1(VALU_DEP_3)
	v_rcp_f32_e32 v12, v3
	v_fma_f32 v1, -v10, v13, 1.0
	v_div_scale_f32 v20, s5, v8, v7, v8
	v_rcp_f32_e32 v14, v11
	s_delay_alu instid0(VALU_DEP_2) | instskip(NEXT) | instid1(TRANS32_DEP_2)
	v_fmac_f32_e32 v13, v1, v13
	v_fma_f32 v18, -v3, v12, 1.0
	s_delay_alu instid0(VALU_DEP_2) | instskip(NEXT) | instid1(TRANS32_DEP_1)
	v_mul_f32_e32 v21, v17, v13
	v_fma_f32 v19, -v11, v14, 1.0
	s_delay_alu instid0(VALU_DEP_3) | instskip(SKIP_1) | instid1(VALU_DEP_4)
	v_fmac_f32_e32 v12, v18, v12
	v_mul_f32_e32 v18, v15, v9
	v_fma_f32 v24, -v10, v21, v17
	s_delay_alu instid0(VALU_DEP_3) | instskip(NEXT) | instid1(VALU_DEP_3)
	v_dual_fmac_f32 v14, v19, v14 :: v_dual_mul_f32 v19, v16, v12
	v_fma_f32 v1, -v4, v18, v15
	s_delay_alu instid0(VALU_DEP_2) | instskip(NEXT) | instid1(VALU_DEP_3)
	v_fma_f32 v23, -v3, v19, v16
	v_mul_f32_e32 v22, v20, v14
	s_delay_alu instid0(VALU_DEP_3) | instskip(SKIP_1) | instid1(VALU_DEP_4)
	v_fmac_f32_e32 v18, v1, v9
	v_ashrrev_i32_e32 v1, 31, v0
	v_fmac_f32_e32 v19, v23, v12
	s_delay_alu instid0(VALU_DEP_4) | instskip(NEXT) | instid1(VALU_DEP_4)
	v_fma_f32 v25, -v11, v22, v20
	v_fma_f32 v4, -v4, v18, v15
	v_fmac_f32_e32 v21, v24, v13
	v_lshlrev_b64_e32 v[0:1], 3, v[0:1]
	v_fma_f32 v3, -v3, v19, v16
	v_fmac_f32_e32 v22, v25, v14
	s_wait_alu 0xfffd
	v_div_fmas_f32 v4, v4, v9, v18
	v_fma_f32 v9, -v10, v21, v17
	s_mov_b32 vcc_lo, s4
	v_fma_f32 v10, -v11, v22, v20
	s_delay_alu instid0(VALU_DEP_3)
	v_div_fixup_f32 v2, v4, v7, v2
	s_wait_alu 0xfffe
	v_div_fmas_f32 v4, v9, v13, v21
	s_mov_b32 vcc_lo, s3
	s_wait_alu 0xfffe
	v_div_fmas_f32 v9, v3, v12, v19
	s_mov_b32 vcc_lo, s5
	v_div_fixup_f32 v3, v4, v7, v5
	s_wait_alu 0xfffe
	v_div_fmas_f32 v10, v10, v14, v22
	v_add_co_u32 v4, vcc_lo, s72, v0
	s_wait_alu 0xfffd
	v_add_co_ci_u32_e64 v5, null, s73, v1, vcc_lo
	v_mov_b32_e32 v0, 0
	v_div_fixup_f32 v6, v9, v7, v6
	v_div_fixup_f32 v7, v10, v7, v8
	s_clause 0x1
	global_store_b64 v[4:5], v[2:3], off
	global_store_b64 v[4:5], v[6:7], off offset:256
.LBB24_268:                             ;   in Loop: Header=BB24_9 Depth=1
	s_wait_alu 0xfffe
	s_or_b32 exec_lo, exec_lo, s50
	s_mov_b32 s4, -1
	s_mov_b32 s3, exec_lo
	v_cmpx_gt_i32_e32 50, v0
; %bb.269:                              ;   in Loop: Header=BB24_9 Depth=1
	v_cmp_eq_u32_e32 vcc_lo, 0, v0
	s_or_not1_b32 s4, vcc_lo, exec_lo
; %bb.270:                              ;   in Loop: Header=BB24_9 Depth=1
	s_wait_alu 0xfffe
	s_or_b32 exec_lo, exec_lo, s3
	s_mov_b32 s3, s39
                                        ; implicit-def: $vgpr1
                                        ; implicit-def: $vgpr2
	s_and_saveexec_b32 s30, s4
	s_cbranch_execz .LBB24_352
; %bb.271:                              ;   in Loop: Header=BB24_9 Depth=1
	v_mov_b32_e32 v0, 50
	s_and_saveexec_b32 s50, vcc_hi
	s_cbranch_execz .LBB24_273
; %bb.272:                              ;   in Loop: Header=BB24_9 Depth=1
	s_clause 0x1
	scratch_load_b32 v0, off, off offset:292
	scratch_load_b32 v2, off, off offset:768
	s_wait_loadcnt 0x1
	ds_load_2addr_b32 v[0:1], v0 offset1:32
	s_wait_loadcnt 0x0
	ds_load_b32 v7, v2 offset:260
	s_wait_dscnt 0x1
	v_cvt_f32_f16_e32 v2, v0
	v_lshrrev_b32_e32 v0, 16, v0
	v_lshrrev_b32_e32 v3, 16, v1
	v_cvt_f32_f16_e32 v1, v1
	s_delay_alu instid0(VALU_DEP_3) | instskip(SKIP_1) | instid1(VALU_DEP_4)
	v_cvt_f32_f16_e32 v0, v0
	v_add_f32_e32 v2, 0, v2
	v_cvt_f32_f16_e32 v3, v3
	s_delay_alu instid0(VALU_DEP_3) | instskip(SKIP_1) | instid1(VALU_DEP_3)
	v_dual_add_f32 v6, 0, v1 :: v_dual_add_f32 v5, 0, v0
	s_wait_dscnt 0x0
	v_div_scale_f32 v4, null, v7, v7, v2
	v_mad_co_u64_u32 v[0:1], null, v137, s25, v[113:114]
	s_delay_alu instid0(VALU_DEP_3) | instskip(NEXT) | instid1(VALU_DEP_3)
	v_div_scale_f32 v10, null, v7, v7, v5
	v_rcp_f32_e32 v9, v4
	v_div_scale_f32 v15, vcc_lo, v2, v7, v2
	s_delay_alu instid0(VALU_DEP_2) | instskip(SKIP_3) | instid1(TRANS32_DEP_2)
	v_rcp_f32_e32 v13, v10
	v_div_scale_f32 v16, s3, v6, v7, v6
	v_div_scale_f32 v17, s4, v5, v7, v5
	v_lshl_add_u32 v0, v0, 6, v229
	v_fma_f32 v1, -v4, v9, 1.0
	v_add_f32_e32 v8, 0, v3
	v_div_scale_f32 v3, null, v7, v7, v6
	s_delay_alu instid0(VALU_DEP_3) | instskip(NEXT) | instid1(VALU_DEP_3)
	v_fmac_f32_e32 v9, v1, v9
	v_div_scale_f32 v11, null, v7, v7, v8
	s_delay_alu instid0(VALU_DEP_3) | instskip(SKIP_2) | instid1(VALU_DEP_3)
	v_rcp_f32_e32 v12, v3
	v_fma_f32 v1, -v10, v13, 1.0
	v_div_scale_f32 v20, s5, v8, v7, v8
	v_rcp_f32_e32 v14, v11
	s_delay_alu instid0(VALU_DEP_2) | instskip(NEXT) | instid1(TRANS32_DEP_2)
	v_fmac_f32_e32 v13, v1, v13
	v_fma_f32 v18, -v3, v12, 1.0
	s_delay_alu instid0(VALU_DEP_2) | instskip(NEXT) | instid1(TRANS32_DEP_1)
	v_mul_f32_e32 v21, v17, v13
	v_fma_f32 v19, -v11, v14, 1.0
	s_delay_alu instid0(VALU_DEP_3) | instskip(SKIP_1) | instid1(VALU_DEP_4)
	v_fmac_f32_e32 v12, v18, v12
	v_mul_f32_e32 v18, v15, v9
	v_fma_f32 v24, -v10, v21, v17
	s_delay_alu instid0(VALU_DEP_3) | instskip(NEXT) | instid1(VALU_DEP_3)
	v_dual_fmac_f32 v14, v19, v14 :: v_dual_mul_f32 v19, v16, v12
	v_fma_f32 v1, -v4, v18, v15
	s_delay_alu instid0(VALU_DEP_2) | instskip(NEXT) | instid1(VALU_DEP_3)
	v_fma_f32 v23, -v3, v19, v16
	v_mul_f32_e32 v22, v20, v14
	s_delay_alu instid0(VALU_DEP_3) | instskip(SKIP_1) | instid1(VALU_DEP_4)
	v_fmac_f32_e32 v18, v1, v9
	v_ashrrev_i32_e32 v1, 31, v0
	v_fmac_f32_e32 v19, v23, v12
	s_delay_alu instid0(VALU_DEP_4) | instskip(NEXT) | instid1(VALU_DEP_4)
	v_fma_f32 v25, -v11, v22, v20
	v_fma_f32 v4, -v4, v18, v15
	v_fmac_f32_e32 v21, v24, v13
	v_lshlrev_b64_e32 v[0:1], 3, v[0:1]
	v_fma_f32 v3, -v3, v19, v16
	v_fmac_f32_e32 v22, v25, v14
	s_wait_alu 0xfffd
	v_div_fmas_f32 v4, v4, v9, v18
	v_fma_f32 v9, -v10, v21, v17
	s_mov_b32 vcc_lo, s4
	v_fma_f32 v10, -v11, v22, v20
	s_delay_alu instid0(VALU_DEP_3)
	v_div_fixup_f32 v2, v4, v7, v2
	s_wait_alu 0xfffe
	v_div_fmas_f32 v4, v9, v13, v21
	s_mov_b32 vcc_lo, s3
	s_wait_alu 0xfffe
	v_div_fmas_f32 v9, v3, v12, v19
	s_mov_b32 vcc_lo, s5
	v_div_fixup_f32 v3, v4, v7, v5
	s_wait_alu 0xfffe
	v_div_fmas_f32 v10, v10, v14, v22
	v_add_co_u32 v4, vcc_lo, s72, v0
	s_wait_alu 0xfffd
	v_add_co_ci_u32_e64 v5, null, s73, v1, vcc_lo
	v_mov_b32_e32 v0, 0
	v_div_fixup_f32 v6, v9, v7, v6
	v_div_fixup_f32 v7, v10, v7, v8
	s_clause 0x1
	global_store_b64 v[4:5], v[2:3], off
	global_store_b64 v[4:5], v[6:7], off offset:256
.LBB24_273:                             ;   in Loop: Header=BB24_9 Depth=1
	s_wait_alu 0xfffe
	s_or_b32 exec_lo, exec_lo, s50
	s_mov_b32 s4, -1
	s_mov_b32 s3, exec_lo
	v_cmpx_gt_i32_e32 50, v0
; %bb.274:                              ;   in Loop: Header=BB24_9 Depth=1
	v_cmp_eq_u32_e32 vcc_lo, 0, v0
	s_or_not1_b32 s4, vcc_lo, exec_lo
; %bb.275:                              ;   in Loop: Header=BB24_9 Depth=1
	s_wait_alu 0xfffe
	s_or_b32 exec_lo, exec_lo, s3
	s_mov_b32 s3, s39
                                        ; implicit-def: $vgpr1
                                        ; implicit-def: $vgpr2
	s_and_saveexec_b32 s50, s4
	s_cbranch_execz .LBB24_351
; %bb.276:                              ;   in Loop: Header=BB24_9 Depth=1
	v_mov_b32_e32 v0, 50
	s_and_saveexec_b32 s56, s43
	s_cbranch_execz .LBB24_278
; %bb.277:                              ;   in Loop: Header=BB24_9 Depth=1
	s_clause 0x1
	scratch_load_b32 v0, off, off offset:300
	scratch_load_b32 v2, off, off offset:780
	s_wait_loadcnt 0x1
	ds_load_2addr_b32 v[0:1], v0 offset1:32
	s_wait_loadcnt 0x0
	ds_load_b32 v7, v2 offset:260
	s_wait_dscnt 0x1
	v_cvt_f32_f16_e32 v2, v0
	v_lshrrev_b32_e32 v0, 16, v0
	v_lshrrev_b32_e32 v3, 16, v1
	v_cvt_f32_f16_e32 v1, v1
	s_delay_alu instid0(VALU_DEP_3) | instskip(SKIP_1) | instid1(VALU_DEP_4)
	v_cvt_f32_f16_e32 v0, v0
	v_add_f32_e32 v2, 0, v2
	v_cvt_f32_f16_e32 v3, v3
	s_delay_alu instid0(VALU_DEP_3) | instskip(SKIP_1) | instid1(VALU_DEP_3)
	v_dual_add_f32 v6, 0, v1 :: v_dual_add_f32 v5, 0, v0
	s_wait_dscnt 0x0
	v_div_scale_f32 v4, null, v7, v7, v2
	v_mad_co_u64_u32 v[0:1], null, v136, s25, v[113:114]
	s_delay_alu instid0(VALU_DEP_3) | instskip(NEXT) | instid1(VALU_DEP_3)
	v_div_scale_f32 v10, null, v7, v7, v5
	v_rcp_f32_e32 v9, v4
	v_div_scale_f32 v15, vcc_lo, v2, v7, v2
	s_delay_alu instid0(VALU_DEP_2) | instskip(SKIP_3) | instid1(TRANS32_DEP_2)
	v_rcp_f32_e32 v13, v10
	v_div_scale_f32 v16, s3, v6, v7, v6
	v_div_scale_f32 v17, s4, v5, v7, v5
	v_lshl_add_u32 v0, v0, 6, v229
	v_fma_f32 v1, -v4, v9, 1.0
	v_add_f32_e32 v8, 0, v3
	v_div_scale_f32 v3, null, v7, v7, v6
	s_delay_alu instid0(VALU_DEP_3) | instskip(NEXT) | instid1(VALU_DEP_3)
	v_fmac_f32_e32 v9, v1, v9
	v_div_scale_f32 v11, null, v7, v7, v8
	s_delay_alu instid0(VALU_DEP_3) | instskip(SKIP_2) | instid1(VALU_DEP_3)
	v_rcp_f32_e32 v12, v3
	v_fma_f32 v1, -v10, v13, 1.0
	v_div_scale_f32 v20, s5, v8, v7, v8
	v_rcp_f32_e32 v14, v11
	s_delay_alu instid0(VALU_DEP_2) | instskip(NEXT) | instid1(TRANS32_DEP_2)
	v_fmac_f32_e32 v13, v1, v13
	v_fma_f32 v18, -v3, v12, 1.0
	s_delay_alu instid0(VALU_DEP_2) | instskip(NEXT) | instid1(TRANS32_DEP_1)
	v_mul_f32_e32 v21, v17, v13
	v_fma_f32 v19, -v11, v14, 1.0
	s_delay_alu instid0(VALU_DEP_3) | instskip(SKIP_1) | instid1(VALU_DEP_4)
	v_fmac_f32_e32 v12, v18, v12
	v_mul_f32_e32 v18, v15, v9
	v_fma_f32 v24, -v10, v21, v17
	s_delay_alu instid0(VALU_DEP_3) | instskip(NEXT) | instid1(VALU_DEP_3)
	v_dual_fmac_f32 v14, v19, v14 :: v_dual_mul_f32 v19, v16, v12
	v_fma_f32 v1, -v4, v18, v15
	s_delay_alu instid0(VALU_DEP_2) | instskip(NEXT) | instid1(VALU_DEP_3)
	v_fma_f32 v23, -v3, v19, v16
	v_mul_f32_e32 v22, v20, v14
	s_delay_alu instid0(VALU_DEP_3) | instskip(SKIP_1) | instid1(VALU_DEP_4)
	v_fmac_f32_e32 v18, v1, v9
	v_ashrrev_i32_e32 v1, 31, v0
	v_fmac_f32_e32 v19, v23, v12
	s_delay_alu instid0(VALU_DEP_4) | instskip(NEXT) | instid1(VALU_DEP_4)
	v_fma_f32 v25, -v11, v22, v20
	v_fma_f32 v4, -v4, v18, v15
	v_fmac_f32_e32 v21, v24, v13
	v_lshlrev_b64_e32 v[0:1], 3, v[0:1]
	v_fma_f32 v3, -v3, v19, v16
	v_fmac_f32_e32 v22, v25, v14
	s_wait_alu 0xfffd
	v_div_fmas_f32 v4, v4, v9, v18
	v_fma_f32 v9, -v10, v21, v17
	s_mov_b32 vcc_lo, s4
	v_fma_f32 v10, -v11, v22, v20
	s_delay_alu instid0(VALU_DEP_3)
	v_div_fixup_f32 v2, v4, v7, v2
	s_wait_alu 0xfffe
	v_div_fmas_f32 v4, v9, v13, v21
	s_mov_b32 vcc_lo, s3
	s_wait_alu 0xfffe
	v_div_fmas_f32 v9, v3, v12, v19
	s_mov_b32 vcc_lo, s5
	v_div_fixup_f32 v3, v4, v7, v5
	s_wait_alu 0xfffe
	v_div_fmas_f32 v10, v10, v14, v22
	v_add_co_u32 v4, vcc_lo, s72, v0
	s_wait_alu 0xfffd
	v_add_co_ci_u32_e64 v5, null, s73, v1, vcc_lo
	v_mov_b32_e32 v0, 0
	v_div_fixup_f32 v6, v9, v7, v6
	v_div_fixup_f32 v7, v10, v7, v8
	s_clause 0x1
	global_store_b64 v[4:5], v[2:3], off
	global_store_b64 v[4:5], v[6:7], off offset:256
.LBB24_278:                             ;   in Loop: Header=BB24_9 Depth=1
	s_or_b32 exec_lo, exec_lo, s56
	s_mov_b32 s4, -1
	s_mov_b32 s3, exec_lo
	v_cmpx_gt_i32_e32 50, v0
; %bb.279:                              ;   in Loop: Header=BB24_9 Depth=1
	v_cmp_eq_u32_e32 vcc_lo, 0, v0
	s_or_not1_b32 s4, vcc_lo, exec_lo
; %bb.280:                              ;   in Loop: Header=BB24_9 Depth=1
	s_wait_alu 0xfffe
	s_or_b32 exec_lo, exec_lo, s3
	s_mov_b32 s3, s39
                                        ; implicit-def: $vgpr1
                                        ; implicit-def: $vgpr2
	s_and_saveexec_b32 s43, s4
	s_cbranch_execz .LBB24_350
; %bb.281:                              ;   in Loop: Header=BB24_9 Depth=1
	v_mov_b32_e32 v0, 50
	s_and_saveexec_b32 s56, s42
	s_cbranch_execz .LBB24_283
; %bb.282:                              ;   in Loop: Header=BB24_9 Depth=1
	s_clause 0x1
	scratch_load_b32 v0, off, off offset:772
	scratch_load_b32 v2, off, off offset:788
	s_wait_loadcnt 0x1
	ds_load_2addr_b32 v[0:1], v0 offset1:32
	s_wait_loadcnt 0x0
	ds_load_b32 v7, v2 offset:260
	s_wait_dscnt 0x1
	v_cvt_f32_f16_e32 v2, v0
	v_lshrrev_b32_e32 v0, 16, v0
	v_lshrrev_b32_e32 v3, 16, v1
	v_cvt_f32_f16_e32 v1, v1
	s_delay_alu instid0(VALU_DEP_3) | instskip(SKIP_1) | instid1(VALU_DEP_4)
	v_cvt_f32_f16_e32 v0, v0
	v_add_f32_e32 v2, 0, v2
	v_cvt_f32_f16_e32 v3, v3
	s_delay_alu instid0(VALU_DEP_3) | instskip(SKIP_1) | instid1(VALU_DEP_3)
	v_dual_add_f32 v6, 0, v1 :: v_dual_add_f32 v5, 0, v0
	s_wait_dscnt 0x0
	v_div_scale_f32 v4, null, v7, v7, v2
	v_mad_co_u64_u32 v[0:1], null, v135, s25, v[113:114]
	s_delay_alu instid0(VALU_DEP_3) | instskip(NEXT) | instid1(VALU_DEP_3)
	v_div_scale_f32 v10, null, v7, v7, v5
	v_rcp_f32_e32 v9, v4
	v_div_scale_f32 v15, vcc_lo, v2, v7, v2
	s_delay_alu instid0(VALU_DEP_2) | instskip(SKIP_3) | instid1(TRANS32_DEP_2)
	v_rcp_f32_e32 v13, v10
	v_div_scale_f32 v16, s3, v6, v7, v6
	v_div_scale_f32 v17, s4, v5, v7, v5
	v_lshl_add_u32 v0, v0, 6, v229
	v_fma_f32 v1, -v4, v9, 1.0
	v_add_f32_e32 v8, 0, v3
	v_div_scale_f32 v3, null, v7, v7, v6
	s_delay_alu instid0(VALU_DEP_3) | instskip(NEXT) | instid1(VALU_DEP_3)
	v_fmac_f32_e32 v9, v1, v9
	v_div_scale_f32 v11, null, v7, v7, v8
	s_delay_alu instid0(VALU_DEP_3) | instskip(SKIP_2) | instid1(VALU_DEP_3)
	v_rcp_f32_e32 v12, v3
	v_fma_f32 v1, -v10, v13, 1.0
	v_div_scale_f32 v20, s5, v8, v7, v8
	v_rcp_f32_e32 v14, v11
	s_delay_alu instid0(VALU_DEP_2) | instskip(NEXT) | instid1(TRANS32_DEP_2)
	v_fmac_f32_e32 v13, v1, v13
	v_fma_f32 v18, -v3, v12, 1.0
	s_delay_alu instid0(VALU_DEP_2) | instskip(NEXT) | instid1(TRANS32_DEP_1)
	v_mul_f32_e32 v21, v17, v13
	v_fma_f32 v19, -v11, v14, 1.0
	s_delay_alu instid0(VALU_DEP_3) | instskip(SKIP_1) | instid1(VALU_DEP_4)
	v_fmac_f32_e32 v12, v18, v12
	v_mul_f32_e32 v18, v15, v9
	v_fma_f32 v24, -v10, v21, v17
	s_delay_alu instid0(VALU_DEP_3) | instskip(NEXT) | instid1(VALU_DEP_3)
	v_dual_fmac_f32 v14, v19, v14 :: v_dual_mul_f32 v19, v16, v12
	v_fma_f32 v1, -v4, v18, v15
	s_delay_alu instid0(VALU_DEP_2) | instskip(NEXT) | instid1(VALU_DEP_3)
	v_fma_f32 v23, -v3, v19, v16
	v_mul_f32_e32 v22, v20, v14
	s_delay_alu instid0(VALU_DEP_3) | instskip(SKIP_1) | instid1(VALU_DEP_4)
	v_fmac_f32_e32 v18, v1, v9
	v_ashrrev_i32_e32 v1, 31, v0
	v_fmac_f32_e32 v19, v23, v12
	s_delay_alu instid0(VALU_DEP_4) | instskip(NEXT) | instid1(VALU_DEP_4)
	v_fma_f32 v25, -v11, v22, v20
	v_fma_f32 v4, -v4, v18, v15
	v_fmac_f32_e32 v21, v24, v13
	v_lshlrev_b64_e32 v[0:1], 3, v[0:1]
	v_fma_f32 v3, -v3, v19, v16
	v_fmac_f32_e32 v22, v25, v14
	s_wait_alu 0xfffd
	v_div_fmas_f32 v4, v4, v9, v18
	v_fma_f32 v9, -v10, v21, v17
	s_mov_b32 vcc_lo, s4
	v_fma_f32 v10, -v11, v22, v20
	s_delay_alu instid0(VALU_DEP_3)
	v_div_fixup_f32 v2, v4, v7, v2
	s_wait_alu 0xfffe
	v_div_fmas_f32 v4, v9, v13, v21
	s_mov_b32 vcc_lo, s3
	s_wait_alu 0xfffe
	v_div_fmas_f32 v9, v3, v12, v19
	s_mov_b32 vcc_lo, s5
	v_div_fixup_f32 v3, v4, v7, v5
	s_wait_alu 0xfffe
	v_div_fmas_f32 v10, v10, v14, v22
	v_add_co_u32 v4, vcc_lo, s72, v0
	s_wait_alu 0xfffd
	v_add_co_ci_u32_e64 v5, null, s73, v1, vcc_lo
	v_mov_b32_e32 v0, 0
	v_div_fixup_f32 v6, v9, v7, v6
	v_div_fixup_f32 v7, v10, v7, v8
	s_clause 0x1
	global_store_b64 v[4:5], v[2:3], off
	global_store_b64 v[4:5], v[6:7], off offset:256
.LBB24_283:                             ;   in Loop: Header=BB24_9 Depth=1
	s_or_b32 exec_lo, exec_lo, s56
	s_mov_b32 s4, -1
	s_mov_b32 s3, exec_lo
	v_cmpx_gt_i32_e32 50, v0
; %bb.284:                              ;   in Loop: Header=BB24_9 Depth=1
	v_cmp_eq_u32_e32 vcc_lo, 0, v0
	s_or_not1_b32 s4, vcc_lo, exec_lo
; %bb.285:                              ;   in Loop: Header=BB24_9 Depth=1
	s_wait_alu 0xfffe
	s_or_b32 exec_lo, exec_lo, s3
	s_mov_b32 s3, s39
                                        ; implicit-def: $vgpr1
                                        ; implicit-def: $vgpr2
	s_and_saveexec_b32 s42, s4
	s_cbranch_execz .LBB24_349
; %bb.286:                              ;   in Loop: Header=BB24_9 Depth=1
	v_mov_b32_e32 v0, 50
	s_and_saveexec_b32 s56, s41
	s_cbranch_execz .LBB24_288
; %bb.287:                              ;   in Loop: Header=BB24_9 Depth=1
	s_clause 0x1
	scratch_load_b32 v0, off, off offset:784
	scratch_load_b32 v2, off, off offset:796
	s_wait_loadcnt 0x1
	ds_load_2addr_b32 v[0:1], v0 offset1:32
	s_wait_loadcnt 0x0
	ds_load_b32 v7, v2 offset:260
	s_wait_dscnt 0x1
	v_cvt_f32_f16_e32 v2, v0
	v_lshrrev_b32_e32 v0, 16, v0
	v_lshrrev_b32_e32 v3, 16, v1
	v_cvt_f32_f16_e32 v1, v1
	s_delay_alu instid0(VALU_DEP_3) | instskip(SKIP_1) | instid1(VALU_DEP_4)
	v_cvt_f32_f16_e32 v0, v0
	v_add_f32_e32 v2, 0, v2
	v_cvt_f32_f16_e32 v3, v3
	s_delay_alu instid0(VALU_DEP_3) | instskip(SKIP_1) | instid1(VALU_DEP_3)
	v_dual_add_f32 v6, 0, v1 :: v_dual_add_f32 v5, 0, v0
	s_wait_dscnt 0x0
	v_div_scale_f32 v4, null, v7, v7, v2
	v_mad_co_u64_u32 v[0:1], null, v134, s25, v[113:114]
	s_delay_alu instid0(VALU_DEP_3) | instskip(NEXT) | instid1(VALU_DEP_3)
	v_div_scale_f32 v10, null, v7, v7, v5
	v_rcp_f32_e32 v9, v4
	v_div_scale_f32 v15, vcc_lo, v2, v7, v2
	s_delay_alu instid0(VALU_DEP_2) | instskip(SKIP_3) | instid1(TRANS32_DEP_2)
	v_rcp_f32_e32 v13, v10
	v_div_scale_f32 v16, s3, v6, v7, v6
	v_div_scale_f32 v17, s4, v5, v7, v5
	v_lshl_add_u32 v0, v0, 6, v229
	v_fma_f32 v1, -v4, v9, 1.0
	v_add_f32_e32 v8, 0, v3
	v_div_scale_f32 v3, null, v7, v7, v6
	s_delay_alu instid0(VALU_DEP_3) | instskip(NEXT) | instid1(VALU_DEP_3)
	v_fmac_f32_e32 v9, v1, v9
	v_div_scale_f32 v11, null, v7, v7, v8
	s_delay_alu instid0(VALU_DEP_3) | instskip(SKIP_2) | instid1(VALU_DEP_3)
	v_rcp_f32_e32 v12, v3
	v_fma_f32 v1, -v10, v13, 1.0
	v_div_scale_f32 v20, s5, v8, v7, v8
	v_rcp_f32_e32 v14, v11
	s_delay_alu instid0(VALU_DEP_2) | instskip(NEXT) | instid1(TRANS32_DEP_2)
	v_fmac_f32_e32 v13, v1, v13
	v_fma_f32 v18, -v3, v12, 1.0
	s_delay_alu instid0(VALU_DEP_2) | instskip(NEXT) | instid1(TRANS32_DEP_1)
	v_mul_f32_e32 v21, v17, v13
	v_fma_f32 v19, -v11, v14, 1.0
	s_delay_alu instid0(VALU_DEP_3) | instskip(SKIP_1) | instid1(VALU_DEP_4)
	v_fmac_f32_e32 v12, v18, v12
	v_mul_f32_e32 v18, v15, v9
	v_fma_f32 v24, -v10, v21, v17
	s_delay_alu instid0(VALU_DEP_3) | instskip(NEXT) | instid1(VALU_DEP_3)
	v_dual_fmac_f32 v14, v19, v14 :: v_dual_mul_f32 v19, v16, v12
	v_fma_f32 v1, -v4, v18, v15
	s_delay_alu instid0(VALU_DEP_2) | instskip(NEXT) | instid1(VALU_DEP_3)
	v_fma_f32 v23, -v3, v19, v16
	v_mul_f32_e32 v22, v20, v14
	s_delay_alu instid0(VALU_DEP_3) | instskip(SKIP_1) | instid1(VALU_DEP_4)
	v_fmac_f32_e32 v18, v1, v9
	v_ashrrev_i32_e32 v1, 31, v0
	v_fmac_f32_e32 v19, v23, v12
	s_delay_alu instid0(VALU_DEP_4) | instskip(NEXT) | instid1(VALU_DEP_4)
	v_fma_f32 v25, -v11, v22, v20
	v_fma_f32 v4, -v4, v18, v15
	v_fmac_f32_e32 v21, v24, v13
	v_lshlrev_b64_e32 v[0:1], 3, v[0:1]
	v_fma_f32 v3, -v3, v19, v16
	v_fmac_f32_e32 v22, v25, v14
	s_wait_alu 0xfffd
	v_div_fmas_f32 v4, v4, v9, v18
	v_fma_f32 v9, -v10, v21, v17
	s_mov_b32 vcc_lo, s4
	v_fma_f32 v10, -v11, v22, v20
	s_delay_alu instid0(VALU_DEP_3)
	v_div_fixup_f32 v2, v4, v7, v2
	s_wait_alu 0xfffe
	v_div_fmas_f32 v4, v9, v13, v21
	s_mov_b32 vcc_lo, s3
	s_wait_alu 0xfffe
	v_div_fmas_f32 v9, v3, v12, v19
	s_mov_b32 vcc_lo, s5
	v_div_fixup_f32 v3, v4, v7, v5
	s_wait_alu 0xfffe
	v_div_fmas_f32 v10, v10, v14, v22
	v_add_co_u32 v4, vcc_lo, s72, v0
	s_wait_alu 0xfffd
	v_add_co_ci_u32_e64 v5, null, s73, v1, vcc_lo
	v_mov_b32_e32 v0, 0
	v_div_fixup_f32 v6, v9, v7, v6
	v_div_fixup_f32 v7, v10, v7, v8
	s_clause 0x1
	global_store_b64 v[4:5], v[2:3], off
	global_store_b64 v[4:5], v[6:7], off offset:256
.LBB24_288:                             ;   in Loop: Header=BB24_9 Depth=1
	s_or_b32 exec_lo, exec_lo, s56
	s_mov_b32 s4, -1
	s_mov_b32 s3, exec_lo
	v_cmpx_gt_i32_e32 50, v0
; %bb.289:                              ;   in Loop: Header=BB24_9 Depth=1
	v_cmp_eq_u32_e32 vcc_lo, 0, v0
	s_or_not1_b32 s4, vcc_lo, exec_lo
; %bb.290:                              ;   in Loop: Header=BB24_9 Depth=1
	s_wait_alu 0xfffe
	s_or_b32 exec_lo, exec_lo, s3
	s_mov_b32 s3, s39
                                        ; implicit-def: $vgpr1
                                        ; implicit-def: $vgpr2
	s_and_saveexec_b32 s41, s4
	s_cbranch_execz .LBB24_348
; %bb.291:                              ;   in Loop: Header=BB24_9 Depth=1
	v_mov_b32_e32 v0, 50
	s_and_saveexec_b32 s56, s40
	s_cbranch_execz .LBB24_293
; %bb.292:                              ;   in Loop: Header=BB24_9 Depth=1
	s_clause 0x1
	scratch_load_b32 v0, off, off offset:792
	scratch_load_b32 v2, off, off offset:804
	s_wait_loadcnt 0x1
	ds_load_2addr_b32 v[0:1], v0 offset1:32
	s_wait_loadcnt 0x0
	ds_load_b32 v7, v2 offset:260
	s_wait_dscnt 0x1
	v_cvt_f32_f16_e32 v2, v0
	v_lshrrev_b32_e32 v0, 16, v0
	v_lshrrev_b32_e32 v3, 16, v1
	v_cvt_f32_f16_e32 v1, v1
	s_delay_alu instid0(VALU_DEP_3) | instskip(SKIP_1) | instid1(VALU_DEP_4)
	v_cvt_f32_f16_e32 v0, v0
	v_add_f32_e32 v2, 0, v2
	v_cvt_f32_f16_e32 v3, v3
	s_delay_alu instid0(VALU_DEP_3) | instskip(SKIP_1) | instid1(VALU_DEP_3)
	v_dual_add_f32 v6, 0, v1 :: v_dual_add_f32 v5, 0, v0
	s_wait_dscnt 0x0
	v_div_scale_f32 v4, null, v7, v7, v2
	v_mad_co_u64_u32 v[0:1], null, v133, s25, v[113:114]
	s_delay_alu instid0(VALU_DEP_3) | instskip(NEXT) | instid1(VALU_DEP_3)
	v_div_scale_f32 v10, null, v7, v7, v5
	v_rcp_f32_e32 v9, v4
	v_div_scale_f32 v15, vcc_lo, v2, v7, v2
	s_delay_alu instid0(VALU_DEP_2) | instskip(SKIP_3) | instid1(TRANS32_DEP_2)
	v_rcp_f32_e32 v13, v10
	v_div_scale_f32 v16, s3, v6, v7, v6
	v_div_scale_f32 v17, s4, v5, v7, v5
	v_lshl_add_u32 v0, v0, 6, v229
	v_fma_f32 v1, -v4, v9, 1.0
	v_add_f32_e32 v8, 0, v3
	v_div_scale_f32 v3, null, v7, v7, v6
	s_delay_alu instid0(VALU_DEP_3) | instskip(NEXT) | instid1(VALU_DEP_3)
	v_fmac_f32_e32 v9, v1, v9
	v_div_scale_f32 v11, null, v7, v7, v8
	s_delay_alu instid0(VALU_DEP_3) | instskip(SKIP_2) | instid1(VALU_DEP_3)
	v_rcp_f32_e32 v12, v3
	v_fma_f32 v1, -v10, v13, 1.0
	v_div_scale_f32 v20, s5, v8, v7, v8
	v_rcp_f32_e32 v14, v11
	s_delay_alu instid0(VALU_DEP_2) | instskip(NEXT) | instid1(TRANS32_DEP_2)
	v_fmac_f32_e32 v13, v1, v13
	v_fma_f32 v18, -v3, v12, 1.0
	s_delay_alu instid0(VALU_DEP_2) | instskip(NEXT) | instid1(TRANS32_DEP_1)
	v_mul_f32_e32 v21, v17, v13
	v_fma_f32 v19, -v11, v14, 1.0
	s_delay_alu instid0(VALU_DEP_3) | instskip(SKIP_1) | instid1(VALU_DEP_4)
	v_fmac_f32_e32 v12, v18, v12
	v_mul_f32_e32 v18, v15, v9
	v_fma_f32 v24, -v10, v21, v17
	s_delay_alu instid0(VALU_DEP_3) | instskip(NEXT) | instid1(VALU_DEP_3)
	v_dual_fmac_f32 v14, v19, v14 :: v_dual_mul_f32 v19, v16, v12
	v_fma_f32 v1, -v4, v18, v15
	s_delay_alu instid0(VALU_DEP_2) | instskip(NEXT) | instid1(VALU_DEP_3)
	v_fma_f32 v23, -v3, v19, v16
	v_mul_f32_e32 v22, v20, v14
	s_delay_alu instid0(VALU_DEP_3) | instskip(SKIP_1) | instid1(VALU_DEP_4)
	v_fmac_f32_e32 v18, v1, v9
	v_ashrrev_i32_e32 v1, 31, v0
	v_fmac_f32_e32 v19, v23, v12
	s_delay_alu instid0(VALU_DEP_4) | instskip(NEXT) | instid1(VALU_DEP_4)
	v_fma_f32 v25, -v11, v22, v20
	v_fma_f32 v4, -v4, v18, v15
	v_fmac_f32_e32 v21, v24, v13
	v_lshlrev_b64_e32 v[0:1], 3, v[0:1]
	v_fma_f32 v3, -v3, v19, v16
	v_fmac_f32_e32 v22, v25, v14
	s_wait_alu 0xfffd
	v_div_fmas_f32 v4, v4, v9, v18
	v_fma_f32 v9, -v10, v21, v17
	s_mov_b32 vcc_lo, s4
	v_fma_f32 v10, -v11, v22, v20
	s_delay_alu instid0(VALU_DEP_3)
	v_div_fixup_f32 v2, v4, v7, v2
	s_wait_alu 0xfffe
	v_div_fmas_f32 v4, v9, v13, v21
	s_mov_b32 vcc_lo, s3
	s_wait_alu 0xfffe
	v_div_fmas_f32 v9, v3, v12, v19
	s_mov_b32 vcc_lo, s5
	v_div_fixup_f32 v3, v4, v7, v5
	s_wait_alu 0xfffe
	v_div_fmas_f32 v10, v10, v14, v22
	v_add_co_u32 v4, vcc_lo, s72, v0
	s_wait_alu 0xfffd
	v_add_co_ci_u32_e64 v5, null, s73, v1, vcc_lo
	v_mov_b32_e32 v0, 0
	v_div_fixup_f32 v6, v9, v7, v6
	v_div_fixup_f32 v7, v10, v7, v8
	s_clause 0x1
	global_store_b64 v[4:5], v[2:3], off
	global_store_b64 v[4:5], v[6:7], off offset:256
.LBB24_293:                             ;   in Loop: Header=BB24_9 Depth=1
	s_or_b32 exec_lo, exec_lo, s56
	s_mov_b32 s4, -1
	s_mov_b32 s3, exec_lo
	v_cmpx_gt_i32_e32 50, v0
; %bb.294:                              ;   in Loop: Header=BB24_9 Depth=1
	v_cmp_eq_u32_e32 vcc_lo, 0, v0
	s_or_not1_b32 s4, vcc_lo, exec_lo
; %bb.295:                              ;   in Loop: Header=BB24_9 Depth=1
	s_wait_alu 0xfffe
	s_or_b32 exec_lo, exec_lo, s3
	s_mov_b32 s3, s39
                                        ; implicit-def: $vgpr1
                                        ; implicit-def: $vgpr2
	s_and_saveexec_b32 s40, s4
	s_cbranch_execz .LBB24_347
; %bb.296:                              ;   in Loop: Header=BB24_9 Depth=1
	v_mov_b32_e32 v0, 50
	s_and_saveexec_b32 s56, s51
	s_cbranch_execz .LBB24_298
; %bb.297:                              ;   in Loop: Header=BB24_9 Depth=1
	s_clause 0x1
	scratch_load_b32 v0, off, off offset:800
	scratch_load_b32 v2, off, off offset:812
	s_wait_loadcnt 0x1
	ds_load_2addr_b32 v[0:1], v0 offset1:32
	s_wait_loadcnt 0x0
	ds_load_b32 v7, v2 offset:260
	s_wait_dscnt 0x1
	v_cvt_f32_f16_e32 v2, v0
	v_lshrrev_b32_e32 v0, 16, v0
	v_lshrrev_b32_e32 v3, 16, v1
	v_cvt_f32_f16_e32 v1, v1
	s_delay_alu instid0(VALU_DEP_3) | instskip(SKIP_1) | instid1(VALU_DEP_4)
	v_cvt_f32_f16_e32 v0, v0
	v_add_f32_e32 v2, 0, v2
	v_cvt_f32_f16_e32 v3, v3
	s_delay_alu instid0(VALU_DEP_3) | instskip(SKIP_1) | instid1(VALU_DEP_3)
	v_dual_add_f32 v6, 0, v1 :: v_dual_add_f32 v5, 0, v0
	s_wait_dscnt 0x0
	v_div_scale_f32 v4, null, v7, v7, v2
	v_mad_co_u64_u32 v[0:1], null, v131, s25, v[113:114]
	s_delay_alu instid0(VALU_DEP_3) | instskip(NEXT) | instid1(VALU_DEP_3)
	v_div_scale_f32 v10, null, v7, v7, v5
	v_rcp_f32_e32 v9, v4
	v_div_scale_f32 v15, vcc_lo, v2, v7, v2
	s_delay_alu instid0(VALU_DEP_2) | instskip(SKIP_3) | instid1(TRANS32_DEP_2)
	v_rcp_f32_e32 v13, v10
	v_div_scale_f32 v16, s3, v6, v7, v6
	v_div_scale_f32 v17, s4, v5, v7, v5
	v_lshl_add_u32 v0, v0, 6, v229
	v_fma_f32 v1, -v4, v9, 1.0
	v_add_f32_e32 v8, 0, v3
	v_div_scale_f32 v3, null, v7, v7, v6
	s_delay_alu instid0(VALU_DEP_3) | instskip(NEXT) | instid1(VALU_DEP_3)
	v_fmac_f32_e32 v9, v1, v9
	v_div_scale_f32 v11, null, v7, v7, v8
	s_delay_alu instid0(VALU_DEP_3) | instskip(SKIP_2) | instid1(VALU_DEP_3)
	v_rcp_f32_e32 v12, v3
	v_fma_f32 v1, -v10, v13, 1.0
	v_div_scale_f32 v20, s5, v8, v7, v8
	v_rcp_f32_e32 v14, v11
	s_delay_alu instid0(VALU_DEP_2) | instskip(NEXT) | instid1(TRANS32_DEP_2)
	v_fmac_f32_e32 v13, v1, v13
	v_fma_f32 v18, -v3, v12, 1.0
	s_delay_alu instid0(VALU_DEP_2) | instskip(NEXT) | instid1(TRANS32_DEP_1)
	v_mul_f32_e32 v21, v17, v13
	v_fma_f32 v19, -v11, v14, 1.0
	s_delay_alu instid0(VALU_DEP_3) | instskip(SKIP_1) | instid1(VALU_DEP_4)
	v_fmac_f32_e32 v12, v18, v12
	v_mul_f32_e32 v18, v15, v9
	v_fma_f32 v24, -v10, v21, v17
	s_delay_alu instid0(VALU_DEP_3) | instskip(NEXT) | instid1(VALU_DEP_3)
	v_dual_fmac_f32 v14, v19, v14 :: v_dual_mul_f32 v19, v16, v12
	v_fma_f32 v1, -v4, v18, v15
	s_delay_alu instid0(VALU_DEP_2) | instskip(NEXT) | instid1(VALU_DEP_3)
	v_fma_f32 v23, -v3, v19, v16
	v_mul_f32_e32 v22, v20, v14
	s_delay_alu instid0(VALU_DEP_3) | instskip(SKIP_1) | instid1(VALU_DEP_4)
	v_fmac_f32_e32 v18, v1, v9
	v_ashrrev_i32_e32 v1, 31, v0
	v_fmac_f32_e32 v19, v23, v12
	s_delay_alu instid0(VALU_DEP_4) | instskip(NEXT) | instid1(VALU_DEP_4)
	v_fma_f32 v25, -v11, v22, v20
	v_fma_f32 v4, -v4, v18, v15
	v_fmac_f32_e32 v21, v24, v13
	v_lshlrev_b64_e32 v[0:1], 3, v[0:1]
	v_fma_f32 v3, -v3, v19, v16
	v_fmac_f32_e32 v22, v25, v14
	s_wait_alu 0xfffd
	v_div_fmas_f32 v4, v4, v9, v18
	v_fma_f32 v9, -v10, v21, v17
	s_mov_b32 vcc_lo, s4
	v_fma_f32 v10, -v11, v22, v20
	s_delay_alu instid0(VALU_DEP_3)
	v_div_fixup_f32 v2, v4, v7, v2
	s_wait_alu 0xfffe
	v_div_fmas_f32 v4, v9, v13, v21
	s_mov_b32 vcc_lo, s3
	s_wait_alu 0xfffe
	v_div_fmas_f32 v9, v3, v12, v19
	s_mov_b32 vcc_lo, s5
	v_div_fixup_f32 v3, v4, v7, v5
	s_wait_alu 0xfffe
	v_div_fmas_f32 v10, v10, v14, v22
	v_add_co_u32 v4, vcc_lo, s72, v0
	s_wait_alu 0xfffd
	v_add_co_ci_u32_e64 v5, null, s73, v1, vcc_lo
	v_mov_b32_e32 v0, 0
	v_div_fixup_f32 v6, v9, v7, v6
	v_div_fixup_f32 v7, v10, v7, v8
	s_clause 0x1
	global_store_b64 v[4:5], v[2:3], off
	global_store_b64 v[4:5], v[6:7], off offset:256
.LBB24_298:                             ;   in Loop: Header=BB24_9 Depth=1
	s_or_b32 exec_lo, exec_lo, s56
	s_mov_b32 s4, -1
	s_mov_b32 s3, exec_lo
	v_cmpx_gt_i32_e32 50, v0
; %bb.299:                              ;   in Loop: Header=BB24_9 Depth=1
	v_cmp_eq_u32_e32 vcc_lo, 0, v0
	s_or_not1_b32 s4, vcc_lo, exec_lo
; %bb.300:                              ;   in Loop: Header=BB24_9 Depth=1
	s_wait_alu 0xfffe
	s_or_b32 exec_lo, exec_lo, s3
	s_mov_b32 s3, s39
                                        ; implicit-def: $vgpr1
                                        ; implicit-def: $vgpr2
	s_and_saveexec_b32 s51, s4
	s_cbranch_execz .LBB24_346
; %bb.301:                              ;   in Loop: Header=BB24_9 Depth=1
	v_mov_b32_e32 v0, 50
	s_and_saveexec_b32 s56, s0
	s_cbranch_execz .LBB24_303
; %bb.302:                              ;   in Loop: Header=BB24_9 Depth=1
	s_clause 0x1
	scratch_load_b32 v0, off, off offset:808
	scratch_load_b32 v2, off, off offset:820
	s_wait_loadcnt 0x1
	ds_load_2addr_b32 v[0:1], v0 offset1:32
	s_wait_loadcnt 0x0
	ds_load_b32 v7, v2 offset:260
	s_wait_dscnt 0x1
	v_cvt_f32_f16_e32 v2, v0
	v_lshrrev_b32_e32 v0, 16, v0
	v_lshrrev_b32_e32 v3, 16, v1
	v_cvt_f32_f16_e32 v1, v1
	s_delay_alu instid0(VALU_DEP_3) | instskip(SKIP_1) | instid1(VALU_DEP_4)
	v_cvt_f32_f16_e32 v0, v0
	v_add_f32_e32 v2, 0, v2
	v_cvt_f32_f16_e32 v3, v3
	s_delay_alu instid0(VALU_DEP_3) | instskip(SKIP_1) | instid1(VALU_DEP_3)
	v_dual_add_f32 v6, 0, v1 :: v_dual_add_f32 v5, 0, v0
	s_wait_dscnt 0x0
	v_div_scale_f32 v4, null, v7, v7, v2
	v_mad_co_u64_u32 v[0:1], null, v130, s25, v[113:114]
	s_delay_alu instid0(VALU_DEP_3) | instskip(NEXT) | instid1(VALU_DEP_3)
	v_div_scale_f32 v10, null, v7, v7, v5
	v_rcp_f32_e32 v9, v4
	v_div_scale_f32 v15, vcc_lo, v2, v7, v2
	s_delay_alu instid0(VALU_DEP_2) | instskip(SKIP_3) | instid1(TRANS32_DEP_2)
	v_rcp_f32_e32 v13, v10
	v_div_scale_f32 v16, s3, v6, v7, v6
	v_div_scale_f32 v17, s4, v5, v7, v5
	v_lshl_add_u32 v0, v0, 6, v229
	v_fma_f32 v1, -v4, v9, 1.0
	v_add_f32_e32 v8, 0, v3
	v_div_scale_f32 v3, null, v7, v7, v6
	s_delay_alu instid0(VALU_DEP_3) | instskip(NEXT) | instid1(VALU_DEP_3)
	v_fmac_f32_e32 v9, v1, v9
	v_div_scale_f32 v11, null, v7, v7, v8
	s_delay_alu instid0(VALU_DEP_3) | instskip(SKIP_2) | instid1(VALU_DEP_3)
	v_rcp_f32_e32 v12, v3
	v_fma_f32 v1, -v10, v13, 1.0
	v_div_scale_f32 v20, s5, v8, v7, v8
	v_rcp_f32_e32 v14, v11
	s_delay_alu instid0(VALU_DEP_2) | instskip(NEXT) | instid1(TRANS32_DEP_2)
	v_fmac_f32_e32 v13, v1, v13
	v_fma_f32 v18, -v3, v12, 1.0
	s_delay_alu instid0(VALU_DEP_2) | instskip(NEXT) | instid1(TRANS32_DEP_1)
	v_mul_f32_e32 v21, v17, v13
	v_fma_f32 v19, -v11, v14, 1.0
	s_delay_alu instid0(VALU_DEP_3) | instskip(SKIP_1) | instid1(VALU_DEP_4)
	v_fmac_f32_e32 v12, v18, v12
	v_mul_f32_e32 v18, v15, v9
	v_fma_f32 v24, -v10, v21, v17
	s_delay_alu instid0(VALU_DEP_3) | instskip(NEXT) | instid1(VALU_DEP_3)
	v_dual_fmac_f32 v14, v19, v14 :: v_dual_mul_f32 v19, v16, v12
	v_fma_f32 v1, -v4, v18, v15
	s_delay_alu instid0(VALU_DEP_2) | instskip(NEXT) | instid1(VALU_DEP_3)
	v_fma_f32 v23, -v3, v19, v16
	v_mul_f32_e32 v22, v20, v14
	s_delay_alu instid0(VALU_DEP_3) | instskip(SKIP_1) | instid1(VALU_DEP_4)
	v_fmac_f32_e32 v18, v1, v9
	v_ashrrev_i32_e32 v1, 31, v0
	v_fmac_f32_e32 v19, v23, v12
	s_delay_alu instid0(VALU_DEP_4) | instskip(NEXT) | instid1(VALU_DEP_4)
	v_fma_f32 v25, -v11, v22, v20
	v_fma_f32 v4, -v4, v18, v15
	v_fmac_f32_e32 v21, v24, v13
	v_lshlrev_b64_e32 v[0:1], 3, v[0:1]
	v_fma_f32 v3, -v3, v19, v16
	v_fmac_f32_e32 v22, v25, v14
	s_wait_alu 0xfffd
	v_div_fmas_f32 v4, v4, v9, v18
	v_fma_f32 v9, -v10, v21, v17
	s_mov_b32 vcc_lo, s4
	v_fma_f32 v10, -v11, v22, v20
	s_delay_alu instid0(VALU_DEP_3)
	v_div_fixup_f32 v2, v4, v7, v2
	s_wait_alu 0xfffe
	v_div_fmas_f32 v4, v9, v13, v21
	s_mov_b32 vcc_lo, s3
	s_wait_alu 0xfffe
	v_div_fmas_f32 v9, v3, v12, v19
	s_mov_b32 vcc_lo, s5
	v_div_fixup_f32 v3, v4, v7, v5
	s_wait_alu 0xfffe
	v_div_fmas_f32 v10, v10, v14, v22
	v_add_co_u32 v4, vcc_lo, s72, v0
	s_wait_alu 0xfffd
	v_add_co_ci_u32_e64 v5, null, s73, v1, vcc_lo
	v_mov_b32_e32 v0, 0
	v_div_fixup_f32 v6, v9, v7, v6
	v_div_fixup_f32 v7, v10, v7, v8
	s_clause 0x1
	global_store_b64 v[4:5], v[2:3], off
	global_store_b64 v[4:5], v[6:7], off offset:256
.LBB24_303:                             ;   in Loop: Header=BB24_9 Depth=1
	s_or_b32 exec_lo, exec_lo, s56
	s_mov_b32 s4, -1
	s_mov_b32 s0, exec_lo
	v_cmpx_gt_i32_e32 50, v0
; %bb.304:                              ;   in Loop: Header=BB24_9 Depth=1
	v_cmp_eq_u32_e32 vcc_lo, 0, v0
	s_or_not1_b32 s4, vcc_lo, exec_lo
; %bb.305:                              ;   in Loop: Header=BB24_9 Depth=1
	s_wait_alu 0xfffe
	s_or_b32 exec_lo, exec_lo, s0
	s_mov_b32 s3, s39
                                        ; implicit-def: $vgpr1
                                        ; implicit-def: $vgpr2
	s_and_saveexec_b32 s0, s4
	s_cbranch_execz .LBB24_345
; %bb.306:                              ;   in Loop: Header=BB24_9 Depth=1
	v_mov_b32_e32 v0, 50
	s_and_saveexec_b32 s56, s1
	s_cbranch_execz .LBB24_308
; %bb.307:                              ;   in Loop: Header=BB24_9 Depth=1
	s_clause 0x1
	scratch_load_b32 v0, off, off offset:816
	scratch_load_b32 v2, off, off offset:828
	s_wait_loadcnt 0x1
	ds_load_2addr_b32 v[0:1], v0 offset1:32
	s_wait_loadcnt 0x0
	ds_load_b32 v7, v2 offset:260
	s_wait_dscnt 0x1
	v_cvt_f32_f16_e32 v2, v0
	v_lshrrev_b32_e32 v0, 16, v0
	v_lshrrev_b32_e32 v3, 16, v1
	v_cvt_f32_f16_e32 v1, v1
	s_delay_alu instid0(VALU_DEP_3) | instskip(SKIP_1) | instid1(VALU_DEP_4)
	v_cvt_f32_f16_e32 v0, v0
	v_add_f32_e32 v2, 0, v2
	v_cvt_f32_f16_e32 v3, v3
	s_delay_alu instid0(VALU_DEP_3) | instskip(SKIP_1) | instid1(VALU_DEP_3)
	v_dual_add_f32 v6, 0, v1 :: v_dual_add_f32 v5, 0, v0
	s_wait_dscnt 0x0
	v_div_scale_f32 v4, null, v7, v7, v2
	v_mad_co_u64_u32 v[0:1], null, v129, s25, v[113:114]
	s_delay_alu instid0(VALU_DEP_3) | instskip(NEXT) | instid1(VALU_DEP_3)
	v_div_scale_f32 v10, null, v7, v7, v5
	v_rcp_f32_e32 v9, v4
	v_div_scale_f32 v15, vcc_lo, v2, v7, v2
	s_delay_alu instid0(VALU_DEP_2) | instskip(SKIP_3) | instid1(TRANS32_DEP_2)
	v_rcp_f32_e32 v13, v10
	v_div_scale_f32 v16, s3, v6, v7, v6
	v_div_scale_f32 v17, s4, v5, v7, v5
	v_lshl_add_u32 v0, v0, 6, v229
	v_fma_f32 v1, -v4, v9, 1.0
	v_add_f32_e32 v8, 0, v3
	v_div_scale_f32 v3, null, v7, v7, v6
	s_delay_alu instid0(VALU_DEP_3) | instskip(NEXT) | instid1(VALU_DEP_3)
	v_fmac_f32_e32 v9, v1, v9
	v_div_scale_f32 v11, null, v7, v7, v8
	s_delay_alu instid0(VALU_DEP_3) | instskip(SKIP_2) | instid1(VALU_DEP_3)
	v_rcp_f32_e32 v12, v3
	v_fma_f32 v1, -v10, v13, 1.0
	v_div_scale_f32 v20, s5, v8, v7, v8
	v_rcp_f32_e32 v14, v11
	s_delay_alu instid0(VALU_DEP_2) | instskip(NEXT) | instid1(TRANS32_DEP_2)
	v_fmac_f32_e32 v13, v1, v13
	v_fma_f32 v18, -v3, v12, 1.0
	s_delay_alu instid0(VALU_DEP_2) | instskip(NEXT) | instid1(TRANS32_DEP_1)
	v_mul_f32_e32 v21, v17, v13
	v_fma_f32 v19, -v11, v14, 1.0
	s_delay_alu instid0(VALU_DEP_3) | instskip(SKIP_1) | instid1(VALU_DEP_4)
	v_fmac_f32_e32 v12, v18, v12
	v_mul_f32_e32 v18, v15, v9
	v_fma_f32 v24, -v10, v21, v17
	s_delay_alu instid0(VALU_DEP_3) | instskip(NEXT) | instid1(VALU_DEP_3)
	v_dual_fmac_f32 v14, v19, v14 :: v_dual_mul_f32 v19, v16, v12
	v_fma_f32 v1, -v4, v18, v15
	s_delay_alu instid0(VALU_DEP_2) | instskip(NEXT) | instid1(VALU_DEP_3)
	v_fma_f32 v23, -v3, v19, v16
	v_mul_f32_e32 v22, v20, v14
	s_delay_alu instid0(VALU_DEP_3) | instskip(SKIP_1) | instid1(VALU_DEP_4)
	v_fmac_f32_e32 v18, v1, v9
	v_ashrrev_i32_e32 v1, 31, v0
	v_fmac_f32_e32 v19, v23, v12
	s_delay_alu instid0(VALU_DEP_4) | instskip(NEXT) | instid1(VALU_DEP_4)
	v_fma_f32 v25, -v11, v22, v20
	v_fma_f32 v4, -v4, v18, v15
	v_fmac_f32_e32 v21, v24, v13
	v_lshlrev_b64_e32 v[0:1], 3, v[0:1]
	v_fma_f32 v3, -v3, v19, v16
	v_fmac_f32_e32 v22, v25, v14
	s_wait_alu 0xfffd
	v_div_fmas_f32 v4, v4, v9, v18
	v_fma_f32 v9, -v10, v21, v17
	s_mov_b32 vcc_lo, s4
	v_fma_f32 v10, -v11, v22, v20
	s_delay_alu instid0(VALU_DEP_3)
	v_div_fixup_f32 v2, v4, v7, v2
	s_wait_alu 0xfffe
	v_div_fmas_f32 v4, v9, v13, v21
	s_mov_b32 vcc_lo, s3
	s_wait_alu 0xfffe
	v_div_fmas_f32 v9, v3, v12, v19
	s_mov_b32 vcc_lo, s5
	v_div_fixup_f32 v3, v4, v7, v5
	s_wait_alu 0xfffe
	v_div_fmas_f32 v10, v10, v14, v22
	v_add_co_u32 v4, vcc_lo, s72, v0
	s_wait_alu 0xfffd
	v_add_co_ci_u32_e64 v5, null, s73, v1, vcc_lo
	v_mov_b32_e32 v0, 0
	v_div_fixup_f32 v6, v9, v7, v6
	v_div_fixup_f32 v7, v10, v7, v8
	s_clause 0x1
	global_store_b64 v[4:5], v[2:3], off
	global_store_b64 v[4:5], v[6:7], off offset:256
.LBB24_308:                             ;   in Loop: Header=BB24_9 Depth=1
	s_or_b32 exec_lo, exec_lo, s56
	s_mov_b32 s4, -1
	s_mov_b32 s1, exec_lo
	v_cmpx_gt_i32_e32 50, v0
; %bb.309:                              ;   in Loop: Header=BB24_9 Depth=1
	v_cmp_eq_u32_e32 vcc_lo, 0, v0
	s_or_not1_b32 s4, vcc_lo, exec_lo
; %bb.310:                              ;   in Loop: Header=BB24_9 Depth=1
	s_wait_alu 0xfffe
	s_or_b32 exec_lo, exec_lo, s1
	s_mov_b32 s3, s39
                                        ; implicit-def: $vgpr1
                                        ; implicit-def: $vgpr2
	s_and_saveexec_b32 s1, s4
	s_cbranch_execz .LBB24_344
; %bb.311:                              ;   in Loop: Header=BB24_9 Depth=1
	v_mov_b32_e32 v0, 50
	s_and_saveexec_b32 s56, s44
	s_cbranch_execz .LBB24_313
; %bb.312:                              ;   in Loop: Header=BB24_9 Depth=1
	s_clause 0x1
	scratch_load_b32 v0, off, off offset:824
	scratch_load_b32 v2, off, off offset:836
	s_wait_loadcnt 0x1
	ds_load_2addr_b32 v[0:1], v0 offset1:32
	s_wait_loadcnt 0x0
	ds_load_b32 v7, v2 offset:260
	s_wait_dscnt 0x1
	v_cvt_f32_f16_e32 v2, v0
	v_lshrrev_b32_e32 v0, 16, v0
	v_lshrrev_b32_e32 v3, 16, v1
	v_cvt_f32_f16_e32 v1, v1
	s_delay_alu instid0(VALU_DEP_3) | instskip(SKIP_1) | instid1(VALU_DEP_4)
	v_cvt_f32_f16_e32 v0, v0
	v_add_f32_e32 v2, 0, v2
	v_cvt_f32_f16_e32 v3, v3
	s_delay_alu instid0(VALU_DEP_3) | instskip(SKIP_1) | instid1(VALU_DEP_3)
	v_dual_add_f32 v6, 0, v1 :: v_dual_add_f32 v5, 0, v0
	s_wait_dscnt 0x0
	v_div_scale_f32 v4, null, v7, v7, v2
	v_mad_co_u64_u32 v[0:1], null, v112, s25, v[113:114]
	s_delay_alu instid0(VALU_DEP_3) | instskip(NEXT) | instid1(VALU_DEP_3)
	v_div_scale_f32 v10, null, v7, v7, v5
	v_rcp_f32_e32 v9, v4
	v_div_scale_f32 v15, vcc_lo, v2, v7, v2
	s_delay_alu instid0(VALU_DEP_2) | instskip(SKIP_3) | instid1(TRANS32_DEP_2)
	v_rcp_f32_e32 v13, v10
	v_div_scale_f32 v16, s3, v6, v7, v6
	v_div_scale_f32 v17, s4, v5, v7, v5
	v_lshl_add_u32 v0, v0, 6, v229
	v_fma_f32 v1, -v4, v9, 1.0
	v_add_f32_e32 v8, 0, v3
	v_div_scale_f32 v3, null, v7, v7, v6
	s_delay_alu instid0(VALU_DEP_3) | instskip(NEXT) | instid1(VALU_DEP_3)
	v_fmac_f32_e32 v9, v1, v9
	v_div_scale_f32 v11, null, v7, v7, v8
	s_delay_alu instid0(VALU_DEP_3) | instskip(SKIP_2) | instid1(VALU_DEP_3)
	v_rcp_f32_e32 v12, v3
	v_fma_f32 v1, -v10, v13, 1.0
	v_div_scale_f32 v20, s5, v8, v7, v8
	v_rcp_f32_e32 v14, v11
	s_delay_alu instid0(VALU_DEP_2) | instskip(NEXT) | instid1(TRANS32_DEP_2)
	v_fmac_f32_e32 v13, v1, v13
	v_fma_f32 v18, -v3, v12, 1.0
	s_delay_alu instid0(VALU_DEP_2) | instskip(NEXT) | instid1(TRANS32_DEP_1)
	v_mul_f32_e32 v21, v17, v13
	v_fma_f32 v19, -v11, v14, 1.0
	s_delay_alu instid0(VALU_DEP_3) | instskip(SKIP_1) | instid1(VALU_DEP_4)
	v_fmac_f32_e32 v12, v18, v12
	v_mul_f32_e32 v18, v15, v9
	v_fma_f32 v24, -v10, v21, v17
	s_delay_alu instid0(VALU_DEP_3) | instskip(NEXT) | instid1(VALU_DEP_3)
	v_dual_fmac_f32 v14, v19, v14 :: v_dual_mul_f32 v19, v16, v12
	v_fma_f32 v1, -v4, v18, v15
	s_delay_alu instid0(VALU_DEP_2) | instskip(NEXT) | instid1(VALU_DEP_3)
	v_fma_f32 v23, -v3, v19, v16
	v_mul_f32_e32 v22, v20, v14
	s_delay_alu instid0(VALU_DEP_3) | instskip(SKIP_1) | instid1(VALU_DEP_4)
	v_fmac_f32_e32 v18, v1, v9
	v_ashrrev_i32_e32 v1, 31, v0
	v_fmac_f32_e32 v19, v23, v12
	s_delay_alu instid0(VALU_DEP_4) | instskip(NEXT) | instid1(VALU_DEP_4)
	v_fma_f32 v25, -v11, v22, v20
	v_fma_f32 v4, -v4, v18, v15
	v_fmac_f32_e32 v21, v24, v13
	v_lshlrev_b64_e32 v[0:1], 3, v[0:1]
	v_fma_f32 v3, -v3, v19, v16
	v_fmac_f32_e32 v22, v25, v14
	s_wait_alu 0xfffd
	v_div_fmas_f32 v4, v4, v9, v18
	v_fma_f32 v9, -v10, v21, v17
	s_mov_b32 vcc_lo, s4
	v_fma_f32 v10, -v11, v22, v20
	s_delay_alu instid0(VALU_DEP_3)
	v_div_fixup_f32 v2, v4, v7, v2
	s_wait_alu 0xfffe
	v_div_fmas_f32 v4, v9, v13, v21
	s_mov_b32 vcc_lo, s3
	s_wait_alu 0xfffe
	v_div_fmas_f32 v9, v3, v12, v19
	s_mov_b32 vcc_lo, s5
	v_div_fixup_f32 v3, v4, v7, v5
	s_wait_alu 0xfffe
	v_div_fmas_f32 v10, v10, v14, v22
	v_add_co_u32 v4, vcc_lo, s72, v0
	s_wait_alu 0xfffd
	v_add_co_ci_u32_e64 v5, null, s73, v1, vcc_lo
	v_mov_b32_e32 v0, 0
	v_div_fixup_f32 v6, v9, v7, v6
	v_div_fixup_f32 v7, v10, v7, v8
	s_clause 0x1
	global_store_b64 v[4:5], v[2:3], off
	global_store_b64 v[4:5], v[6:7], off offset:256
.LBB24_313:                             ;   in Loop: Header=BB24_9 Depth=1
	s_or_b32 exec_lo, exec_lo, s56
	s_mov_b32 s4, -1
	s_mov_b32 s3, exec_lo
	v_cmpx_gt_i32_e32 50, v0
; %bb.314:                              ;   in Loop: Header=BB24_9 Depth=1
	v_cmp_eq_u32_e32 vcc_lo, 0, v0
	s_or_not1_b32 s4, vcc_lo, exec_lo
; %bb.315:                              ;   in Loop: Header=BB24_9 Depth=1
	s_wait_alu 0xfffe
	s_or_b32 exec_lo, exec_lo, s3
	s_mov_b32 s3, s39
                                        ; implicit-def: $vgpr1
                                        ; implicit-def: $vgpr2
	s_and_saveexec_b32 s44, s4
	s_cbranch_execz .LBB24_343
; %bb.316:                              ;   in Loop: Header=BB24_9 Depth=1
	v_mov_b32_e32 v0, 50
	s_and_saveexec_b32 s56, s6
	s_cbranch_execz .LBB24_318
; %bb.317:                              ;   in Loop: Header=BB24_9 Depth=1
	s_clause 0x1
	scratch_load_b32 v0, off, off offset:832
	scratch_load_b32 v2, off, off offset:844
	s_wait_loadcnt 0x1
	ds_load_2addr_b32 v[0:1], v0 offset1:32
	s_wait_loadcnt 0x0
	ds_load_b32 v7, v2 offset:260
	s_wait_dscnt 0x1
	v_cvt_f32_f16_e32 v2, v0
	v_lshrrev_b32_e32 v0, 16, v0
	v_lshrrev_b32_e32 v3, 16, v1
	v_cvt_f32_f16_e32 v1, v1
	s_delay_alu instid0(VALU_DEP_3) | instskip(SKIP_1) | instid1(VALU_DEP_4)
	v_cvt_f32_f16_e32 v0, v0
	v_add_f32_e32 v2, 0, v2
	v_cvt_f32_f16_e32 v3, v3
	s_delay_alu instid0(VALU_DEP_3) | instskip(SKIP_1) | instid1(VALU_DEP_3)
	v_dual_add_f32 v6, 0, v1 :: v_dual_add_f32 v5, 0, v0
	s_wait_dscnt 0x0
	v_div_scale_f32 v4, null, v7, v7, v2
	v_mad_co_u64_u32 v[0:1], null, v111, s25, v[113:114]
	s_delay_alu instid0(VALU_DEP_3) | instskip(NEXT) | instid1(VALU_DEP_3)
	v_div_scale_f32 v10, null, v7, v7, v5
	v_rcp_f32_e32 v9, v4
	v_div_scale_f32 v15, vcc_lo, v2, v7, v2
	s_delay_alu instid0(VALU_DEP_2) | instskip(SKIP_3) | instid1(TRANS32_DEP_2)
	v_rcp_f32_e32 v13, v10
	v_div_scale_f32 v16, s3, v6, v7, v6
	v_div_scale_f32 v17, s4, v5, v7, v5
	v_lshl_add_u32 v0, v0, 6, v229
	v_fma_f32 v1, -v4, v9, 1.0
	v_add_f32_e32 v8, 0, v3
	v_div_scale_f32 v3, null, v7, v7, v6
	s_delay_alu instid0(VALU_DEP_3) | instskip(NEXT) | instid1(VALU_DEP_3)
	v_fmac_f32_e32 v9, v1, v9
	v_div_scale_f32 v11, null, v7, v7, v8
	s_delay_alu instid0(VALU_DEP_3) | instskip(SKIP_2) | instid1(VALU_DEP_3)
	v_rcp_f32_e32 v12, v3
	v_fma_f32 v1, -v10, v13, 1.0
	v_div_scale_f32 v20, s5, v8, v7, v8
	v_rcp_f32_e32 v14, v11
	s_delay_alu instid0(VALU_DEP_2) | instskip(NEXT) | instid1(TRANS32_DEP_2)
	v_fmac_f32_e32 v13, v1, v13
	v_fma_f32 v18, -v3, v12, 1.0
	s_delay_alu instid0(VALU_DEP_2) | instskip(NEXT) | instid1(TRANS32_DEP_1)
	v_mul_f32_e32 v21, v17, v13
	v_fma_f32 v19, -v11, v14, 1.0
	s_delay_alu instid0(VALU_DEP_3) | instskip(SKIP_1) | instid1(VALU_DEP_4)
	v_fmac_f32_e32 v12, v18, v12
	v_mul_f32_e32 v18, v15, v9
	v_fma_f32 v24, -v10, v21, v17
	s_delay_alu instid0(VALU_DEP_3) | instskip(NEXT) | instid1(VALU_DEP_3)
	v_dual_fmac_f32 v14, v19, v14 :: v_dual_mul_f32 v19, v16, v12
	v_fma_f32 v1, -v4, v18, v15
	s_delay_alu instid0(VALU_DEP_2) | instskip(NEXT) | instid1(VALU_DEP_3)
	v_fma_f32 v23, -v3, v19, v16
	v_mul_f32_e32 v22, v20, v14
	s_delay_alu instid0(VALU_DEP_3) | instskip(SKIP_1) | instid1(VALU_DEP_4)
	v_fmac_f32_e32 v18, v1, v9
	v_ashrrev_i32_e32 v1, 31, v0
	v_fmac_f32_e32 v19, v23, v12
	s_delay_alu instid0(VALU_DEP_4) | instskip(NEXT) | instid1(VALU_DEP_4)
	v_fma_f32 v25, -v11, v22, v20
	v_fma_f32 v4, -v4, v18, v15
	v_fmac_f32_e32 v21, v24, v13
	v_lshlrev_b64_e32 v[0:1], 3, v[0:1]
	v_fma_f32 v3, -v3, v19, v16
	v_fmac_f32_e32 v22, v25, v14
	s_wait_alu 0xfffd
	v_div_fmas_f32 v4, v4, v9, v18
	v_fma_f32 v9, -v10, v21, v17
	s_mov_b32 vcc_lo, s4
	v_fma_f32 v10, -v11, v22, v20
	s_delay_alu instid0(VALU_DEP_3)
	v_div_fixup_f32 v2, v4, v7, v2
	s_wait_alu 0xfffe
	v_div_fmas_f32 v4, v9, v13, v21
	s_mov_b32 vcc_lo, s3
	s_wait_alu 0xfffe
	v_div_fmas_f32 v9, v3, v12, v19
	s_mov_b32 vcc_lo, s5
	v_div_fixup_f32 v3, v4, v7, v5
	s_wait_alu 0xfffe
	v_div_fmas_f32 v10, v10, v14, v22
	v_add_co_u32 v4, vcc_lo, s72, v0
	s_wait_alu 0xfffd
	v_add_co_ci_u32_e64 v5, null, s73, v1, vcc_lo
	v_mov_b32_e32 v0, 0
	v_div_fixup_f32 v6, v9, v7, v6
	v_div_fixup_f32 v7, v10, v7, v8
	s_clause 0x1
	global_store_b64 v[4:5], v[2:3], off
	global_store_b64 v[4:5], v[6:7], off offset:256
.LBB24_318:                             ;   in Loop: Header=BB24_9 Depth=1
	s_or_b32 exec_lo, exec_lo, s56
	s_mov_b32 s4, -1
	s_mov_b32 s3, exec_lo
	v_cmpx_gt_i32_e32 50, v0
; %bb.319:                              ;   in Loop: Header=BB24_9 Depth=1
	v_cmp_eq_u32_e32 vcc_lo, 0, v0
	s_or_not1_b32 s4, vcc_lo, exec_lo
; %bb.320:                              ;   in Loop: Header=BB24_9 Depth=1
	s_wait_alu 0xfffe
	s_or_b32 exec_lo, exec_lo, s3
	s_mov_b32 s3, s39
                                        ; implicit-def: $vgpr1
                                        ; implicit-def: $vgpr2
	s_and_saveexec_b32 s6, s4
	s_cbranch_execz .LBB24_342
; %bb.321:                              ;   in Loop: Header=BB24_9 Depth=1
	v_mov_b32_e32 v0, 50
	s_and_saveexec_b32 s56, s95
	s_cbranch_execz .LBB24_323
; %bb.322:                              ;   in Loop: Header=BB24_9 Depth=1
	s_clause 0x1
	scratch_load_b32 v0, off, off offset:840
	scratch_load_b32 v2, off, off offset:852
	s_wait_loadcnt 0x1
	ds_load_2addr_b32 v[0:1], v0 offset1:32
	s_wait_loadcnt 0x0
	ds_load_b32 v7, v2 offset:260
	s_wait_dscnt 0x1
	v_cvt_f32_f16_e32 v2, v0
	v_lshrrev_b32_e32 v0, 16, v0
	v_lshrrev_b32_e32 v3, 16, v1
	v_cvt_f32_f16_e32 v1, v1
	s_delay_alu instid0(VALU_DEP_3) | instskip(SKIP_1) | instid1(VALU_DEP_4)
	v_cvt_f32_f16_e32 v0, v0
	v_add_f32_e32 v2, 0, v2
	v_cvt_f32_f16_e32 v3, v3
	s_delay_alu instid0(VALU_DEP_3) | instskip(SKIP_1) | instid1(VALU_DEP_3)
	v_dual_add_f32 v6, 0, v1 :: v_dual_add_f32 v5, 0, v0
	s_wait_dscnt 0x0
	v_div_scale_f32 v4, null, v7, v7, v2
	v_mad_co_u64_u32 v[0:1], null, v110, s25, v[113:114]
	s_delay_alu instid0(VALU_DEP_3) | instskip(NEXT) | instid1(VALU_DEP_3)
	v_div_scale_f32 v10, null, v7, v7, v5
	v_rcp_f32_e32 v9, v4
	v_div_scale_f32 v15, vcc_lo, v2, v7, v2
	s_delay_alu instid0(VALU_DEP_2) | instskip(SKIP_3) | instid1(TRANS32_DEP_2)
	v_rcp_f32_e32 v13, v10
	v_div_scale_f32 v16, s3, v6, v7, v6
	v_div_scale_f32 v17, s4, v5, v7, v5
	v_lshl_add_u32 v0, v0, 6, v229
	v_fma_f32 v1, -v4, v9, 1.0
	v_add_f32_e32 v8, 0, v3
	v_div_scale_f32 v3, null, v7, v7, v6
	s_delay_alu instid0(VALU_DEP_3) | instskip(NEXT) | instid1(VALU_DEP_3)
	v_fmac_f32_e32 v9, v1, v9
	v_div_scale_f32 v11, null, v7, v7, v8
	s_delay_alu instid0(VALU_DEP_3) | instskip(SKIP_2) | instid1(VALU_DEP_3)
	v_rcp_f32_e32 v12, v3
	v_fma_f32 v1, -v10, v13, 1.0
	v_div_scale_f32 v20, s5, v8, v7, v8
	v_rcp_f32_e32 v14, v11
	s_delay_alu instid0(VALU_DEP_2) | instskip(NEXT) | instid1(TRANS32_DEP_2)
	v_fmac_f32_e32 v13, v1, v13
	v_fma_f32 v18, -v3, v12, 1.0
	s_delay_alu instid0(VALU_DEP_2) | instskip(NEXT) | instid1(TRANS32_DEP_1)
	v_mul_f32_e32 v21, v17, v13
	v_fma_f32 v19, -v11, v14, 1.0
	s_delay_alu instid0(VALU_DEP_3) | instskip(SKIP_1) | instid1(VALU_DEP_4)
	v_fmac_f32_e32 v12, v18, v12
	v_mul_f32_e32 v18, v15, v9
	v_fma_f32 v24, -v10, v21, v17
	s_delay_alu instid0(VALU_DEP_3) | instskip(NEXT) | instid1(VALU_DEP_3)
	v_dual_fmac_f32 v14, v19, v14 :: v_dual_mul_f32 v19, v16, v12
	v_fma_f32 v1, -v4, v18, v15
	s_delay_alu instid0(VALU_DEP_2) | instskip(NEXT) | instid1(VALU_DEP_3)
	v_fma_f32 v23, -v3, v19, v16
	v_mul_f32_e32 v22, v20, v14
	s_delay_alu instid0(VALU_DEP_3) | instskip(SKIP_1) | instid1(VALU_DEP_4)
	v_fmac_f32_e32 v18, v1, v9
	v_ashrrev_i32_e32 v1, 31, v0
	v_fmac_f32_e32 v19, v23, v12
	s_delay_alu instid0(VALU_DEP_4) | instskip(NEXT) | instid1(VALU_DEP_4)
	v_fma_f32 v25, -v11, v22, v20
	v_fma_f32 v4, -v4, v18, v15
	v_fmac_f32_e32 v21, v24, v13
	v_lshlrev_b64_e32 v[0:1], 3, v[0:1]
	v_fma_f32 v3, -v3, v19, v16
	v_fmac_f32_e32 v22, v25, v14
	s_wait_alu 0xfffd
	v_div_fmas_f32 v4, v4, v9, v18
	v_fma_f32 v9, -v10, v21, v17
	s_mov_b32 vcc_lo, s4
	v_fma_f32 v10, -v11, v22, v20
	s_delay_alu instid0(VALU_DEP_3)
	v_div_fixup_f32 v2, v4, v7, v2
	s_wait_alu 0xfffe
	v_div_fmas_f32 v4, v9, v13, v21
	s_mov_b32 vcc_lo, s3
	s_wait_alu 0xfffe
	v_div_fmas_f32 v9, v3, v12, v19
	s_mov_b32 vcc_lo, s5
	v_div_fixup_f32 v3, v4, v7, v5
	s_wait_alu 0xfffe
	v_div_fmas_f32 v10, v10, v14, v22
	v_add_co_u32 v4, vcc_lo, s72, v0
	s_wait_alu 0xfffd
	v_add_co_ci_u32_e64 v5, null, s73, v1, vcc_lo
	v_mov_b32_e32 v0, 0
	v_div_fixup_f32 v6, v9, v7, v6
	v_div_fixup_f32 v7, v10, v7, v8
	s_clause 0x1
	global_store_b64 v[4:5], v[2:3], off
	global_store_b64 v[4:5], v[6:7], off offset:256
.LBB24_323:                             ;   in Loop: Header=BB24_9 Depth=1
	s_or_b32 exec_lo, exec_lo, s56
	s_mov_b32 s4, -1
	s_mov_b32 s3, exec_lo
	v_cmpx_gt_i32_e32 50, v0
; %bb.324:                              ;   in Loop: Header=BB24_9 Depth=1
	v_cmp_eq_u32_e32 vcc_lo, 0, v0
	s_or_not1_b32 s4, vcc_lo, exec_lo
; %bb.325:                              ;   in Loop: Header=BB24_9 Depth=1
	s_wait_alu 0xfffe
	s_or_b32 exec_lo, exec_lo, s3
	s_mov_b32 s3, s39
                                        ; implicit-def: $vgpr1
                                        ; implicit-def: $vgpr2
	s_and_saveexec_b32 s56, s4
	s_cbranch_execz .LBB24_341
; %bb.326:                              ;   in Loop: Header=BB24_9 Depth=1
	v_mov_b32_e32 v0, 50
	s_and_saveexec_b32 s74, s93
	s_cbranch_execz .LBB24_328
; %bb.327:                              ;   in Loop: Header=BB24_9 Depth=1
	s_clause 0x1
	scratch_load_b32 v0, off, off offset:848
	scratch_load_b32 v2, off, off offset:860
	s_wait_loadcnt 0x1
	ds_load_2addr_b32 v[0:1], v0 offset1:32
	s_wait_loadcnt 0x0
	ds_load_b32 v7, v2 offset:260
	s_wait_dscnt 0x1
	v_cvt_f32_f16_e32 v2, v0
	v_lshrrev_b32_e32 v0, 16, v0
	v_lshrrev_b32_e32 v3, 16, v1
	v_cvt_f32_f16_e32 v1, v1
	s_delay_alu instid0(VALU_DEP_3) | instskip(SKIP_1) | instid1(VALU_DEP_4)
	v_cvt_f32_f16_e32 v0, v0
	v_add_f32_e32 v2, 0, v2
	v_cvt_f32_f16_e32 v3, v3
	s_delay_alu instid0(VALU_DEP_3) | instskip(SKIP_1) | instid1(VALU_DEP_3)
	v_dual_add_f32 v6, 0, v1 :: v_dual_add_f32 v5, 0, v0
	s_wait_dscnt 0x0
	v_div_scale_f32 v4, null, v7, v7, v2
	v_mad_co_u64_u32 v[0:1], null, v109, s25, v[113:114]
	s_delay_alu instid0(VALU_DEP_3) | instskip(NEXT) | instid1(VALU_DEP_3)
	v_div_scale_f32 v10, null, v7, v7, v5
	v_rcp_f32_e32 v9, v4
	v_div_scale_f32 v15, vcc_lo, v2, v7, v2
	s_delay_alu instid0(VALU_DEP_2) | instskip(SKIP_3) | instid1(TRANS32_DEP_2)
	v_rcp_f32_e32 v13, v10
	v_div_scale_f32 v16, s3, v6, v7, v6
	v_div_scale_f32 v17, s4, v5, v7, v5
	v_lshl_add_u32 v0, v0, 6, v229
	v_fma_f32 v1, -v4, v9, 1.0
	v_add_f32_e32 v8, 0, v3
	v_div_scale_f32 v3, null, v7, v7, v6
	s_delay_alu instid0(VALU_DEP_3) | instskip(NEXT) | instid1(VALU_DEP_3)
	v_fmac_f32_e32 v9, v1, v9
	v_div_scale_f32 v11, null, v7, v7, v8
	s_delay_alu instid0(VALU_DEP_3) | instskip(SKIP_2) | instid1(VALU_DEP_3)
	v_rcp_f32_e32 v12, v3
	v_fma_f32 v1, -v10, v13, 1.0
	v_div_scale_f32 v20, s5, v8, v7, v8
	v_rcp_f32_e32 v14, v11
	s_delay_alu instid0(VALU_DEP_2) | instskip(NEXT) | instid1(TRANS32_DEP_2)
	v_fmac_f32_e32 v13, v1, v13
	v_fma_f32 v18, -v3, v12, 1.0
	s_delay_alu instid0(VALU_DEP_2) | instskip(NEXT) | instid1(TRANS32_DEP_1)
	v_mul_f32_e32 v21, v17, v13
	v_fma_f32 v19, -v11, v14, 1.0
	s_delay_alu instid0(VALU_DEP_3) | instskip(SKIP_1) | instid1(VALU_DEP_4)
	v_fmac_f32_e32 v12, v18, v12
	v_mul_f32_e32 v18, v15, v9
	v_fma_f32 v24, -v10, v21, v17
	s_delay_alu instid0(VALU_DEP_3) | instskip(NEXT) | instid1(VALU_DEP_3)
	v_dual_fmac_f32 v14, v19, v14 :: v_dual_mul_f32 v19, v16, v12
	v_fma_f32 v1, -v4, v18, v15
	s_delay_alu instid0(VALU_DEP_2) | instskip(NEXT) | instid1(VALU_DEP_3)
	v_fma_f32 v23, -v3, v19, v16
	v_mul_f32_e32 v22, v20, v14
	s_delay_alu instid0(VALU_DEP_3) | instskip(SKIP_1) | instid1(VALU_DEP_4)
	v_fmac_f32_e32 v18, v1, v9
	v_ashrrev_i32_e32 v1, 31, v0
	v_fmac_f32_e32 v19, v23, v12
	s_delay_alu instid0(VALU_DEP_4) | instskip(NEXT) | instid1(VALU_DEP_4)
	v_fma_f32 v25, -v11, v22, v20
	v_fma_f32 v4, -v4, v18, v15
	v_fmac_f32_e32 v21, v24, v13
	v_lshlrev_b64_e32 v[0:1], 3, v[0:1]
	v_fma_f32 v3, -v3, v19, v16
	v_fmac_f32_e32 v22, v25, v14
	s_wait_alu 0xfffd
	v_div_fmas_f32 v4, v4, v9, v18
	v_fma_f32 v9, -v10, v21, v17
	s_mov_b32 vcc_lo, s4
	v_fma_f32 v10, -v11, v22, v20
	s_delay_alu instid0(VALU_DEP_3)
	v_div_fixup_f32 v2, v4, v7, v2
	s_wait_alu 0xfffe
	v_div_fmas_f32 v4, v9, v13, v21
	s_mov_b32 vcc_lo, s3
	s_wait_alu 0xfffe
	v_div_fmas_f32 v9, v3, v12, v19
	s_mov_b32 vcc_lo, s5
	v_div_fixup_f32 v3, v4, v7, v5
	s_wait_alu 0xfffe
	v_div_fmas_f32 v10, v10, v14, v22
	v_add_co_u32 v4, vcc_lo, s72, v0
	s_wait_alu 0xfffd
	v_add_co_ci_u32_e64 v5, null, s73, v1, vcc_lo
	v_mov_b32_e32 v0, 0
	v_div_fixup_f32 v6, v9, v7, v6
	v_div_fixup_f32 v7, v10, v7, v8
	s_clause 0x1
	global_store_b64 v[4:5], v[2:3], off
	global_store_b64 v[4:5], v[6:7], off offset:256
.LBB24_328:                             ;   in Loop: Header=BB24_9 Depth=1
	s_or_b32 exec_lo, exec_lo, s74
	s_mov_b32 s4, -1
	s_mov_b32 s3, exec_lo
	v_cmpx_gt_i32_e32 50, v0
; %bb.329:                              ;   in Loop: Header=BB24_9 Depth=1
	v_cmp_eq_u32_e32 vcc_lo, 0, v0
	s_or_not1_b32 s4, vcc_lo, exec_lo
; %bb.330:                              ;   in Loop: Header=BB24_9 Depth=1
	s_wait_alu 0xfffe
	s_or_b32 exec_lo, exec_lo, s3
	s_mov_b32 s3, s39
                                        ; implicit-def: $vgpr1
                                        ; implicit-def: $vgpr2
	s_and_saveexec_b32 s74, s4
	s_cbranch_execz .LBB24_340
; %bb.331:                              ;   in Loop: Header=BB24_9 Depth=1
	v_mov_b32_e32 v0, 50
	s_and_saveexec_b32 s75, s92
	s_cbranch_execz .LBB24_333
; %bb.332:                              ;   in Loop: Header=BB24_9 Depth=1
	s_clause 0x1
	scratch_load_b32 v0, off, off offset:856
	scratch_load_b32 v2, off, off offset:872
	s_wait_loadcnt 0x1
	ds_load_2addr_b32 v[0:1], v0 offset1:32
	s_wait_loadcnt 0x0
	ds_load_b32 v7, v2 offset:260
	s_wait_dscnt 0x1
	v_cvt_f32_f16_e32 v2, v0
	v_lshrrev_b32_e32 v0, 16, v0
	v_lshrrev_b32_e32 v3, 16, v1
	v_cvt_f32_f16_e32 v1, v1
	s_delay_alu instid0(VALU_DEP_3) | instskip(SKIP_1) | instid1(VALU_DEP_4)
	v_cvt_f32_f16_e32 v0, v0
	v_add_f32_e32 v2, 0, v2
	v_cvt_f32_f16_e32 v3, v3
	s_delay_alu instid0(VALU_DEP_3) | instskip(SKIP_1) | instid1(VALU_DEP_3)
	v_dual_add_f32 v6, 0, v1 :: v_dual_add_f32 v5, 0, v0
	s_wait_dscnt 0x0
	v_div_scale_f32 v4, null, v7, v7, v2
	v_mad_co_u64_u32 v[0:1], null, v108, s25, v[113:114]
	s_delay_alu instid0(VALU_DEP_3) | instskip(NEXT) | instid1(VALU_DEP_3)
	v_div_scale_f32 v10, null, v7, v7, v5
	v_rcp_f32_e32 v9, v4
	v_div_scale_f32 v15, vcc_lo, v2, v7, v2
	s_delay_alu instid0(VALU_DEP_2) | instskip(SKIP_3) | instid1(TRANS32_DEP_2)
	v_rcp_f32_e32 v13, v10
	v_div_scale_f32 v16, s3, v6, v7, v6
	v_div_scale_f32 v17, s4, v5, v7, v5
	v_lshl_add_u32 v0, v0, 6, v229
	v_fma_f32 v1, -v4, v9, 1.0
	v_add_f32_e32 v8, 0, v3
	v_div_scale_f32 v3, null, v7, v7, v6
	s_delay_alu instid0(VALU_DEP_3) | instskip(NEXT) | instid1(VALU_DEP_3)
	v_fmac_f32_e32 v9, v1, v9
	v_div_scale_f32 v11, null, v7, v7, v8
	s_delay_alu instid0(VALU_DEP_3) | instskip(SKIP_2) | instid1(VALU_DEP_3)
	v_rcp_f32_e32 v12, v3
	v_fma_f32 v1, -v10, v13, 1.0
	v_div_scale_f32 v20, s5, v8, v7, v8
	v_rcp_f32_e32 v14, v11
	s_delay_alu instid0(VALU_DEP_2) | instskip(NEXT) | instid1(TRANS32_DEP_2)
	v_fmac_f32_e32 v13, v1, v13
	v_fma_f32 v18, -v3, v12, 1.0
	s_delay_alu instid0(VALU_DEP_2) | instskip(NEXT) | instid1(TRANS32_DEP_1)
	v_mul_f32_e32 v21, v17, v13
	v_fma_f32 v19, -v11, v14, 1.0
	s_delay_alu instid0(VALU_DEP_3) | instskip(SKIP_1) | instid1(VALU_DEP_4)
	v_fmac_f32_e32 v12, v18, v12
	v_mul_f32_e32 v18, v15, v9
	v_fma_f32 v24, -v10, v21, v17
	s_delay_alu instid0(VALU_DEP_3) | instskip(NEXT) | instid1(VALU_DEP_3)
	v_dual_fmac_f32 v14, v19, v14 :: v_dual_mul_f32 v19, v16, v12
	v_fma_f32 v1, -v4, v18, v15
	s_delay_alu instid0(VALU_DEP_2) | instskip(NEXT) | instid1(VALU_DEP_3)
	v_fma_f32 v23, -v3, v19, v16
	v_mul_f32_e32 v22, v20, v14
	s_delay_alu instid0(VALU_DEP_3) | instskip(SKIP_1) | instid1(VALU_DEP_4)
	v_fmac_f32_e32 v18, v1, v9
	v_ashrrev_i32_e32 v1, 31, v0
	v_fmac_f32_e32 v19, v23, v12
	s_delay_alu instid0(VALU_DEP_4) | instskip(NEXT) | instid1(VALU_DEP_4)
	v_fma_f32 v25, -v11, v22, v20
	v_fma_f32 v4, -v4, v18, v15
	v_fmac_f32_e32 v21, v24, v13
	v_lshlrev_b64_e32 v[0:1], 3, v[0:1]
	v_fma_f32 v3, -v3, v19, v16
	v_fmac_f32_e32 v22, v25, v14
	s_wait_alu 0xfffd
	v_div_fmas_f32 v4, v4, v9, v18
	v_fma_f32 v9, -v10, v21, v17
	s_mov_b32 vcc_lo, s4
	v_fma_f32 v10, -v11, v22, v20
	s_delay_alu instid0(VALU_DEP_3)
	v_div_fixup_f32 v2, v4, v7, v2
	s_wait_alu 0xfffe
	v_div_fmas_f32 v4, v9, v13, v21
	s_mov_b32 vcc_lo, s3
	s_wait_alu 0xfffe
	v_div_fmas_f32 v9, v3, v12, v19
	s_mov_b32 vcc_lo, s5
	v_div_fixup_f32 v3, v4, v7, v5
	s_wait_alu 0xfffe
	v_div_fmas_f32 v10, v10, v14, v22
	v_add_co_u32 v4, vcc_lo, s72, v0
	s_wait_alu 0xfffd
	v_add_co_ci_u32_e64 v5, null, s73, v1, vcc_lo
	v_mov_b32_e32 v0, 0
	v_div_fixup_f32 v6, v9, v7, v6
	v_div_fixup_f32 v7, v10, v7, v8
	s_clause 0x1
	global_store_b64 v[4:5], v[2:3], off
	global_store_b64 v[4:5], v[6:7], off offset:256
.LBB24_333:                             ;   in Loop: Header=BB24_9 Depth=1
	s_or_b32 exec_lo, exec_lo, s75
	s_mov_b32 s4, -1
	s_mov_b32 s3, exec_lo
	v_cmpx_gt_i32_e32 50, v0
; %bb.334:                              ;   in Loop: Header=BB24_9 Depth=1
	v_cmp_eq_u32_e32 vcc_lo, 0, v0
	s_or_not1_b32 s4, vcc_lo, exec_lo
; %bb.335:                              ;   in Loop: Header=BB24_9 Depth=1
	s_wait_alu 0xfffe
	s_or_b32 exec_lo, exec_lo, s3
	s_mov_b32 s3, s39
                                        ; implicit-def: $vgpr1
                                        ; implicit-def: $vgpr2
	s_and_saveexec_b32 s75, s4
	s_cbranch_execz .LBB24_339
; %bb.336:                              ;   in Loop: Header=BB24_9 Depth=1
	s_mov_b32 s3, s39
                                        ; implicit-def: $vgpr1
                                        ; implicit-def: $vgpr2
	s_and_saveexec_b32 s76, s67
	s_cbranch_execz .LBB24_338
; %bb.337:                              ;   in Loop: Header=BB24_9 Depth=1
	s_clause 0x1
	scratch_load_b32 v0, off, off offset:864
	scratch_load_b32 v2, off, off offset:876
	v_mul_lo_u32 v5, v107, s25
	s_delay_alu instid0(VALU_DEP_1)
	v_add_lshl_u32 v15, v5, v113, 6
	s_wait_loadcnt 0x1
	ds_load_2addr_b32 v[0:1], v0 offset1:32
	s_wait_loadcnt 0x0
	ds_load_b32 v2, v2 offset:260
	s_wait_dscnt 0x1
	v_lshrrev_b32_e32 v3, 16, v0
	v_cvt_f32_f16_e32 v0, v0
	v_lshrrev_b32_e32 v4, 16, v1
	v_cvt_f32_f16_e32 v1, v1
	s_delay_alu instid0(VALU_DEP_4) | instskip(NEXT) | instid1(VALU_DEP_4)
	v_cvt_f32_f16_e32 v3, v3
	v_add_f32_e32 v6, 0, v0
	s_delay_alu instid0(VALU_DEP_4) | instskip(NEXT) | instid1(VALU_DEP_3)
	v_cvt_f32_f16_e32 v0, v4
	v_dual_add_f32 v7, 0, v1 :: v_dual_add_f32 v8, 0, v3
	s_wait_dscnt 0x0
	s_delay_alu instid0(VALU_DEP_3) | instskip(NEXT) | instid1(VALU_DEP_2)
	v_div_scale_f32 v3, null, v2, v2, v6
	v_div_scale_f32 v4, null, v2, v2, v7
	v_add_f32_e32 v9, 0, v0
	v_div_scale_f32 v10, null, v2, v2, v8
	s_delay_alu instid0(VALU_DEP_4) | instskip(NEXT) | instid1(VALU_DEP_3)
	v_rcp_f32_e32 v11, v3
	v_rcp_f32_e32 v12, v4
	s_delay_alu instid0(VALU_DEP_2) | instskip(NEXT) | instid1(VALU_DEP_2)
	v_div_scale_f32 v13, null, v2, v2, v9
	v_rcp_f32_e32 v14, v10
	v_div_scale_f32 v17, s3, v7, v2, v7
	s_delay_alu instid0(VALU_DEP_2) | instskip(SKIP_2) | instid1(TRANS32_DEP_3)
	v_rcp_f32_e32 v16, v13
	v_div_scale_f32 v5, vcc_lo, v6, v2, v6
	v_fma_f32 v0, -v3, v11, 1.0
	v_fma_f32 v1, -v4, v12, 1.0
	v_div_scale_f32 v19, s4, v8, v2, v8
	s_delay_alu instid0(TRANS32_DEP_2) | instskip(NEXT) | instid1(VALU_DEP_3)
	v_fma_f32 v18, -v10, v14, 1.0
	v_dual_fmac_f32 v11, v0, v11 :: v_dual_fmac_f32 v12, v1, v12
	s_delay_alu instid0(TRANS32_DEP_1) | instskip(NEXT) | instid1(VALU_DEP_3)
	v_fma_f32 v0, -v13, v16, 1.0
	v_fmac_f32_e32 v14, v18, v14
	v_div_scale_f32 v18, s5, v9, v2, v9
	s_delay_alu instid0(VALU_DEP_4) | instskip(NEXT) | instid1(VALU_DEP_4)
	v_mul_f32_e32 v21, v17, v12
	v_fmac_f32_e32 v16, v0, v16
	v_mul_f32_e32 v20, v5, v11
	s_delay_alu instid0(VALU_DEP_3) | instskip(NEXT) | instid1(VALU_DEP_3)
	v_fma_f32 v24, -v4, v21, v17
	v_dual_mul_f32 v22, v19, v14 :: v_dual_mul_f32 v25, v18, v16
	s_delay_alu instid0(VALU_DEP_3) | instskip(NEXT) | instid1(VALU_DEP_3)
	v_fma_f32 v23, -v3, v20, v5
	v_fmac_f32_e32 v21, v24, v12
	s_delay_alu instid0(VALU_DEP_3) | instskip(NEXT) | instid1(VALU_DEP_3)
	v_fma_f32 v26, -v10, v22, v19
	v_fmac_f32_e32 v20, v23, v11
	v_fma_f32 v23, -v13, v25, v18
	v_add_nc_u32_e32 v0, v229, v15
	s_delay_alu instid0(VALU_DEP_4)
	v_fmac_f32_e32 v22, v26, v14
	v_fma_f32 v4, -v4, v21, v17
	v_fma_f32 v3, -v3, v20, v5
	v_fmac_f32_e32 v25, v23, v16
	v_ashrrev_i32_e32 v1, 31, v0
	v_fma_f32 v5, -v10, v22, v19
	s_wait_alu 0xfffd
	v_div_fmas_f32 v10, v3, v11, v20
	s_mov_b32 vcc_lo, s4
	v_fma_f32 v3, -v13, v25, v18
	s_wait_alu 0xfffe
	v_div_fmas_f32 v11, v5, v14, v22
	s_mov_b32 vcc_lo, s3
	v_lshlrev_b64_e32 v[0:1], 3, v[0:1]
	s_wait_alu 0xfffe
	v_div_fmas_f32 v12, v4, v12, v21
	s_mov_b32 vcc_lo, s5
	v_div_fixup_f32 v5, v10, v2, v6
	s_wait_alu 0xfffe
	v_div_fmas_f32 v13, v3, v16, v25
	v_div_fixup_f32 v6, v11, v2, v8
	v_add_co_u32 v3, vcc_lo, s72, v0
	s_wait_alu 0xfffd
	v_add_co_ci_u32_e64 v4, null, s73, v1, vcc_lo
	v_div_fixup_f32 v0, v12, v2, v7
	v_div_fixup_f32 v1, v13, v2, v9
	scratch_load_b32 v2, off, off offset:868 ; 4-byte Folded Reload
	s_or_b32 s3, s39, exec_lo
	global_store_b64 v[3:4], v[5:6], off
	s_wait_loadcnt 0x0
	v_add_nc_u32_e32 v2, v2, v15
.LBB24_338:                             ;   in Loop: Header=BB24_9 Depth=1
	s_or_b32 exec_lo, exec_lo, s76
	s_delay_alu instid0(SALU_CYCLE_1)
	s_and_not1_b32 s4, s39, exec_lo
	s_wait_alu 0xfffe
	s_and_b32 s3, s3, exec_lo
	s_wait_alu 0xfffe
	s_or_b32 s3, s4, s3
.LBB24_339:                             ;   in Loop: Header=BB24_9 Depth=1
	s_or_b32 exec_lo, exec_lo, s75
	s_delay_alu instid0(SALU_CYCLE_1)
	s_and_not1_b32 s4, s39, exec_lo
	s_wait_alu 0xfffe
	s_and_b32 s3, s3, exec_lo
	s_wait_alu 0xfffe
	s_or_b32 s3, s4, s3
.LBB24_340:                             ;   in Loop: Header=BB24_9 Depth=1
	s_or_b32 exec_lo, exec_lo, s74
	s_delay_alu instid0(SALU_CYCLE_1)
	s_and_not1_b32 s4, s39, exec_lo
	s_wait_alu 0xfffe
	s_and_b32 s3, s3, exec_lo
	s_wait_alu 0xfffe
	s_or_b32 s3, s4, s3
.LBB24_341:                             ;   in Loop: Header=BB24_9 Depth=1
	s_or_b32 exec_lo, exec_lo, s56
	s_delay_alu instid0(SALU_CYCLE_1)
	s_and_not1_b32 s4, s39, exec_lo
	s_wait_alu 0xfffe
	s_and_b32 s3, s3, exec_lo
	s_wait_alu 0xfffe
	s_or_b32 s3, s4, s3
.LBB24_342:                             ;   in Loop: Header=BB24_9 Depth=1
	s_wait_alu 0xfffe
	s_or_b32 exec_lo, exec_lo, s6
	s_delay_alu instid0(SALU_CYCLE_1)
	s_and_not1_b32 s4, s39, exec_lo
	s_and_b32 s3, s3, exec_lo
	s_wait_alu 0xfffe
	s_or_b32 s3, s4, s3
.LBB24_343:                             ;   in Loop: Header=BB24_9 Depth=1
	s_wait_alu 0xfffe
	s_or_b32 exec_lo, exec_lo, s44
	s_delay_alu instid0(SALU_CYCLE_1)
	s_and_not1_b32 s4, s39, exec_lo
	s_and_b32 s3, s3, exec_lo
	s_wait_alu 0xfffe
	s_or_b32 s3, s4, s3
.LBB24_344:                             ;   in Loop: Header=BB24_9 Depth=1
	s_wait_alu 0xfffe
	s_or_b32 exec_lo, exec_lo, s1
	s_delay_alu instid0(SALU_CYCLE_1)
	s_and_not1_b32 s1, s39, exec_lo
	s_and_b32 s3, s3, exec_lo
	s_wait_alu 0xfffe
	s_or_b32 s3, s1, s3
.LBB24_345:                             ;   in Loop: Header=BB24_9 Depth=1
	s_wait_alu 0xfffe
	s_or_b32 exec_lo, exec_lo, s0
	s_delay_alu instid0(SALU_CYCLE_1)
	s_and_not1_b32 s0, s39, exec_lo
	s_and_b32 s1, s3, exec_lo
	s_wait_alu 0xfffe
	s_or_b32 s3, s0, s1
.LBB24_346:                             ;   in Loop: Header=BB24_9 Depth=1
	s_wait_alu 0xfffe
	s_or_b32 exec_lo, exec_lo, s51
	s_delay_alu instid0(SALU_CYCLE_1)
	s_and_not1_b32 s0, s39, exec_lo
	s_and_b32 s1, s3, exec_lo
	s_wait_alu 0xfffe
	s_or_b32 s3, s0, s1
.LBB24_347:                             ;   in Loop: Header=BB24_9 Depth=1
	s_wait_alu 0xfffe
	s_or_b32 exec_lo, exec_lo, s40
	s_delay_alu instid0(SALU_CYCLE_1)
	s_and_not1_b32 s0, s39, exec_lo
	s_and_b32 s1, s3, exec_lo
	s_wait_alu 0xfffe
	s_or_b32 s3, s0, s1
.LBB24_348:                             ;   in Loop: Header=BB24_9 Depth=1
	s_wait_alu 0xfffe
	s_or_b32 exec_lo, exec_lo, s41
	s_delay_alu instid0(SALU_CYCLE_1)
	s_and_not1_b32 s0, s39, exec_lo
	s_and_b32 s1, s3, exec_lo
	s_wait_alu 0xfffe
	s_or_b32 s3, s0, s1
.LBB24_349:                             ;   in Loop: Header=BB24_9 Depth=1
	s_wait_alu 0xfffe
	s_or_b32 exec_lo, exec_lo, s42
	s_delay_alu instid0(SALU_CYCLE_1)
	s_and_not1_b32 s0, s39, exec_lo
	s_and_b32 s1, s3, exec_lo
	s_wait_alu 0xfffe
	s_or_b32 s3, s0, s1
.LBB24_350:                             ;   in Loop: Header=BB24_9 Depth=1
	s_wait_alu 0xfffe
	s_or_b32 exec_lo, exec_lo, s43
	s_delay_alu instid0(SALU_CYCLE_1)
	s_and_not1_b32 s0, s39, exec_lo
	s_and_b32 s1, s3, exec_lo
	s_wait_alu 0xfffe
	s_or_b32 s3, s0, s1
.LBB24_351:                             ;   in Loop: Header=BB24_9 Depth=1
	s_wait_alu 0xfffe
	s_or_b32 exec_lo, exec_lo, s50
	s_delay_alu instid0(SALU_CYCLE_1)
	s_and_not1_b32 s0, s39, exec_lo
	s_and_b32 s1, s3, exec_lo
	s_wait_alu 0xfffe
	s_or_b32 s3, s0, s1
.LBB24_352:                             ;   in Loop: Header=BB24_9 Depth=1
	s_wait_alu 0xfffe
	s_or_b32 exec_lo, exec_lo, s30
	s_delay_alu instid0(SALU_CYCLE_1)
	s_and_not1_b32 s0, s39, exec_lo
	s_and_b32 s1, s3, exec_lo
	s_wait_alu 0xfffe
	s_or_b32 s39, s0, s1
.LBB24_353:                             ;   in Loop: Header=BB24_9 Depth=1
	s_or_b32 exec_lo, exec_lo, s33
.LBB24_354:                             ;   in Loop: Header=BB24_9 Depth=1
	s_wait_alu 0xfffe
	s_and_saveexec_b32 s0, s39
	s_cbranch_execz .LBB24_8
; %bb.355:                              ;   in Loop: Header=BB24_9 Depth=1
	v_ashrrev_i32_e32 v3, 31, v2
	s_delay_alu instid0(VALU_DEP_1) | instskip(NEXT) | instid1(VALU_DEP_1)
	v_lshlrev_b64_e32 v[2:3], 3, v[2:3]
	v_add_co_u32 v2, vcc_lo, s72, v2
	s_wait_alu 0xfffd
	s_delay_alu instid0(VALU_DEP_2)
	v_add_co_ci_u32_e64 v3, null, s73, v3, vcc_lo
	global_store_b64 v[2:3], v[0:1], off
	s_branch .LBB24_8
.LBB24_356:
	s_and_not1_b32 vcc_lo, exec_lo, s0
	s_delay_alu instid0(VALU_DEP_1)
	v_readlane_b32 s0, v255, 8
	s_add_nc_u64 s[4:5], s[58:59], 0xd0
	v_readlane_b32 s1, v255, 9
	s_wait_alu 0xfffe
	s_cbranch_vccnz .LBB24_436
; %bb.357:
	s_mov_b32 s30, s0
	s_abs_i32 s0, s98
	s_abs_i32 s3, s48
	s_wait_alu 0xfffe
	s_cvt_f32_u32 s1, s0
	s_sub_co_i32 s2, 0, s0
	v_mov_b32_e32 v1, s33
	s_wait_alu 0xfffe
	v_rcp_iflag_f32_e32 v0, s1
	s_delay_alu instid0(TRANS32_DEP_1) | instskip(SKIP_2) | instid1(SALU_CYCLE_2)
	v_readfirstlane_b32 s1, v0
	s_mul_f32 s1, s1, 0x4f7ffffe
	s_wait_alu 0xfffe
	s_cvt_u32_f32 s1, s1
	s_wait_alu 0xfffe
	s_delay_alu instid0(SALU_CYCLE_2)
	s_mul_i32 s2, s2, s1
	s_wait_alu 0xfffe
	s_mul_hi_u32 s2, s1, s2
	s_wait_alu 0xfffe
	s_add_co_i32 s1, s1, s2
	s_xor_b32 s2, s48, s98
	s_wait_alu 0xfffe
	s_mul_hi_u32 s1, s3, s1
	s_ashr_i32 s2, s2, 31
	s_wait_alu 0xfffe
	s_mul_i32 s6, s1, s0
	s_wait_alu 0xfffe
	s_sub_co_i32 s3, s3, s6
	s_add_co_i32 s6, s1, 1
	s_wait_alu 0xfffe
	s_sub_co_i32 s16, s3, s0
	s_cmp_ge_u32 s3, s0
	s_cselect_b32 s1, s6, s1
	s_cselect_b32 s3, s16, s3
	s_wait_alu 0xfffe
	s_add_co_i32 s6, s1, 1
	s_cmp_ge_u32 s3, s0
	s_wait_alu 0xfffe
	s_cselect_b32 s0, s6, s1
	s_abs_i32 s1, s97
	s_wait_alu 0xfffe
	s_xor_b32 s0, s0, s2
	s_cvt_f32_u32 s3, s1
	s_wait_alu 0xfffe
	s_sub_co_i32 s2, s0, s2
	s_sub_co_i32 s0, 0, s1
	s_wait_alu 0xfffe
	s_mul_i32 s6, s2, s98
	v_rcp_iflag_f32_e32 v0, s3
	s_wait_alu 0xfffe
	s_sub_co_i32 s6, s48, s6
	s_wait_alu 0xfffe
	s_abs_i32 s16, s6
	s_delay_alu instid0(TRANS32_DEP_1) | instskip(SKIP_2) | instid1(SALU_CYCLE_2)
	v_readfirstlane_b32 s3, v0
	s_mul_f32 s3, s3, 0x4f7ffffe
	s_wait_alu 0xfffe
	s_cvt_u32_f32 s3, s3
	s_wait_alu 0xfffe
	s_delay_alu instid0(SALU_CYCLE_2)
	s_mul_i32 s0, s0, s3
	s_wait_alu 0xfffe
	s_mul_hi_u32 s0, s3, s0
	s_wait_alu 0xfffe
	s_add_co_i32 s3, s3, s0
	s_wait_alu 0xfffe
	s_mul_hi_u32 s0, s16, s3
	s_xor_b32 s3, s6, s97
	s_wait_alu 0xfffe
	s_mul_i32 s17, s0, s1
	s_ashr_i32 s3, s3, 31
	s_sub_co_i32 s16, s16, s17
	s_add_co_i32 s17, s0, 1
	s_sub_co_i32 s20, s16, s1
	s_cmp_ge_u32 s16, s1
	s_cselect_b32 s0, s17, s0
	s_cselect_b32 s16, s20, s16
	s_wait_alu 0xfffe
	s_add_co_i32 s17, s0, 1
	s_cmp_ge_u32 s16, s1
	s_cselect_b32 s0, s17, s0
	s_abs_i32 s1, s96
	s_wait_alu 0xfffe
	s_xor_b32 s0, s0, s3
	s_cvt_f32_u32 s16, s1
	s_wait_alu 0xfffe
	s_sub_co_i32 s20, s0, s3
	s_sub_co_i32 s0, 0, s1
	s_mul_i32 s3, s20, s97
	v_rcp_iflag_f32_e32 v0, s16
	s_wait_alu 0xfffe
	s_sub_co_i32 s3, s6, s3
	s_wait_alu 0xfffe
	s_abs_i32 s6, s3
	s_delay_alu instid0(TRANS32_DEP_1) | instskip(SKIP_2) | instid1(SALU_CYCLE_2)
	v_readfirstlane_b32 s16, v0
	s_mul_f32 s16, s16, 0x4f7ffffe
	s_wait_alu 0xfffe
	s_cvt_u32_f32 s16, s16
	s_wait_alu 0xfffe
	s_delay_alu instid0(SALU_CYCLE_2)
	s_mul_i32 s0, s0, s16
	s_wait_alu 0xfffe
	s_mul_hi_u32 s0, s16, s0
	s_wait_alu 0xfffe
	s_add_co_i32 s16, s16, s0
	s_wait_alu 0xfffe
	s_mul_hi_u32 s0, s6, s16
	s_xor_b32 s16, s3, s96
	s_wait_alu 0xfffe
	s_mul_i32 s17, s0, s1
	s_ashr_i32 s16, s16, 31
	s_wait_alu 0xfffe
	s_sub_co_i32 s6, s6, s17
	s_add_co_i32 s17, s0, 1
	s_wait_alu 0xfffe
	s_sub_co_i32 s21, s6, s1
	s_cmp_ge_u32 s6, s1
	s_cselect_b32 s0, s17, s0
	s_cselect_b32 s6, s21, s6
	s_wait_alu 0xfffe
	s_add_co_i32 s17, s0, 1
	s_cmp_ge_u32 s6, s1
	s_wait_alu 0xfffe
	s_cselect_b32 s0, s17, s0
	s_mov_b32 s17, 0
	s_wait_alu 0xfffe
	s_xor_b32 s0, s0, s16
	s_wait_alu 0xfffe
	s_sub_co_i32 s0, s0, s16
	s_wait_alu 0xfffe
	s_mul_i32 s1, s0, s96
	s_wait_alu 0xfffe
	s_sub_co_i32 s1, s3, s1
	s_wait_alu 0xfffe
	s_abs_i32 s16, s1
	s_ashr_i32 s1, s1, 31
	s_wait_alu 0xfffe
	s_mul_u64 s[40:41], s[16:17], s[52:53]
	s_xor_b32 s1, s1, s55
	s_wait_alu 0xfffe
	s_mul_i32 s3, s41, s49
	s_add_co_i32 s6, s41, 1
	s_wait_alu 0xfffe
	s_sub_co_i32 s3, s16, s3
	s_wait_alu 0xfffe
	s_sub_co_i32 s16, s3, s49
	s_cmp_ge_u32 s3, s49
	s_cselect_b32 s6, s6, s41
	s_wait_alu 0xfffe
	s_cselect_b32 s3, s16, s3
	s_add_co_i32 s16, s6, 1
	s_wait_alu 0xfffe
	s_cmp_ge_u32 s3, s49
	s_cselect_b32 s3, s16, s6
	s_abs_i32 s21, s30
	s_wait_alu 0xfffe
	s_xor_b32 s3, s3, s1
	s_cvt_f32_u32 s6, s21
	s_wait_alu 0xfffe
	s_sub_co_i32 s1, s3, s1
	s_cmp_eq_u64 s[18:19], 0
	v_rcp_iflag_f32_e32 v0, s6
	s_delay_alu instid0(TRANS32_DEP_1)
	v_readfirstlane_b32 s16, v0
	s_cbranch_scc1 .LBB24_359
; %bb.358:
	v_readlane_b32 s3, v255, 0
	v_mov_b32_e32 v0, 0
	s_mul_i32 s3, s2, s3
	s_wait_alu 0xfffe
	s_add_co_i32 s40, s1, s3
	s_wait_alu 0xfffe
	s_ashr_i32 s41, s40, 31
	s_wait_alu 0xfffe
	s_lshl_b64 s[40:41], s[40:41], 2
	s_wait_alu 0xfffe
	s_add_nc_u64 s[18:19], s[18:19], s[40:41]
	global_load_b32 v0, v0, s[18:19]
	s_wait_loadcnt 0x0
	v_ashrrev_i32_e32 v1, 31, v0
	s_delay_alu instid0(VALU_DEP_1) | instskip(NEXT) | instid1(VALU_DEP_1)
	v_lshrrev_b32_e32 v1, 26, v1
	v_add_nc_u32_e32 v0, v0, v1
	s_delay_alu instid0(VALU_DEP_1) | instskip(NEXT) | instid1(VALU_DEP_1)
	v_ashrrev_i32_e32 v0, 6, v0
	v_min_i32_e32 v1, s33, v0
.LBB24_359:
	v_bfe_u32 v0, v114, 1, 9
	s_lshl_b32 s18, s0, 1
	s_wait_alu 0xfffe
	s_lshl_b32 s6, s1, 5
	v_or_b32_e32 v3, s18, v113
	s_mul_i32 s3, s20, s94
	s_wait_alu 0xfffe
	v_add_nc_u32_e32 v2, s6, v0
	s_mul_i32 s0, s2, s47
	s_add_co_i32 s3, s18, s3
	s_wait_alu 0xfffe
	s_ashr_i32 s1, s0, 31
	s_mul_i32 s18, s3, s46
	s_wait_alu 0xfffe
	s_add_nc_u64 s[8:9], s[8:9], s[0:1]
	v_cmp_le_i32_e64 s0, s24, v2
	v_cmp_le_i32_e64 s1, s94, v3
	v_readlane_b32 s3, v255, 10
	v_lshl_add_u32 v0, v229, 2, 0
	s_ashr_i32 s19, s18, 31
	v_cmp_gt_i32_e32 vcc_lo, s94, v3
	s_or_b32 s0, s0, s1
	s_and_b32 s3, 0xffff, s3
	s_wait_alu 0xfffe
	s_and_saveexec_b32 s1, s0
	s_wait_alu 0xfffe
	s_xor_b32 s0, exec_lo, s1
; %bb.360:
	v_mad_u32_u24 v2, 0x110, v149, v0
	v_mov_b32_e32 v3, 0
	ds_store_2addr_b32 v2, v3, v3 offset1:32
                                        ; implicit-def: $vgpr2
; %bb.361:
	s_wait_alu 0xfffe
	s_or_saveexec_b32 s1, s0
	v_lshlrev_b32_e32 v150, 2, v229
	v_readlane_b32 s27, v255, 7
	s_add_nc_u64 s[8:9], s[8:9], s[18:19]
	s_mul_i32 s18, s3, 0x10001
	s_wait_alu 0xfffe
	s_xor_b32 exec_lo, exec_lo, s1
	s_cbranch_execz .LBB24_363
; %bb.362:
	v_mul_lo_u32 v2, v2, s7
	v_mul_lo_u32 v3, v113, s27
	s_delay_alu instid0(VALU_DEP_1) | instskip(NEXT) | instid1(VALU_DEP_1)
	v_add3_u32 v2, v2, v3, v229
	v_ashrrev_i32_e32 v3, 31, v2
	s_delay_alu instid0(VALU_DEP_1) | instskip(NEXT) | instid1(VALU_DEP_1)
	v_lshlrev_b64_e32 v[2:3], 3, v[2:3]
	v_add_co_u32 v2, s0, s8, v2
	s_wait_alu 0xf1ff
	s_delay_alu instid0(VALU_DEP_2)
	v_add_co_ci_u32_e64 v3, null, s9, v3, s0
	s_clause 0x1
	global_load_b64 v[4:5], v[2:3], off
	global_load_b64 v[2:3], v[2:3], off offset:256
	s_wait_loadcnt 0x1
	v_cvt_f16_f32_e32 v4, v4
	s_wait_loadcnt 0x0
	v_cvt_f16_f32_e32 v2, v2
	v_cvt_f16_f32_e32 v3, v3
	v_cvt_f16_f32_e32 v5, v5
	s_delay_alu instid0(VALU_DEP_2) | instskip(SKIP_3) | instid1(VALU_DEP_2)
	v_pack_b32_f16 v2, v2, v3
	scratch_load_b32 v3, off, off offset:296 ; 4-byte Folded Reload
	v_pack_b32_f16 v4, v4, v5
	v_pk_mul_f16 v2, v2, s18
	v_pk_mul_f16 v4, v4, s18
	s_wait_loadcnt 0x0
	v_add3_u32 v3, 0, v3, v150
	ds_store_2addr_b32 v3, v4, v2 offset1:32
.LBB24_363:
	s_or_b32 exec_lo, exec_lo, s1
	v_lshrrev_b32_e32 v2, 1, v193
	s_xor_b32 s3, vcc_lo, -1
	s_delay_alu instid0(VALU_DEP_1) | instskip(NEXT) | instid1(VALU_DEP_1)
	v_add_nc_u32_e32 v2, s6, v2
	v_cmp_le_i32_e64 s0, s24, v2
	s_wait_alu 0xfffe
	s_or_b32 s0, s0, s3
	s_wait_alu 0xfffe
	s_and_saveexec_b32 s1, s0
	s_wait_alu 0xfffe
	s_xor_b32 s0, exec_lo, s1
; %bb.364:
	v_mad_u32_u24 v2, 0x110, v193, v0
	v_mov_b32_e32 v3, 0
	ds_store_2addr_b32 v2, v3, v3 offset1:32
                                        ; implicit-def: $vgpr2
; %bb.365:
	s_wait_alu 0xfffe
	s_and_not1_saveexec_b32 s0, s0
	s_cbranch_execz .LBB24_367
; %bb.366:
	v_mul_lo_u32 v2, v2, s7
	v_mul_lo_u32 v3, v113, s27
	v_mul_u32_u24_e32 v6, 0x110, v193
	s_delay_alu instid0(VALU_DEP_2) | instskip(NEXT) | instid1(VALU_DEP_1)
	v_add3_u32 v2, v2, v3, v229
	v_ashrrev_i32_e32 v3, 31, v2
	s_delay_alu instid0(VALU_DEP_1) | instskip(NEXT) | instid1(VALU_DEP_1)
	v_lshlrev_b64_e32 v[2:3], 3, v[2:3]
	v_add_co_u32 v2, vcc_lo, s8, v2
	s_wait_alu 0xfffd
	s_delay_alu instid0(VALU_DEP_2)
	v_add_co_ci_u32_e64 v3, null, s9, v3, vcc_lo
	s_clause 0x1
	global_load_b64 v[4:5], v[2:3], off
	global_load_b64 v[2:3], v[2:3], off offset:256
	s_wait_loadcnt 0x1
	v_cvt_f16_f32_e32 v4, v4
	v_cvt_f16_f32_e32 v5, v5
	s_wait_loadcnt 0x0
	v_cvt_f16_f32_e32 v2, v2
	v_cvt_f16_f32_e32 v3, v3
	s_delay_alu instid0(VALU_DEP_3) | instskip(NEXT) | instid1(VALU_DEP_2)
	v_pack_b32_f16 v4, v4, v5
	v_pack_b32_f16 v2, v2, v3
	v_add3_u32 v3, 0, v6, v150
	s_delay_alu instid0(VALU_DEP_3) | instskip(NEXT) | instid1(VALU_DEP_3)
	v_pk_mul_f16 v4, v4, s18
	v_pk_mul_f16 v2, v2, s18
	ds_store_2addr_b32 v3, v4, v2 offset1:32
.LBB24_367:
	s_wait_alu 0xfffe
	s_or_b32 exec_lo, exec_lo, s0
	v_lshrrev_b32_e32 v2, 1, v220
	s_delay_alu instid0(VALU_DEP_1) | instskip(NEXT) | instid1(VALU_DEP_1)
	v_add_nc_u32_e32 v2, s6, v2
	v_cmp_le_i32_e32 vcc_lo, s24, v2
	s_or_b32 s0, vcc_lo, s3
	s_wait_alu 0xfffe
	s_and_saveexec_b32 s1, s0
	s_wait_alu 0xfffe
	s_xor_b32 s0, exec_lo, s1
; %bb.368:
	v_mad_u32_u24 v2, 0x110, v220, v0
	v_mov_b32_e32 v3, 0
	ds_store_2addr_b32 v2, v3, v3 offset1:32
                                        ; implicit-def: $vgpr2
; %bb.369:
	s_wait_alu 0xfffe
	s_and_not1_saveexec_b32 s0, s0
	s_cbranch_execz .LBB24_371
; %bb.370:
	v_mul_lo_u32 v2, v2, s7
	v_mul_lo_u32 v3, v113, s27
	v_mul_u32_u24_e32 v6, 0x110, v220
	s_delay_alu instid0(VALU_DEP_2) | instskip(NEXT) | instid1(VALU_DEP_1)
	v_add3_u32 v2, v2, v3, v229
	v_ashrrev_i32_e32 v3, 31, v2
	s_delay_alu instid0(VALU_DEP_1) | instskip(NEXT) | instid1(VALU_DEP_1)
	v_lshlrev_b64_e32 v[2:3], 3, v[2:3]
	v_add_co_u32 v2, vcc_lo, s8, v2
	s_wait_alu 0xfffd
	s_delay_alu instid0(VALU_DEP_2)
	v_add_co_ci_u32_e64 v3, null, s9, v3, vcc_lo
	s_clause 0x1
	global_load_b64 v[4:5], v[2:3], off
	global_load_b64 v[2:3], v[2:3], off offset:256
	s_wait_loadcnt 0x1
	v_cvt_f16_f32_e32 v4, v4
	v_cvt_f16_f32_e32 v5, v5
	s_wait_loadcnt 0x0
	v_cvt_f16_f32_e32 v2, v2
	v_cvt_f16_f32_e32 v3, v3
	s_delay_alu instid0(VALU_DEP_3) | instskip(NEXT) | instid1(VALU_DEP_2)
	v_pack_b32_f16 v4, v4, v5
	v_pack_b32_f16 v2, v2, v3
	v_add3_u32 v3, 0, v6, v150
	s_delay_alu instid0(VALU_DEP_3) | instskip(NEXT) | instid1(VALU_DEP_3)
	v_pk_mul_f16 v4, v4, s18
	v_pk_mul_f16 v2, v2, s18
	ds_store_2addr_b32 v3, v4, v2 offset1:32
.LBB24_371:
	s_wait_alu 0xfffe
	s_or_b32 exec_lo, exec_lo, s0
	v_lshrrev_b32_e32 v2, 1, v237
	s_delay_alu instid0(VALU_DEP_1) | instskip(NEXT) | instid1(VALU_DEP_1)
	v_add_nc_u32_e32 v2, s6, v2
	v_cmp_le_i32_e32 vcc_lo, s24, v2
	s_or_b32 s0, vcc_lo, s3
	;; [unrolled: 51-line block ×6, first 2 shown]
	s_wait_alu 0xfffe
	s_and_saveexec_b32 s1, s0
	s_wait_alu 0xfffe
	s_xor_b32 s0, exec_lo, s1
; %bb.388:
	v_mad_u32_u24 v2, 0x110, v232, v0
	v_mov_b32_e32 v3, 0
	ds_store_2addr_b32 v2, v3, v3 offset1:32
                                        ; implicit-def: $vgpr2
; %bb.389:
	s_wait_alu 0xfffe
	s_and_not1_saveexec_b32 s0, s0
	s_cbranch_execz .LBB24_391
; %bb.390:
	v_mul_lo_u32 v2, v2, s7
	v_mul_lo_u32 v3, v113, s27
	v_mul_u32_u24_e32 v6, 0x110, v232
	s_delay_alu instid0(VALU_DEP_2) | instskip(NEXT) | instid1(VALU_DEP_1)
	v_add3_u32 v2, v2, v3, v229
	v_ashrrev_i32_e32 v3, 31, v2
	s_delay_alu instid0(VALU_DEP_1) | instskip(NEXT) | instid1(VALU_DEP_1)
	v_lshlrev_b64_e32 v[2:3], 3, v[2:3]
	v_add_co_u32 v2, vcc_lo, s8, v2
	s_wait_alu 0xfffd
	s_delay_alu instid0(VALU_DEP_2)
	v_add_co_ci_u32_e64 v3, null, s9, v3, vcc_lo
	s_clause 0x1
	global_load_b64 v[4:5], v[2:3], off
	global_load_b64 v[2:3], v[2:3], off offset:256
	s_wait_loadcnt 0x1
	v_cvt_f16_f32_e32 v4, v4
	v_cvt_f16_f32_e32 v5, v5
	s_wait_loadcnt 0x0
	v_cvt_f16_f32_e32 v2, v2
	v_cvt_f16_f32_e32 v3, v3
	s_delay_alu instid0(VALU_DEP_3) | instskip(NEXT) | instid1(VALU_DEP_2)
	v_pack_b32_f16 v4, v4, v5
	v_pack_b32_f16 v2, v2, v3
	v_add3_u32 v3, 0, v6, v150
	s_delay_alu instid0(VALU_DEP_3) | instskip(NEXT) | instid1(VALU_DEP_3)
	v_pk_mul_f16 v4, v4, s18
	v_pk_mul_f16 v2, v2, s18
	ds_store_2addr_b32 v3, v4, v2 offset1:32
.LBB24_391:
	s_wait_alu 0xfffe
	s_or_b32 exec_lo, exec_lo, s0
	v_add_nc_u32_e32 v2, 32, v149
	s_delay_alu instid0(VALU_DEP_1) | instskip(NEXT) | instid1(VALU_DEP_1)
	v_lshrrev_b32_e32 v2, 1, v2
	v_add_nc_u32_e32 v2, s6, v2
	s_delay_alu instid0(VALU_DEP_1)
	v_cmp_le_i32_e32 vcc_lo, s24, v2
	s_or_b32 s0, vcc_lo, s3
	s_wait_alu 0xfffe
	s_and_saveexec_b32 s1, s0
	s_wait_alu 0xfffe
	s_xor_b32 s0, exec_lo, s1
; %bb.392:
	v_dual_mov_b32 v3, 0 :: v_dual_add_nc_u32 v2, 32, v149
	s_delay_alu instid0(VALU_DEP_1)
	v_mad_u32_u24 v2, 0x110, v2, v0
	ds_store_2addr_b32 v2, v3, v3 offset1:32
                                        ; implicit-def: $vgpr2
; %bb.393:
	s_wait_alu 0xfffe
	s_and_not1_saveexec_b32 s0, s0
	s_cbranch_execz .LBB24_395
; %bb.394:
	v_mul_lo_u32 v2, v2, s7
	v_mul_lo_u32 v3, v113, s27
	v_add_nc_u32_e32 v6, 32, v149
	s_delay_alu instid0(VALU_DEP_1) | instskip(NEXT) | instid1(VALU_DEP_3)
	v_mul_u32_u24_e32 v6, 0x110, v6
	v_add3_u32 v2, v2, v3, v229
	s_delay_alu instid0(VALU_DEP_1) | instskip(NEXT) | instid1(VALU_DEP_1)
	v_ashrrev_i32_e32 v3, 31, v2
	v_lshlrev_b64_e32 v[2:3], 3, v[2:3]
	s_delay_alu instid0(VALU_DEP_1) | instskip(SKIP_1) | instid1(VALU_DEP_2)
	v_add_co_u32 v2, vcc_lo, s8, v2
	s_wait_alu 0xfffd
	v_add_co_ci_u32_e64 v3, null, s9, v3, vcc_lo
	s_clause 0x1
	global_load_b64 v[4:5], v[2:3], off
	global_load_b64 v[2:3], v[2:3], off offset:256
	s_wait_loadcnt 0x1
	v_cvt_f16_f32_e32 v4, v4
	v_cvt_f16_f32_e32 v5, v5
	s_wait_loadcnt 0x0
	v_cvt_f16_f32_e32 v2, v2
	v_cvt_f16_f32_e32 v3, v3
	s_delay_alu instid0(VALU_DEP_3) | instskip(NEXT) | instid1(VALU_DEP_2)
	v_pack_b32_f16 v4, v4, v5
	v_pack_b32_f16 v2, v2, v3
	v_add3_u32 v3, 0, v6, v150
	s_delay_alu instid0(VALU_DEP_3) | instskip(NEXT) | instid1(VALU_DEP_3)
	v_pk_mul_f16 v4, v4, s18
	v_pk_mul_f16 v2, v2, s18
	ds_store_2addr_b32 v3, v4, v2 offset1:32
.LBB24_395:
	s_wait_alu 0xfffe
	s_or_b32 exec_lo, exec_lo, s0
	v_add_nc_u32_e32 v2, 36, v149
	s_delay_alu instid0(VALU_DEP_1) | instskip(NEXT) | instid1(VALU_DEP_1)
	v_lshrrev_b32_e32 v2, 1, v2
	v_add_nc_u32_e32 v2, s6, v2
	s_delay_alu instid0(VALU_DEP_1)
	v_cmp_le_i32_e32 vcc_lo, s24, v2
	s_or_b32 s0, vcc_lo, s3
	s_wait_alu 0xfffe
	s_and_saveexec_b32 s1, s0
	s_wait_alu 0xfffe
	s_xor_b32 s0, exec_lo, s1
; %bb.396:
	v_dual_mov_b32 v3, 0 :: v_dual_add_nc_u32 v2, 36, v149
	s_delay_alu instid0(VALU_DEP_1)
	v_mad_u32_u24 v2, 0x110, v2, v0
	ds_store_2addr_b32 v2, v3, v3 offset1:32
                                        ; implicit-def: $vgpr2
; %bb.397:
	s_wait_alu 0xfffe
	s_and_not1_saveexec_b32 s0, s0
	s_cbranch_execz .LBB24_399
; %bb.398:
	v_mul_lo_u32 v2, v2, s7
	v_mul_lo_u32 v3, v113, s27
	v_add_nc_u32_e32 v6, 36, v149
	s_delay_alu instid0(VALU_DEP_1) | instskip(NEXT) | instid1(VALU_DEP_3)
	v_mul_u32_u24_e32 v6, 0x110, v6
	v_add3_u32 v2, v2, v3, v229
	s_delay_alu instid0(VALU_DEP_1) | instskip(NEXT) | instid1(VALU_DEP_1)
	v_ashrrev_i32_e32 v3, 31, v2
	v_lshlrev_b64_e32 v[2:3], 3, v[2:3]
	s_delay_alu instid0(VALU_DEP_1) | instskip(SKIP_1) | instid1(VALU_DEP_2)
	v_add_co_u32 v2, vcc_lo, s8, v2
	s_wait_alu 0xfffd
	v_add_co_ci_u32_e64 v3, null, s9, v3, vcc_lo
	s_clause 0x1
	global_load_b64 v[4:5], v[2:3], off
	global_load_b64 v[2:3], v[2:3], off offset:256
	s_wait_loadcnt 0x1
	v_cvt_f16_f32_e32 v4, v4
	v_cvt_f16_f32_e32 v5, v5
	s_wait_loadcnt 0x0
	v_cvt_f16_f32_e32 v2, v2
	v_cvt_f16_f32_e32 v3, v3
	s_delay_alu instid0(VALU_DEP_3) | instskip(NEXT) | instid1(VALU_DEP_2)
	v_pack_b32_f16 v4, v4, v5
	v_pack_b32_f16 v2, v2, v3
	v_add3_u32 v3, 0, v6, v150
	s_delay_alu instid0(VALU_DEP_3) | instskip(NEXT) | instid1(VALU_DEP_3)
	v_pk_mul_f16 v4, v4, s18
	v_pk_mul_f16 v2, v2, s18
	ds_store_2addr_b32 v3, v4, v2 offset1:32
.LBB24_399:
	;; [unrolled: 55-line block ×4, first 2 shown]
	s_wait_alu 0xfffe
	s_or_b32 exec_lo, exec_lo, s0
	v_add_nc_u32_e32 v2, 48, v149
	s_delay_alu instid0(VALU_DEP_1) | instskip(NEXT) | instid1(VALU_DEP_1)
	v_lshrrev_b32_e32 v2, 1, v2
	v_add_nc_u32_e32 v2, s6, v2
	s_delay_alu instid0(VALU_DEP_1)
	v_cmp_le_i32_e32 vcc_lo, s24, v2
	s_or_b32 s0, vcc_lo, s3
	s_wait_alu 0xfffe
	s_and_saveexec_b32 s1, s0
	s_wait_alu 0xfffe
	s_xor_b32 s0, exec_lo, s1
; %bb.408:
	v_dual_mov_b32 v3, 0 :: v_dual_add_nc_u32 v2, 48, v149
	s_delay_alu instid0(VALU_DEP_1)
	v_mad_u32_u24 v2, 0x110, v2, v0
	ds_store_2addr_b32 v2, v3, v3 offset1:32
                                        ; implicit-def: $vgpr2
; %bb.409:
	s_wait_alu 0xfffe
	s_or_saveexec_b32 s1, s0
	s_mul_f32 s0, s16, 0x4f7ffffe
	s_wait_alu 0xfffe
	s_xor_b32 exec_lo, exec_lo, s1
	s_cbranch_execz .LBB24_411
; %bb.410:
	v_mul_lo_u32 v2, v2, s7
	v_mul_lo_u32 v3, v113, s27
	v_add_nc_u32_e32 v6, 48, v149
	s_delay_alu instid0(VALU_DEP_1) | instskip(NEXT) | instid1(VALU_DEP_3)
	v_mul_u32_u24_e32 v6, 0x110, v6
	v_add3_u32 v2, v2, v3, v229
	s_delay_alu instid0(VALU_DEP_1) | instskip(NEXT) | instid1(VALU_DEP_1)
	v_ashrrev_i32_e32 v3, 31, v2
	v_lshlrev_b64_e32 v[2:3], 3, v[2:3]
	s_delay_alu instid0(VALU_DEP_1) | instskip(SKIP_1) | instid1(VALU_DEP_2)
	v_add_co_u32 v2, vcc_lo, s8, v2
	s_wait_alu 0xfffd
	v_add_co_ci_u32_e64 v3, null, s9, v3, vcc_lo
	s_clause 0x1
	global_load_b64 v[4:5], v[2:3], off
	global_load_b64 v[2:3], v[2:3], off offset:256
	s_wait_loadcnt 0x1
	v_cvt_f16_f32_e32 v4, v4
	v_cvt_f16_f32_e32 v5, v5
	s_wait_loadcnt 0x0
	v_cvt_f16_f32_e32 v2, v2
	v_cvt_f16_f32_e32 v3, v3
	s_delay_alu instid0(VALU_DEP_3) | instskip(NEXT) | instid1(VALU_DEP_2)
	v_pack_b32_f16 v4, v4, v5
	v_pack_b32_f16 v2, v2, v3
	v_add3_u32 v3, 0, v6, v150
	s_delay_alu instid0(VALU_DEP_3) | instskip(NEXT) | instid1(VALU_DEP_3)
	v_pk_mul_f16 v4, v4, s18
	v_pk_mul_f16 v2, v2, s18
	ds_store_2addr_b32 v3, v4, v2 offset1:32
.LBB24_411:
	s_or_b32 exec_lo, exec_lo, s1
	v_add_nc_u32_e32 v2, 52, v149
	s_cvt_u32_f32 s0, s0
	s_sub_co_i32 s1, 0, s21
	s_delay_alu instid0(VALU_DEP_1) | instskip(NEXT) | instid1(VALU_DEP_1)
	v_lshrrev_b32_e32 v2, 1, v2
	v_add_nc_u32_e32 v2, s6, v2
	s_delay_alu instid0(VALU_DEP_1)
	v_cmp_le_i32_e32 vcc_lo, s24, v2
	s_or_b32 s16, vcc_lo, s3
	s_wait_alu 0xfffe
	s_and_saveexec_b32 s19, s16
	s_wait_alu 0xfffe
	s_xor_b32 s16, exec_lo, s19
; %bb.412:
	v_dual_mov_b32 v3, 0 :: v_dual_add_nc_u32 v2, 52, v149
	s_delay_alu instid0(VALU_DEP_1)
	v_mad_u32_u24 v2, 0x110, v2, v0
	ds_store_2addr_b32 v2, v3, v3 offset1:32
                                        ; implicit-def: $vgpr2
; %bb.413:
	s_wait_alu 0xfffe
	s_or_saveexec_b32 s16, s16
	s_mul_i32 s1, s1, s0
	s_wait_alu 0xfffe
	s_xor_b32 exec_lo, exec_lo, s16
	s_cbranch_execz .LBB24_415
; %bb.414:
	v_mul_lo_u32 v2, v2, s7
	v_mul_lo_u32 v3, v113, s27
	v_add_nc_u32_e32 v6, 52, v149
	s_delay_alu instid0(VALU_DEP_1) | instskip(NEXT) | instid1(VALU_DEP_3)
	v_mul_u32_u24_e32 v6, 0x110, v6
	v_add3_u32 v2, v2, v3, v229
	s_delay_alu instid0(VALU_DEP_1) | instskip(NEXT) | instid1(VALU_DEP_1)
	v_ashrrev_i32_e32 v3, 31, v2
	v_lshlrev_b64_e32 v[2:3], 3, v[2:3]
	s_delay_alu instid0(VALU_DEP_1) | instskip(SKIP_1) | instid1(VALU_DEP_2)
	v_add_co_u32 v2, vcc_lo, s8, v2
	s_wait_alu 0xfffd
	v_add_co_ci_u32_e64 v3, null, s9, v3, vcc_lo
	s_clause 0x1
	global_load_b64 v[4:5], v[2:3], off
	global_load_b64 v[2:3], v[2:3], off offset:256
	s_wait_loadcnt 0x1
	v_cvt_f16_f32_e32 v4, v4
	v_cvt_f16_f32_e32 v5, v5
	s_wait_loadcnt 0x0
	v_cvt_f16_f32_e32 v2, v2
	v_cvt_f16_f32_e32 v3, v3
	s_delay_alu instid0(VALU_DEP_3) | instskip(NEXT) | instid1(VALU_DEP_2)
	v_pack_b32_f16 v4, v4, v5
	v_pack_b32_f16 v2, v2, v3
	v_add3_u32 v3, 0, v6, v150
	s_delay_alu instid0(VALU_DEP_3) | instskip(NEXT) | instid1(VALU_DEP_3)
	v_pk_mul_f16 v4, v4, s18
	v_pk_mul_f16 v2, v2, s18
	ds_store_2addr_b32 v3, v4, v2 offset1:32
.LBB24_415:
	s_or_b32 exec_lo, exec_lo, s16
	v_add_nc_u32_e32 v2, 56, v149
	s_mul_hi_u32 s19, s0, s1
	s_delay_alu instid0(VALU_DEP_1) | instskip(NEXT) | instid1(VALU_DEP_1)
	v_lshrrev_b32_e32 v2, 1, v2
	v_add_nc_u32_e32 v2, s6, v2
	s_delay_alu instid0(VALU_DEP_1)
	v_cmp_le_i32_e32 vcc_lo, s24, v2
	s_or_b32 s1, vcc_lo, s3
	s_wait_alu 0xfffe
	s_and_saveexec_b32 s16, s1
	s_wait_alu 0xfffe
	s_xor_b32 s1, exec_lo, s16
; %bb.416:
	v_dual_mov_b32 v3, 0 :: v_dual_add_nc_u32 v2, 56, v149
	s_delay_alu instid0(VALU_DEP_1)
	v_mad_u32_u24 v2, 0x110, v2, v0
	ds_store_2addr_b32 v2, v3, v3 offset1:32
                                        ; implicit-def: $vgpr2
; %bb.417:
	s_wait_alu 0xfffe
	s_or_saveexec_b32 s1, s1
	s_abs_i32 s16, s2
	s_add_co_i32 s0, s0, s19
	s_wait_alu 0xfffe
	s_xor_b32 exec_lo, exec_lo, s1
	s_cbranch_execz .LBB24_419
; %bb.418:
	v_mul_lo_u32 v2, v2, s7
	v_mul_lo_u32 v3, v113, s27
	v_add_nc_u32_e32 v6, 56, v149
	s_delay_alu instid0(VALU_DEP_1) | instskip(NEXT) | instid1(VALU_DEP_3)
	v_mul_u32_u24_e32 v6, 0x110, v6
	v_add3_u32 v2, v2, v3, v229
	s_delay_alu instid0(VALU_DEP_1) | instskip(NEXT) | instid1(VALU_DEP_1)
	v_ashrrev_i32_e32 v3, 31, v2
	v_lshlrev_b64_e32 v[2:3], 3, v[2:3]
	s_delay_alu instid0(VALU_DEP_1) | instskip(SKIP_1) | instid1(VALU_DEP_2)
	v_add_co_u32 v2, vcc_lo, s8, v2
	s_wait_alu 0xfffd
	v_add_co_ci_u32_e64 v3, null, s9, v3, vcc_lo
	s_clause 0x1
	global_load_b64 v[4:5], v[2:3], off
	global_load_b64 v[2:3], v[2:3], off offset:256
	s_wait_loadcnt 0x1
	v_cvt_f16_f32_e32 v4, v4
	v_cvt_f16_f32_e32 v5, v5
	s_wait_loadcnt 0x0
	v_cvt_f16_f32_e32 v2, v2
	v_cvt_f16_f32_e32 v3, v3
	s_delay_alu instid0(VALU_DEP_3) | instskip(NEXT) | instid1(VALU_DEP_2)
	v_pack_b32_f16 v4, v4, v5
	v_pack_b32_f16 v2, v2, v3
	v_add3_u32 v3, 0, v6, v150
	s_delay_alu instid0(VALU_DEP_3) | instskip(NEXT) | instid1(VALU_DEP_3)
	v_pk_mul_f16 v4, v4, s18
	v_pk_mul_f16 v2, v2, s18
	ds_store_2addr_b32 v3, v4, v2 offset1:32
.LBB24_419:
	s_or_b32 exec_lo, exec_lo, s1
	v_add_nc_u32_e32 v2, 60, v149
	s_mov_b32 s1, s17
	s_delay_alu instid0(VALU_DEP_1) | instskip(NEXT) | instid1(VALU_DEP_1)
	v_lshrrev_b32_e32 v2, 1, v2
	v_add_nc_u32_e32 v2, s6, v2
	s_delay_alu instid0(VALU_DEP_1)
	v_cmp_le_i32_e32 vcc_lo, s24, v2
	s_or_b32 s3, vcc_lo, s3
	s_wait_alu 0xfffe
	s_and_saveexec_b32 s19, s3
	s_wait_alu 0xfffe
	s_xor_b32 s3, exec_lo, s19
	s_cbranch_execz .LBB24_421
; %bb.420:
	v_add_nc_u32_e32 v2, 60, v149
                                        ; implicit-def: $vgpr113
	s_delay_alu instid0(VALU_DEP_1)
	v_mad_u32_u24 v0, 0x110, v2, v0
	v_mov_b32_e32 v2, 0
	ds_store_2addr_b32 v0, v2, v2 offset1:32
                                        ; implicit-def: $vgpr2
.LBB24_421:
	s_wait_alu 0xfffe
	s_or_saveexec_b32 s19, s3
	s_mul_u64 s[0:1], s[16:17], s[0:1]
	s_ashr_i32 s3, s2, 31
	s_wait_alu 0xfffe
	s_xor_b32 exec_lo, exec_lo, s19
	s_cbranch_execz .LBB24_423
; %bb.422:
	v_mul_lo_u32 v0, v2, s7
	v_mul_lo_u32 v2, v113, s27
	s_delay_alu instid0(VALU_DEP_1) | instskip(NEXT) | instid1(VALU_DEP_1)
	v_add3_u32 v2, v0, v2, v229
	v_ashrrev_i32_e32 v3, 31, v2
	s_delay_alu instid0(VALU_DEP_1) | instskip(NEXT) | instid1(VALU_DEP_1)
	v_lshlrev_b64_e32 v[2:3], 3, v[2:3]
	v_add_co_u32 v2, vcc_lo, s8, v2
	s_wait_alu 0xfffd
	s_delay_alu instid0(VALU_DEP_2)
	v_add_co_ci_u32_e64 v3, null, s9, v3, vcc_lo
	s_clause 0x1
	global_load_b64 v[4:5], v[2:3], off
	global_load_b64 v[2:3], v[2:3], off offset:256
	s_wait_loadcnt 0x1
	v_cvt_f16_f32_e32 v0, v4
	v_cvt_f16_f32_e32 v4, v5
	s_wait_loadcnt 0x0
	v_cvt_f16_f32_e32 v2, v2
	v_cvt_f16_f32_e32 v3, v3
	v_add_nc_u32_e32 v5, 60, v149
	v_pack_b32_f16 v0, v0, v4
	s_delay_alu instid0(VALU_DEP_3) | instskip(NEXT) | instid1(VALU_DEP_3)
	v_pack_b32_f16 v2, v2, v3
	v_mul_u32_u24_e32 v5, 0x110, v5
	s_delay_alu instid0(VALU_DEP_3) | instskip(NEXT) | instid1(VALU_DEP_3)
	v_pk_mul_f16 v0, v0, s18
	v_pk_mul_f16 v2, v2, s18
	s_delay_alu instid0(VALU_DEP_3)
	v_add3_u32 v3, 0, v5, v150
	ds_store_2addr_b32 v3, v0, v2 offset1:32
.LBB24_423:
	s_or_b32 exec_lo, exec_lo, s19
	v_lshrrev_b32_e32 v0, 2, v229
	v_and_b32_e32 v151, 15, v229
	v_mad_u32_u24 v3, 0x1100, v149, 0
	s_mul_i32 s1, s1, s21
	s_mul_i32 s0, s20, s45
	v_dual_mov_b32 v171, 0 :: v_dual_and_b32 v2, 0xfc, v0
	v_mul_u32_u24_e32 v86, 0x110, v151
	s_wait_alu 0xfffe
	s_sub_co_i32 s7, s16, s1
	s_ashr_i32 s1, s0, 31
	v_lshlrev_b32_e32 v87, 2, v2
	s_wait_alu 0xfffe
	s_sub_co_i32 s8, s7, s21
	s_wait_storecnt 0x0
	s_wait_loadcnt_dscnt 0x0
	s_barrier_signal -1
	s_barrier_wait -1
	v_add3_u32 v2, v3, v86, v87
	global_inv scope:SCOPE_SE
	s_cmp_ge_u32 s7, s21
	s_mul_u64 s[16:17], s[28:29], s[2:3]
	s_wait_alu 0xfffe
	s_cselect_b32 s7, s8, s7
	ds_load_b128 v[60:63], v2
	ds_load_b128 v[56:59], v2 offset:32
	ds_load_b128 v[52:55], v2 offset:64
	;; [unrolled: 1-line block ×7, first 2 shown]
	s_wait_alu 0xfffe
	s_sub_co_i32 s8, s7, s21
	s_cmp_ge_u32 s7, s21
	s_add_nc_u64 s[10:11], s[10:11], s[16:17]
	s_wait_alu 0xfffe
	s_cselect_b32 s7, s8, s7
	v_readlane_b32 s16, v255, 5
	s_wait_alu 0xfffe
	s_xor_b32 s7, s7, s3
	v_readlane_b32 s17, v255, 6
	s_wait_alu 0xfffe
	s_sub_co_i32 s8, s7, s3
	v_add_nc_u32_e32 v203, -1, v1
	s_wait_alu 0xfffe
	s_ashr_i32 s9, s8, 31
	v_lshlrev_b32_e32 v1, 1, v229
	s_wait_alu 0xfffe
	s_mul_u64 s[8:9], s[16:17], s[8:9]
	v_readlane_b32 s16, v255, 3
	v_readlane_b32 s17, v255, 4
	v_cmp_lt_i32_e32 vcc_lo, s95, v203
	s_movk_i32 s7, 0x110
	s_mov_b32 s18, -1
	s_wait_loadcnt_dscnt 0x0
	s_mul_u64 s[16:17], s[16:17], s[2:3]
	s_mul_i32 s2, s20, s31
	s_wait_alu 0xfffe
	s_add_nc_u64 s[16:17], s[12:13], s[16:17]
	s_ashr_i32 s3, s2, 31
	s_and_b32 vcc_lo, exec_lo, vcc_lo
	s_barrier_signal -1
	s_barrier_wait -1
	global_inv scope:SCOPE_SE
	scratch_store_b32 off, v237, off offset:776 ; 4-byte Folded Spill
	s_wait_alu 0xfffe
	s_cbranch_vccnz .LBB24_427
; %bb.424:
	s_ashr_i32 s35, s34, 31
	s_wait_alu 0xfffe
	v_dual_mov_b32 v65, s35 :: v_dual_add_nc_u32 v2, s6, v149
	v_dual_mov_b32 v108, 0 :: v_dual_add_nc_u32 v3, s6, v193
	s_ashr_i32 s27, s26, 31
	s_wait_alu 0xfffe
	v_dual_mov_b32 v67, s27 :: v_dual_add_nc_u32 v4, s6, v220
	v_mul_hi_u32 v5, s36, v2
	v_mul_hi_u32 v6, s36, v3
	v_add_nc_u32_e32 v8, s6, v237
	s_delay_alu instid0(VALU_DEP_4) | instskip(SKIP_2) | instid1(VALU_DEP_4)
	v_mul_hi_u32 v7, s36, v4
	v_dual_mov_b32 v154, 32 :: v_dual_add_nc_u32 v9, s6, v250
	v_mov_b32_e32 v64, s34
	v_mul_hi_u32 v10, s36, v8
	v_add_nc_u32_e32 v5, v2, v5
	v_add_nc_u32_e32 v6, v3, v6
	v_dual_mov_b32 v66, s26 :: v_dual_add_nc_u32 v7, v4, v7
	v_mul_hi_u32 v12, s36, v9
	s_delay_alu instid0(VALU_DEP_4) | instskip(NEXT) | instid1(VALU_DEP_4)
	v_lshrrev_b32_e32 v5, s37, v5
	v_lshrrev_b32_e32 v6, s37, v6
	v_add_nc_u32_e32 v10, v8, v10
	v_lshrrev_b32_e32 v7, s37, v7
	v_add_nc_u32_e32 v11, s6, v248
	v_mul_lo_u32 v5, v5, s24
	v_mul_lo_u32 v6, v6, s24
	v_lshrrev_b32_e32 v10, s37, v10
	v_mul_lo_u32 v7, v7, s24
	v_mul_hi_u32 v13, s36, v11
	v_add_nc_u32_e32 v12, v9, v12
	v_lshlrev_b32_e32 v152, 4, v149
	s_movk_i32 s13, 0x480
	v_sub_nc_u32_e32 v2, v2, v5
	v_sub_nc_u32_e32 v3, v3, v6
	v_mul_lo_u32 v5, v10, s24
	v_sub_nc_u32_e32 v4, v4, v7
	v_add_nc_u32_e32 v7, s6, v232
	v_mad_co_i64_i32 v[252:253], null, v2, s38, 0
	v_add_nc_u32_e32 v2, s6, v246
	v_mad_co_i64_i32 v[70:71], null, v3, s38, 0
	v_mad_co_i64_i32 v[182:183], null, v4, s38, 0
	v_lshrrev_b32_e32 v3, s37, v12
	s_delay_alu instid0(VALU_DEP_4)
	v_mul_hi_u32 v4, s36, v2
	v_add_nc_u32_e32 v6, v11, v13
	v_sub_nc_u32_e32 v5, v8, v5
	v_mul_hi_u32 v8, s36, v7
	v_mul_lo_u32 v3, v3, s24
	s_wait_alu 0xfffe
	v_mad_u32_u24 v90, 0x90, v149, s13
	v_lshrrev_b32_e32 v6, s37, v6
	v_mad_co_i64_i32 v[121:122], null, v5, s38, 0
	v_add_nc_u32_e32 v4, v2, v4
	s_lshl_b32 s13, s26, 3
	s_delay_alu instid0(VALU_DEP_3)
	v_mul_lo_u32 v5, v6, s24
	v_sub_nc_u32_e32 v3, v9, v3
	v_add_nc_u32_e32 v6, v7, v8
	v_lshrrev_b32_e32 v4, s37, v4
	s_movk_i32 s12, 0x240
	v_mbcnt_lo_u32_b32 v143, -1, 0
	v_mad_co_i64_i32 v[190:191], null, v3, s38, 0
	s_delay_alu instid0(VALU_DEP_3)
	v_mul_lo_u32 v3, v4, s24
	v_lshrrev_b32_e32 v4, s37, v6
	v_lshrrev_b32_e32 v6, 4, v229
	s_wait_alu 0xfffe
	v_mad_u32_u24 v89, 0x90, v149, s12
	s_movk_i32 s12, 0x6c0
	v_sub_nc_u32_e32 v5, v11, v5
	v_mul_lo_u32 v4, v4, s24
	v_lshl_add_u32 v6, v149, 1, v6
	v_sub_nc_u32_e32 v2, v2, v3
	v_and_or_b32 v3, v229, 14, v152
	s_wait_alu 0xfffe
	v_mad_u32_u24 v91, 0x90, v149, s12
	s_movk_i32 s12, 0x900
	v_mad_u32_u24 v124, v6, s7, 0x1100
	s_movk_i32 s7, 0x1980
	v_mad_co_i64_i32 v[196:197], null, v2, s38, 0
	v_sub_nc_u32_e32 v2, v7, v4
	s_wait_alu 0xfffe
	v_mad_u32_u24 v126, 0x110, v6, s7
	s_movk_i32 s7, 0x2200
	v_mul_lo_u32 v109, s26, v6
	s_wait_alu 0xfffe
	v_mad_u32_u24 v125, 0x110, v6, s7
	s_movk_i32 s7, 0x2a80
	v_mul_lo_u32 v165, s34, v6
	s_wait_alu 0xfffe
	v_mad_u32_u24 v177, 0x110, v6, s7
	s_movk_i32 s7, 0x3300
	v_mad_co_i64_i32 v[188:189], null, v2, s38, 0
	v_lshrrev_b32_e32 v2, 1, v229
	s_wait_alu 0xfffe
	v_mad_u32_u24 v115, 0x110, v6, s7
	s_movk_i32 s7, 0x3b80
	v_add_nc_u32_e32 v113, s13, v109
	s_wait_alu 0xfffe
	v_mad_u32_u24 v116, 0x110, v6, s7
	s_lshl_b32 s7, s34, 3
	v_and_b32_e32 v153, 0x1f8, v2
	v_lshrrev_b32_e32 v2, 1, v3
	s_wait_alu 0xfffe
	v_add_nc_u32_e32 v167, s7, v165
	v_add_nc_u32_e32 v117, s13, v113
	v_mad_u32_u24 v92, 0x90, v149, s12
	v_add_nc_u32_e32 v3, 16, v153
	v_mul_u32_u24_e32 v169, 0x90, v2
	v_add_nc_u32_e32 v2, 18, v153
	v_add_nc_u32_e32 v129, s7, v167
	;; [unrolled: 1-line block ×3, first 2 shown]
	v_lshrrev_b32_e32 v158, 1, v3
	v_add_nc_u32_e32 v3, 20, v153
	v_lshrrev_b32_e32 v174, 1, v2
	v_add_nc_u32_e32 v2, 32, v153
	v_add_nc_u32_e32 v131, s7, v129
	;; [unrolled: 1-line block ×4, first 2 shown]
	v_lshrrev_b32_e32 v175, 1, v3
	v_lshrrev_b32_e32 v163, 1, v2
	v_add_nc_u32_e32 v2, 34, v153
	v_add_nc_u32_e32 v133, s7, v131
	;; [unrolled: 1-line block ×3, first 2 shown]
	v_lshrrev_b32_e32 v176, 1, v4
	v_add_nc_u32_e32 v3, 36, v153
	v_add_nc_u32_e32 v4, 38, v153
	v_lshrrev_b32_e32 v156, 1, v2
	v_add_nc_u32_e32 v2, 50, v153
	v_add_nc_u32_e32 v135, s7, v133
	;; [unrolled: 1-line block ×3, first 2 shown]
	v_lshrrev_b32_e32 v159, 1, v3
	v_lshrrev_b32_e32 v160, 1, v4
	v_add_nc_u32_e32 v3, 52, v153
	v_add_nc_u32_e32 v4, 54, v153
	v_lshrrev_b32_e32 v157, 1, v2
	v_add_nc_u32_e32 v137, s7, v135
	v_lshlrev_b32_e32 v2, 1, v0
	s_movk_i32 s12, 0xb40
	v_mad_co_i64_i32 v[178:179], null, v5, s38, 0
	s_wait_alu 0xfffe
	v_mad_u32_u24 v93, 0x90, v149, s12
	s_movk_i32 s12, 0xd80
	v_add_nc_u32_e32 v180, s13, v139
	v_add_nc_u32_e32 v5, 48, v153
	v_lshrrev_b32_e32 v161, 1, v3
	v_lshrrev_b32_e32 v164, 1, v4
	v_add_nc_u32_e32 v172, s7, v137
	v_and_b32_e32 v3, 0x1f8, v2
	v_or_b32_e32 v4, 6, v2
	v_or_b32_e32 v2, 7, v2
	s_wait_alu 0xfffe
	v_mad_u32_u24 v95, 0x90, v149, s12
	s_movk_i32 s12, 0xfc0
	v_mul_u32_u24_e32 v254, 0x90, v149
	s_wait_alu 0xfffe
	v_mad_u32_u24 v96, 0x90, v149, s12
	s_movk_i32 s12, 0x880
	v_mul_u32_u24_e32 v94, 0x110, v6
	v_and_b32_e32 v107, 60, v150
	v_ashrrev_i32_e32 v110, 31, v109
	s_wait_alu 0xfffe
	v_mad_u32_u24 v123, 0x110, v6, s12
	v_ashrrev_i32_e32 v114, 31, v113
	v_ashrrev_i32_e32 v118, 31, v117
	;; [unrolled: 1-line block ×7, first 2 shown]
	v_lshrrev_b32_e32 v170, 1, v153
	v_or_b32_e32 v162, 3, v0
	v_lshrrev_b32_e32 v155, 1, v5
	v_xor_b32_e32 v142, 16, v143
	v_ashrrev_i32_e32 v166, 31, v165
	v_ashrrev_i32_e32 v168, 31, v167
	;; [unrolled: 1-line block ×8, first 2 shown]
	v_mul_u32_u24_e32 v98, 0x110, v3
	v_mul_u32_u24_e32 v99, 0x110, v4
	;; [unrolled: 1-line block ×3, first 2 shown]
	s_mov_b32 s18, 0
	s_branch .LBB24_428
.LBB24_425:
                                        ; implicit-def: $sgpr48_sgpr49
	s_load_b64 s[46:47], s[58:59], 0x74
	v_cvt_f32_u32_e32 v1, s22
	s_branch .LBB24_2
.LBB24_426:
                                        ; implicit-def: $sgpr54_sgpr55
	s_load_b64 s[36:37], s[58:59], 0x5c
	s_branch .LBB24_5
.LBB24_427:
                                        ; implicit-def: $vgpr254
                                        ; implicit-def: $vgpr252_vgpr253
                                        ; implicit-def: $vgpr89
                                        ; implicit-def: $vgpr70_vgpr71
                                        ; implicit-def: $vgpr90
                                        ; implicit-def: $vgpr182_vgpr183
                                        ; implicit-def: $vgpr91
                                        ; implicit-def: $vgpr121_vgpr122
                                        ; implicit-def: $vgpr92
                                        ; implicit-def: $vgpr190_vgpr191
                                        ; implicit-def: $vgpr93
                                        ; implicit-def: $vgpr178_vgpr179
                                        ; implicit-def: $vgpr95
                                        ; implicit-def: $vgpr196_vgpr197
                                        ; implicit-def: $vgpr96
                                        ; implicit-def: $vgpr188_vgpr189
                                        ; implicit-def: $vgpr66_vgpr67
                                        ; implicit-def: $vgpr94
                                        ; implicit-def: $vgpr107
                                        ; implicit-def: $vgpr109_vgpr110
                                        ; implicit-def: $vgpr123
                                        ; implicit-def: $vgpr113_vgpr114
                                        ; implicit-def: $vgpr124
                                        ; implicit-def: $vgpr117_vgpr118
                                        ; implicit-def: $vgpr126
                                        ; implicit-def: $vgpr184_vgpr185
                                        ; implicit-def: $vgpr125
                                        ; implicit-def: $vgpr105_vgpr106
                                        ; implicit-def: $vgpr177
                                        ; implicit-def: $vgpr119_vgpr120
                                        ; implicit-def: $vgpr115
                                        ; implicit-def: $vgpr139_vgpr140
                                        ; implicit-def: $vgpr116
                                        ; implicit-def: $vgpr180_vgpr181
                                        ; implicit-def: $vgpr153
                                        ; implicit-def: $vgpr152
                                        ; implicit-def: $vgpr169
                                        ; implicit-def: $vgpr170
                                        ; implicit-def: $vgpr162
                                        ; implicit-def: $vgpr158
                                        ; implicit-def: $vgpr174
                                        ; implicit-def: $vgpr175
                                        ; implicit-def: $vgpr176
                                        ; implicit-def: $vgpr163
                                        ; implicit-def: $vgpr156
                                        ; implicit-def: $vgpr159
                                        ; implicit-def: $vgpr160
                                        ; implicit-def: $vgpr155
                                        ; implicit-def: $vgpr157
                                        ; implicit-def: $vgpr161
                                        ; implicit-def: $vgpr164
                                        ; implicit-def: $vgpr143
                                        ; implicit-def: $vgpr142
                                        ; implicit-def: $vgpr154
                                        ; implicit-def: $vgpr64_vgpr65
                                        ; implicit-def: $vgpr165_vgpr166
                                        ; implicit-def: $vgpr167_vgpr168
                                        ; implicit-def: $vgpr129_vgpr130
                                        ; implicit-def: $vgpr131_vgpr132
                                        ; implicit-def: $vgpr133_vgpr134
                                        ; implicit-def: $vgpr135_vgpr136
                                        ; implicit-def: $vgpr137_vgpr138
                                        ; implicit-def: $vgpr172_vgpr173
                                        ; implicit-def: $vgpr98
                                        ; implicit-def: $vgpr99
                                        ; implicit-def: $vgpr100
.LBB24_428:
	v_add_nc_u32_e32 v101, 60, v149
	v_add_nc_u32_e32 v102, 56, v149
	;; [unrolled: 1-line block ×8, first 2 shown]
	v_lshlrev_b32_e32 v127, 1, v1
	v_lshlrev_b32_e32 v97, 2, v151
	s_add_nc_u64 s[10:11], s[10:11], s[0:1]
	s_add_nc_u64 s[12:13], s[14:15], s[8:9]
	s_wait_alu 0xfffe
	s_and_not1_b32 vcc_lo, exec_lo, s18
	s_add_nc_u64 s[8:9], s[16:17], s[2:3]
	s_wait_alu 0xfffe
	s_cbranch_vccnz .LBB24_432
; %bb.429:
	s_clause 0x1
	scratch_load_b32 v2, off, off offset:280
	scratch_load_b32 v4, off, off offset:308
	v_dual_mov_b32 v148, 0xfeffffff :: v_dual_add_nc_u32 v1, s6, v149
	v_add_co_u32 v7, s0, s12, v127
	s_movk_i32 s1, 0x480
	v_mul_hi_u32 v3, s36, v1
	v_mul_u32_u24_e32 v254, 0x90, v149
	v_add3_u32 v206, 0, v86, v87
	s_ashr_i32 s27, s26, 31
	s_ashr_i32 s35, s34, 31
	s_lshl_b32 s14, s95, 6
	v_mov_b32_e32 v65, 0
	v_add_nc_u32_e32 v5, 0, v127
	v_add_nc_u32_e32 v3, v1, v3
	;; [unrolled: 1-line block ×3, first 2 shown]
	s_delay_alu instid0(VALU_DEP_4)
	v_dual_mov_b32 v171, v65 :: v_dual_add_nc_u32 v10, s6, v248
	s_clause 0x1
	scratch_store_b32 off, v5, off
	scratch_store_b32 off, v7, off offset:4
	v_add_co_ci_u32_e64 v7, null, s13, 0, s0
	s_movk_i32 s0, 0x240
	v_lshrrev_b32_e32 v3, s37, v3
	v_and_b32_e32 v64, 60, v150
	s_wait_alu 0xfffe
	v_mad_u32_u24 v11, 0x90, v149, s0
	s_clause 0x1
	scratch_store_b32 off, v151, off offset:48
	scratch_store_b32 off, v7, off offset:8
	v_add_nc_u32_e32 v7, 12, v149
	v_mul_lo_u32 v3, v3, s24
	s_movk_i32 s0, 0x6c0
	v_mov_b32_e32 v12, v65
	s_delay_alu instid0(VALU_DEP_3)
	v_dual_mov_b32 v14, v65 :: v_dual_add_nc_u32 v7, s6, v7
	v_mov_b32_e32 v16, v65
	v_mov_b32_e32 v18, v65
	;; [unrolled: 1-line block ×3, first 2 shown]
	v_sub_nc_u32_e32 v1, v1, v3
	v_mul_hi_u32 v8, s36, v7
	v_mul_hi_u32 v3, s36, v9
	v_mov_b32_e32 v31, v65
	v_mov_b32_e32 v13, v65
	v_mad_co_i64_i32 v[252:253], null, v1, s38, 0
	v_mov_b32_e32 v30, v65
	v_dual_mov_b32 v28, v65 :: v_dual_mov_b32 v15, v65
	v_add_nc_u32_e32 v3, v9, v3
	v_mov_b32_e32 v17, v65
	v_mov_b32_e32 v19, v65
	;; [unrolled: 1-line block ×4, first 2 shown]
	v_lshrrev_b32_e32 v3, s37, v3
	v_mov_b32_e32 v21, v65
	v_mov_b32_e32 v23, v65
	v_dual_mov_b32 v29, v65 :: v_dual_mov_b32 v24, v65
	s_delay_alu instid0(VALU_DEP_4) | instskip(SKIP_2) | instid1(VALU_DEP_3)
	v_mul_lo_u32 v3, v3, s24
	v_mov_b32_e32 v26, v65
	v_mov_b32_e32 v20, v65
	v_sub_nc_u32_e32 v3, v9, v3
	s_delay_alu instid0(VALU_DEP_1) | instskip(SKIP_4) | instid1(VALU_DEP_2)
	v_mad_co_i64_i32 v[190:191], null, v3, s38, 0
	s_wait_loadcnt 0x1
	v_add_nc_u32_e32 v2, s6, v2
	s_wait_loadcnt 0x0
	v_add_nc_u32_e32 v4, s6, v4
	v_mul_hi_u32 v5, s36, v2
	s_delay_alu instid0(VALU_DEP_2) | instskip(NEXT) | instid1(VALU_DEP_2)
	v_mul_hi_u32 v6, s36, v4
	v_add_nc_u32_e32 v5, v2, v5
	s_delay_alu instid0(VALU_DEP_2) | instskip(NEXT) | instid1(VALU_DEP_2)
	v_add_nc_u32_e32 v6, v4, v6
	v_lshrrev_b32_e32 v5, s37, v5
	s_delay_alu instid0(VALU_DEP_2) | instskip(NEXT) | instid1(VALU_DEP_2)
	v_lshrrev_b32_e32 v6, s37, v6
	v_mul_lo_u32 v5, v5, s24
	s_delay_alu instid0(VALU_DEP_2) | instskip(NEXT) | instid1(VALU_DEP_2)
	v_mul_lo_u32 v6, v6, s24
	v_sub_nc_u32_e32 v2, v2, v5
	v_add_nc_u32_e32 v5, v7, v8
	s_delay_alu instid0(VALU_DEP_3) | instskip(SKIP_1) | instid1(VALU_DEP_4)
	v_sub_nc_u32_e32 v1, v4, v6
	v_mul_hi_u32 v4, s36, v10
	v_mad_co_i64_i32 v[70:71], null, v2, s38, 0
	v_mad_u32_u24 v2, 0x90, v149, s1
	s_clause 0x1
	scratch_store_b32 off, v11, off offset:120
	scratch_store_b32 off, v127, off offset:364
	v_mad_co_i64_i32 v[182:183], null, v1, s38, 0
	scratch_store_b32 off, v2, off offset:128 ; 4-byte Folded Spill
	v_lshrrev_b32_e32 v2, s37, v5
	v_add_nc_u32_e32 v4, v10, v4
	v_add_nc_u32_e32 v5, s6, v232
	s_movk_i32 s1, 0x880
	v_mov_b32_e32 v11, v65
	v_mul_lo_u32 v1, v2, s24
	v_add_nc_u32_e32 v2, s6, v246
	v_lshrrev_b32_e32 v4, s37, v4
	s_delay_alu instid0(VALU_DEP_2) | instskip(NEXT) | instid1(VALU_DEP_2)
	v_mul_hi_u32 v6, s36, v2
	v_mul_lo_u32 v4, v4, s24
	v_sub_nc_u32_e32 v1, v7, v1
	s_wait_alu 0xfffe
	v_mad_u32_u24 v7, 0x90, v149, s0
	s_movk_i32 s0, 0x900
	s_delay_alu instid0(VALU_DEP_2)
	v_mad_co_i64_i32 v[121:122], null, v1, s38, 0
	scratch_store_b32 off, v7, off offset:224 ; 4-byte Folded Spill
	v_mul_hi_u32 v7, s36, v5
	v_add_nc_u32_e32 v1, v2, v6
	v_sub_nc_u32_e32 v4, v10, v4
	v_mbcnt_lo_u32_b32 v10, -1, 0
	s_delay_alu instid0(VALU_DEP_3) | instskip(NEXT) | instid1(VALU_DEP_3)
	v_lshrrev_b32_e32 v1, s37, v1
	v_mad_co_i64_i32 v[178:179], null, v4, s38, 0
	v_add_nc_u32_e32 v6, v5, v7
	s_wait_alu 0xfffe
	v_mad_u32_u24 v7, 0x90, v149, s0
	s_movk_i32 s0, 0xb40
	v_mul_lo_u32 v1, v1, s24
	s_wait_alu 0xfffe
	v_mad_u32_u24 v93, 0x90, v149, s0
	s_movk_i32 s0, 0xd80
	v_lshrrev_b32_e32 v3, s37, v6
	s_wait_alu 0xfffe
	v_mad_u32_u24 v4, 0x90, v149, s0
	scratch_store_b32 off, v7, off offset:292 ; 4-byte Folded Spill
	scratch_load_b64 v[6:7], off, off offset:272 ; 8-byte Folded Reload
	s_movk_i32 s0, 0xfc0
	v_sub_nc_u32_e32 v1, v2, v1
	v_mul_lo_u32 v3, v3, s24
	s_delay_alu instid0(VALU_DEP_2)
	v_mad_co_i64_i32 v[196:197], null, v1, s38, 0
	s_wait_alu 0xfffe
	v_mad_u32_u24 v1, 0x90, v149, s0
	scratch_store_b32 off, v4, off offset:328 ; 4-byte Folded Spill
	v_sub_nc_u32_e32 v3, v5, v3
	v_lshlrev_b32_e32 v4, 2, v64
	s_lshl_b32 s0, s26, 3
	scratch_store_b32 off, v1, off offset:332 ; 4-byte Folded Spill
	v_mad_co_i64_i32 v[188:189], null, v3, s38, 0
	s_wait_loadcnt 0x0
	v_mov_b32_e32 v7, v6
	s_delay_alu instid0(VALU_DEP_1) | instskip(NEXT) | instid1(VALU_DEP_1)
	v_lshrrev_b32_e32 v6, 4, v7
	v_lshl_add_u32 v2, v149, 1, v6
	s_delay_alu instid0(VALU_DEP_1)
	v_mad_u32_u24 v1, 0x110, v2, s1
	s_movk_i32 s1, 0x1100
	v_mul_u32_u24_e32 v5, 0x110, v2
	v_mul_lo_u32 v109, s26, v2
	v_mul_lo_u32 v165, s34, v2
	scratch_store_b32 off, v1, off offset:336 ; 4-byte Folded Spill
	s_wait_alu 0xfffe
	v_mad_u32_u24 v1, 0x110, v2, s1
	s_movk_i32 s1, 0x1980
	v_add3_u32 v198, 0, v5, v4
	scratch_store_b32 off, v1, off offset:340 ; 4-byte Folded Spill
	s_wait_alu 0xfffe
	v_mad_u32_u24 v1, 0x110, v2, s1
	s_movk_i32 s1, 0x2200
	v_add_nc_u32_e32 v113, s0, v109
	v_ashrrev_i32_e32 v110, 31, v109
	v_ashrrev_i32_e32 v166, 31, v165
	scratch_store_b32 off, v1, off offset:348 ; 4-byte Folded Spill
	s_wait_alu 0xfffe
	v_mad_u32_u24 v1, 0x110, v2, s1
	s_movk_i32 s1, 0x2a80
	v_add_nc_u32_e32 v117, s0, v113
	v_ashrrev_i32_e32 v114, 31, v113
	scratch_store_b32 off, v1, off offset:344 ; 4-byte Folded Spill
	s_wait_alu 0xfffe
	v_mad_u32_u24 v1, 0x110, v2, s1
	s_movk_i32 s1, 0x3300
	v_add_nc_u32_e32 v184, s0, v117
	s_wait_alu 0xfffe
	v_mad_u32_u24 v3, 0x110, v2, s1
	s_movk_i32 s1, 0x3b80
	v_ashrrev_i32_e32 v118, 31, v117
	s_wait_alu 0xfffe
	v_mad_u32_u24 v4, 0x110, v2, s1
	scratch_store_b32 off, v1, off offset:352 ; 4-byte Folded Spill
	v_lshlrev_b32_e32 v1, 4, v149
	s_clause 0x2
	scratch_store_b32 off, v150, off offset:40
	scratch_store_b32 off, v5, off offset:324
	;; [unrolled: 1-line block ×3, first 2 shown]
	v_lshrrev_b32_e32 v3, 1, v7
	scratch_store_b32 off, v1, off offset:56 ; 4-byte Folded Spill
	v_and_or_b32 v1, v7, 14, v1
	s_clause 0x2
	scratch_store_b32 off, v4, off offset:360
	scratch_store_b32 off, v86, off offset:104
	;; [unrolled: 1-line block ×3, first 2 shown]
	v_and_b32_e32 v8, 0x1f8, v3
	v_or_b32_e32 v4, 3, v0
	v_lshrrev_b32_e32 v1, 1, v1
	v_lshlrev_b32_e32 v0, 1, v0
	s_delay_alu instid0(VALU_DEP_4) | instskip(SKIP_3) | instid1(VALU_DEP_2)
	v_add_nc_u32_e32 v5, 20, v8
	scratch_store_b32 off, v8, off offset:96 ; 4-byte Folded Spill
	v_mad_u32_u24 v3, 0x90, v1, 0
	v_mul_u32_u24_e32 v1, 0x90, v1
	v_lshl_add_u32 v112, v8, 1, v3
	scratch_store_b32 off, v1, off offset:284 ; 4-byte Folded Spill
	v_lshrrev_b32_e32 v1, 1, v8
	scratch_store_b32 off, v1, off offset:288 ; 4-byte Folded Spill
	v_add_nc_u32_e32 v1, 16, v8
	s_delay_alu instid0(VALU_DEP_1)
	v_lshrrev_b32_e32 v6, 1, v1
	scratch_store_b32 off, v4, off offset:260 ; 4-byte Folded Spill
	v_lshl_add_u32 v4, v4, 2, v3
	v_lshl_add_u32 v1, v1, 1, v3
	scratch_store_b32 off, v6, off offset:192 ; 4-byte Folded Spill
	v_add_nc_u32_e32 v6, 22, v8
	scratch_store_b32 off, v4, off offset:16 ; 4-byte Folded Spill
	v_add_nc_u32_e32 v4, 18, v8
	v_lshrrev_b32_e32 v6, 1, v6
	s_delay_alu instid0(VALU_DEP_2)
	v_lshrrev_b32_e32 v4, 1, v4
	scratch_store_b32 off, v4, off offset:300 ; 4-byte Folded Spill
	v_lshrrev_b32_e32 v4, 1, v5
	v_lshl_add_u32 v5, v5, 1, v3
	scratch_store_b32 off, v4, off offset:312 ; 4-byte Folded Spill
	v_add_nc_u32_e32 v4, 32, v8
	v_dual_mov_b32 v5, v65 :: v_dual_add_nc_u32 v108, 0x4400, v5
	v_lshlrev_b32_e32 v213, 2, v64
	s_delay_alu instid0(VALU_DEP_3)
	v_lshrrev_b32_e32 v7, 1, v4
	scratch_store_b32 off, v6, off offset:320 ; 4-byte Folded Spill
	v_add_nc_u32_e32 v6, 34, v8
	v_lshl_add_u32 v4, v4, 1, v3
	scratch_store_b32 off, v7, off offset:264 ; 4-byte Folded Spill
	v_add_nc_u32_e32 v7, 36, v8
	v_lshrrev_b32_e32 v2, 1, v6
	v_dual_mov_b32 v4, v65 :: v_dual_add_nc_u32 v115, 0x4400, v4
	s_delay_alu instid0(VALU_DEP_3) | instskip(SKIP_3) | instid1(VALU_DEP_2)
	v_lshrrev_b32_e32 v6, 1, v7
	scratch_store_b32 off, v6, off offset:208 ; 4-byte Folded Spill
	v_lshl_add_u32 v6, v7, 1, v3
	v_add_nc_u32_e32 v7, 48, v8
	v_add_nc_u32_e32 v116, 0x4400, v6
	s_delay_alu instid0(VALU_DEP_2)
	v_lshrrev_b32_e32 v9, 1, v7
	scratch_store_b32 off, v2, off offset:160 ; 4-byte Folded Spill
	v_add_nc_u32_e32 v2, 38, v8
	v_lshl_add_u32 v7, v7, 1, v3
	v_mov_b32_e32 v6, v65
	scratch_store_b32 off, v9, off offset:144 ; 4-byte Folded Spill
	v_xor_b32_e32 v9, 16, v10
	v_lshrrev_b32_e32 v2, 1, v2
	v_dual_mov_b32 v7, v65 :: v_dual_add_nc_u32 v218, 0x4400, v7
	s_delay_alu instid0(VALU_DEP_3) | instskip(SKIP_3) | instid1(VALU_DEP_1)
	v_cmp_gt_i32_e32 vcc_lo, 32, v9
	scratch_store_b32 off, v2, off offset:240 ; 4-byte Folded Spill
	s_wait_alu 0xfffd
	v_dual_cndmask_b32 v9, v10, v9 :: v_dual_add_nc_u32 v2, 50, v8
	v_lshrrev_b32_e32 v2, 1, v2
	scratch_store_b32 off, v2, off offset:176 ; 4-byte Folded Spill
	v_add_nc_u32_e32 v2, 52, v8
	v_add_nc_u32_e32 v8, 54, v8
	s_delay_alu instid0(VALU_DEP_2) | instskip(SKIP_1) | instid1(VALU_DEP_3)
	v_lshrrev_b32_e32 v10, 1, v2
	v_lshl_add_u32 v2, v2, 1, v3
	v_lshrrev_b32_e32 v3, 1, v8
	v_or_b32_e32 v8, 6, v0
	s_delay_alu instid0(VALU_DEP_3)
	v_add_nc_u32_e32 v219, 0x4400, v2
	scratch_store_b32 off, v3, off offset:268 ; 4-byte Folded Spill
	v_lshlrev_b32_e32 v3, 2, v9
	v_mov_b32_e32 v9, v65
	v_add_nc_u32_e32 v105, s0, v184
	v_mul_u32_u24_e32 v8, 0x110, v8
	v_ashrrev_i32_e32 v185, 31, v184
	scratch_store_b32 off, v3, off offset:24 ; 4-byte Folded Spill
	v_and_b32_e32 v3, 0x1f8, v0
	v_add_nc_u32_e32 v119, s0, v105
	v_or_b32_e32 v0, 7, v0
	scratch_store_b32 off, v8, off offset:80 ; 4-byte Folded Spill
	v_ashrrev_i32_e32 v106, 31, v105
	v_mul_u32_u24_e32 v3, 0x110, v3
	v_add_nc_u32_e32 v139, s0, v119
	v_mul_u32_u24_e32 v0, 0x110, v0
	scratch_store_b32 off, v10, off offset:256 ; 4-byte Folded Spill
	v_ashrrev_i32_e32 v120, 31, v119
	scratch_store_b32 off, v3, off offset:72 ; 4-byte Folded Spill
	v_add_nc_u32_e32 v180, s0, v139
	s_lshl_b32 s0, s34, 3
	s_clause 0x1
	scratch_store_b32 off, v97, off offset:64
	scratch_store_b32 off, v0, off offset:88
	s_wait_alu 0xfffe
	v_add_nc_u32_e32 v167, s0, v165
	v_add3_u32 v212, 0, v0, v97
	v_add_nc_u32_e32 v0, 0x4400, v1
	v_ashrrev_i32_e32 v140, 31, v139
	v_ashrrev_i32_e32 v181, 31, v180
	v_add_nc_u32_e32 v129, s0, v167
	v_ashrrev_i32_e32 v168, 31, v167
	v_add3_u32 v204, 0, v3, v97
	v_add3_u32 v211, 0, v8, v97
	s_clause 0x1
	scratch_store_b32 off, v0, off offset:32
	scratch_store_b64 off, v[64:65], off offset:368
	v_add_nc_u32_e32 v131, s0, v129
	v_ashrrev_i32_e32 v130, 31, v129
	v_dual_mov_b32 v0, v65 :: v_dual_mov_b32 v1, v65
	s_delay_alu instid0(VALU_DEP_3) | instskip(SKIP_2) | instid1(VALU_DEP_3)
	v_dual_mov_b32 v2, v65 :: v_dual_add_nc_u32 v133, s0, v131
	v_ashrrev_i32_e32 v132, 31, v131
	v_dual_mov_b32 v3, v65 :: v_dual_mov_b32 v8, v65
	v_dual_mov_b32 v10, v65 :: v_dual_add_nc_u32 v135, s0, v133
	v_ashrrev_i32_e32 v134, 31, v133
	s_delay_alu instid0(VALU_DEP_2) | instskip(SKIP_1) | instid1(VALU_DEP_2)
	v_add_nc_u32_e32 v137, s0, v135
	v_ashrrev_i32_e32 v136, 31, v135
	v_add_nc_u32_e32 v172, s0, v137
	v_ashrrev_i32_e32 v138, 31, v137
	s_delay_alu instid0(VALU_DEP_2)
	v_ashrrev_i32_e32 v173, 31, v172
.LBB24_430:                             ; =>This Inner Loop Header: Depth=1
	scratch_load_b32 v64, off, off offset:4 ; 4-byte Folded Reload
	s_ashr_i32 s15, s14, 31
	v_lshlrev_b64_e32 v[66:67], 1, v[70:71]
	s_lshl_b64 s[0:1], s[14:15], 1
	v_lshlrev_b64_e32 v[68:69], 1, v[182:183]
	v_dual_mov_b32 v128, v71 :: v_dual_mov_b32 v127, v70
	v_lshlrev_b64_e32 v[70:71], 1, v[121:122]
	v_lshlrev_b64_e32 v[72:73], 1, v[190:191]
	v_lshlrev_b64_e32 v[74:75], 1, v[178:179]
	v_lshlrev_b64_e32 v[76:77], 1, v[196:197]
	v_lshlrev_b64_e32 v[78:79], 1, v[188:189]
	v_add_nc_u32_e32 v111, 0x880, v198
	v_add_nc_u32_e32 v205, 0x1100, v198
	;; [unrolled: 1-line block ×6, first 2 shown]
	s_add_co_i32 s95, s95, 1
	v_mov_b32_e32 v143, v93
	v_dual_mov_b32 v169, v172 :: v_dual_mov_b32 v170, v173
	v_add_nc_u32_e32 v187, 0x3300, v198
	v_add_nc_u32_e32 v84, 0x4400, v112
	s_wait_loadcnt 0x0
	s_wait_alu 0xfffe
	v_add_co_u32 v80, vcc_lo, v64, s0
	scratch_load_b32 v64, off, off offset:8 ; 4-byte Folded Reload
	s_wait_loadcnt 0x0
	s_wait_alu 0xfffd
	v_add_co_ci_u32_e64 v81, null, s1, v64, vcc_lo
	v_lshlrev_b64_e32 v[64:65], 1, v[252:253]
	s_mul_u64 s[0:1], s[14:15], s[26:27]
	s_wait_alu 0xfffe
	s_lshl_b64 s[0:1], s[0:1], 2
	s_wait_alu 0xfffe
	s_add_nc_u64 s[0:1], s[10:11], s[0:1]
	v_add_co_u32 v64, vcc_lo, v80, v64
	s_wait_alu 0xfffd
	v_add_co_ci_u32_e64 v65, null, v81, v65, vcc_lo
	v_add_co_u32 v66, vcc_lo, v80, v66
	s_wait_alu 0xfffd
	v_add_co_ci_u32_e64 v67, null, v81, v67, vcc_lo
	;; [unrolled: 3-line block ×8, first 2 shown]
	s_clause 0x6
	global_load_b32 v64, v[64:65], off
	global_load_b32 v65, v[66:67], off
	global_load_b32 v66, v[68:69], off
	global_load_b32 v67, v[70:71], off
	global_load_b32 v68, v[76:77], off
	global_load_b32 v69, v[78:79], off
	global_load_b32 v70, v[72:73], off
	scratch_load_b32 v73, off, off          ; 4-byte Folded Reload
	s_wait_loadcnt 0x0
	v_add_nc_u32_e32 v71, v73, v254
	s_delay_alu instid0(VALU_DEP_1)
	v_add_nc_u32_e32 v72, 0x4400, v71
	ds_store_2addr_b32 v72, v64, v65 offset1:144
	v_add_nc_u32_e32 v64, 0x4800, v71
	v_add_nc_u32_e32 v65, v73, v93
	ds_store_2addr_b32 v64, v66, v67 offset0:32 offset1:176
	global_load_b32 v64, v[74:75], off
	v_add_nc_u32_e32 v66, 0x4400, v65
	s_wait_loadcnt 0x0
	ds_store_2addr_b32 v66, v64, v68 offset1:144
	ds_store_b32 v71, v70 offset:19712
	ds_store_b32 v65, v69 offset:18560
	v_lshlrev_b64_e32 v[64:65], 2, v[109:110]
	s_wait_alu 0xfffe
	s_delay_alu instid0(VALU_DEP_1) | instskip(SKIP_1) | instid1(VALU_DEP_2)
	v_add_co_u32 v66, vcc_lo, s0, v64
	s_wait_alu 0xfffd
	v_add_co_ci_u32_e64 v67, null, s1, v65, vcc_lo
	v_lshlrev_b64_e32 v[64:65], 2, v[113:114]
	s_delay_alu instid0(VALU_DEP_1) | instskip(SKIP_1) | instid1(VALU_DEP_2)
	v_add_co_u32 v68, vcc_lo, s0, v64
	s_wait_alu 0xfffd
	v_add_co_ci_u32_e64 v69, null, s1, v65, vcc_lo
	v_add_co_u32 v64, vcc_lo, v66, v213
	s_wait_alu 0xfffd
	v_add_co_ci_u32_e64 v65, null, 0, v67, vcc_lo
	v_add_co_u32 v68, vcc_lo, v68, v213
	s_wait_alu 0xfffd
	v_add_co_ci_u32_e64 v69, null, 0, v69, vcc_lo
	s_clause 0x1
	global_load_b128 v[64:67], v[64:65], off
	global_load_b128 v[68:71], v[68:69], off
	s_wait_loadcnt 0x1
	ds_store_b128 v198, v[64:67]
	s_wait_loadcnt 0x0
	ds_store_b128 v111, v[68:71]
	v_lshlrev_b64_e32 v[64:65], 2, v[117:118]
	s_delay_alu instid0(VALU_DEP_1) | instskip(SKIP_1) | instid1(VALU_DEP_2)
	v_add_co_u32 v66, vcc_lo, s0, v64
	s_wait_alu 0xfffd
	v_add_co_ci_u32_e64 v67, null, s1, v65, vcc_lo
	v_lshlrev_b64_e32 v[64:65], 2, v[184:185]
	s_delay_alu instid0(VALU_DEP_1) | instskip(SKIP_1) | instid1(VALU_DEP_2)
	v_add_co_u32 v68, vcc_lo, s0, v64
	s_wait_alu 0xfffd
	v_add_co_ci_u32_e64 v69, null, s1, v65, vcc_lo
	v_add_co_u32 v64, vcc_lo, v66, v213
	s_wait_alu 0xfffd
	v_add_co_ci_u32_e64 v65, null, 0, v67, vcc_lo
	v_add_co_u32 v68, vcc_lo, v68, v213
	s_wait_alu 0xfffd
	v_add_co_ci_u32_e64 v69, null, 0, v69, vcc_lo
	s_clause 0x1
	global_load_b128 v[64:67], v[64:65], off
	global_load_b128 v[68:71], v[68:69], off
	s_wait_loadcnt 0x1
	ds_store_b128 v205, v[64:67]
	s_wait_loadcnt 0x0
	ds_store_b128 v141, v[68:71]
	v_lshlrev_b64_e32 v[64:65], 2, v[105:106]
	;; [unrolled: 23-line block ×3, first 2 shown]
	s_delay_alu instid0(VALU_DEP_1) | instskip(SKIP_1) | instid1(VALU_DEP_2)
	v_add_co_u32 v66, vcc_lo, s0, v64
	s_wait_alu 0xfffd
	v_add_co_ci_u32_e64 v67, null, s1, v65, vcc_lo
	v_lshlrev_b64_e32 v[64:65], 2, v[180:181]
	s_delay_alu instid0(VALU_DEP_1) | instskip(SKIP_1) | instid1(VALU_DEP_2)
	v_add_co_u32 v68, vcc_lo, s0, v64
	s_wait_alu 0xfffd
	v_add_co_ci_u32_e64 v69, null, s1, v65, vcc_lo
	v_add_co_u32 v64, vcc_lo, v66, v213
	s_wait_alu 0xfffd
	v_add_co_ci_u32_e64 v65, null, 0, v67, vcc_lo
	;; [unrolled: 3-line block ×3, first 2 shown]
	s_clause 0x1
	global_load_b128 v[64:67], v[64:65], off
	global_load_b128 v[68:71], v[68:69], off
	s_mul_u64 s[0:1], s[14:15], s[34:35]
	s_add_co_i32 s14, s14, 64
	s_wait_alu 0xfffe
	s_lshl_b64 s[0:1], s[0:1], 2
	s_wait_alu 0xfffe
	s_add_nc_u64 s[0:1], s[8:9], s[0:1]
	s_wait_loadcnt 0x1
	ds_store_b128 v187, v[64:67]
	s_wait_loadcnt 0x0
	ds_store_b128 v107, v[68:71]
	s_wait_storecnt_dscnt 0x0
	s_barrier_signal -1
	s_barrier_wait -1
	global_inv scope:SCOPE_SE
	ds_load_b128 v[72:75], v206
	ds_load_b128 v[76:79], v206 offset:32
	s_wait_dscnt 0x1
	v_wmma_f32_16x16x16_f16 v[64:71], v[72:75], v[60:63], 0
	s_wait_dscnt 0x0
	s_delay_alu instid0(VALU_DEP_1)
	v_wmma_f32_16x16x16_f16 v[64:71], v[76:79], v[56:59], v[64:71]
	ds_load_b128 v[72:75], v206 offset:64
	ds_load_b128 v[76:79], v206 offset:96
	s_wait_dscnt 0x1
	v_wmma_f32_16x16x16_f16 v[64:71], v[72:75], v[52:55], v[64:71]
	s_wait_dscnt 0x0
	s_delay_alu instid0(VALU_DEP_1)
	v_wmma_f32_16x16x16_f16 v[64:71], v[76:79], v[48:51], v[64:71]
	ds_load_b128 v[72:75], v206 offset:128
	;; [unrolled: 7-line block ×4, first 2 shown]
	ds_load_b128 v[76:79], v206 offset:4384
	ds_load_b128 v[80:83], v206 offset:4416
	;; [unrolled: 1-line block ×23, first 2 shown]
	s_wait_loadcnt_dscnt 0x0
	s_barrier_signal -1
	s_barrier_wait -1
	global_inv scope:SCOPE_SE
	scratch_load_b32 v86, off, off offset:32 ; 4-byte Folded Reload
	ds_load_2addr_b32 v[84:85], v84 offset1:1
	ds_load_b32 v161, v112 offset:17416
	s_wait_dscnt 0x0
	v_cvt_f32_f16_e64 v162, v161
	v_lshrrev_b32_e32 v161, 16, v161
	s_delay_alu instid0(VALU_DEP_2) | instskip(NEXT) | instid1(VALU_DEP_2)
	v_add_f32_e32 v230, v68, v162
	v_cvt_f32_f16_e64 v161, v161
	s_wait_loadcnt 0x0
	ds_load_2addr_b32 v[172:173], v86 offset1:1
	scratch_load_b32 v86, off, off offset:16 ; 4-byte Folded Reload
	v_cvt_f32_f16_e32 v87, v84
	v_lshrrev_b32_e32 v84, 16, v84
	v_cvt_f32_f16_e32 v96, v85
	v_lshrrev_b32_e32 v85, 16, v85
	s_delay_alu instid0(VALU_DEP_1)
	v_cvt_f32_f16_e64 v229, v85
	s_wait_loadcnt 0x0
	ds_load_b32 v86, v86 offset:17408
	s_wait_dscnt 0x0
	v_lshrrev_b32_e32 v163, 16, v86
	v_cvt_f32_f16_e64 v228, v86
	v_cvt_f32_f16_e32 v86, v84
	v_dual_add_f32 v84, v64, v87 :: v_dual_add_f32 v87, v67, v229
	s_delay_alu instid0(VALU_DEP_4) | instskip(SKIP_1) | instid1(VALU_DEP_4)
	v_cvt_f32_f16_e64 v163, v163
	v_add_f32_e32 v229, v69, v161
	v_dual_add_f32 v85, v65, v86 :: v_dual_add_f32 v86, v66, v96
	v_add_f32_e32 v162, v70, v228
	s_delay_alu instid0(VALU_DEP_4) | instskip(SKIP_1) | instid1(VALU_DEP_1)
	v_add_f32_e32 v96, v71, v163
	v_wmma_f32_16x16x16_f16 v[64:71], v[72:75], v[60:63], 0
	v_wmma_f32_16x16x16_f16 v[64:71], v[76:79], v[56:59], v[64:71]
	ds_load_2addr_b32 v[72:73], v108 offset1:1
	ds_load_2addr_b32 v[74:75], v115 offset1:1
	;; [unrolled: 1-line block ×4, first 2 shown]
	v_wmma_f32_16x16x16_f16 v[64:71], v[80:83], v[52:55], v[64:71]
	v_lshrrev_b32_e32 v81, 16, v172
	v_lshrrev_b32_e32 v83, 16, v173
	v_cvt_f32_f16_e64 v80, v172
	v_cvt_f32_f16_e64 v82, v173
	v_wmma_f32_16x16x16_f16 v[64:71], v[157:160], v[48:51], v[64:71]
	v_cvt_f32_f16_e32 v81, v81
	v_cvt_f32_f16_e32 v83, v83
	v_dual_mov_b32 v173, v170 :: v_dual_mov_b32 v172, v169
	s_delay_alu instid0(VALU_DEP_4) | instskip(SKIP_3) | instid1(VALU_DEP_3)
	v_wmma_f32_16x16x16_f16 v[64:71], v[235:238], v[44:47], v[64:71]
	s_wait_dscnt 0x3
	v_cvt_f32_f16_e64 v157, v72
	v_lshrrev_b32_e32 v72, 16, v72
	v_wmma_f32_16x16x16_f16 v[64:71], v[239:242], v[40:43], v[64:71]
	v_lshrrev_b32_e32 v158, 16, v73
	v_cvt_f32_f16_e32 v73, v73
	s_delay_alu instid0(VALU_DEP_4) | instskip(NEXT) | instid1(VALU_DEP_4)
	v_cvt_f32_f16_e32 v72, v72
	v_wmma_f32_16x16x16_f16 v[64:71], v[174:177], v[36:39], v[64:71]
	s_delay_alu instid0(VALU_DEP_4) | instskip(NEXT) | instid1(VALU_DEP_2)
	v_cvt_f32_f16_e64 v158, v158
	v_wmma_f32_16x16x16_f16 v[64:71], v[199:202], v[32:35], v[64:71]
	s_delay_alu instid0(VALU_DEP_1) | instskip(NEXT) | instid1(VALU_DEP_2)
	v_dual_add_f32 v236, v64, v80 :: v_dual_add_f32 v237, v65, v81
	v_dual_add_f32 v238, v66, v82 :: v_dual_add_f32 v239, v67, v83
	s_delay_alu instid0(VALU_DEP_3) | instskip(NEXT) | instid1(VALU_DEP_4)
	v_dual_add_f32 v243, v68, v157 :: v_dual_add_f32 v242, v69, v72
	v_dual_add_f32 v241, v70, v73 :: v_dual_add_f32 v240, v71, v158
	v_wmma_f32_16x16x16_f16 v[64:71], v[220:223], v[60:63], 0
	s_wait_dscnt 0x2
	v_cvt_f32_f16_e32 v72, v74
	v_lshrrev_b32_e32 v73, 16, v74
	v_cvt_f32_f16_e32 v74, v75
	v_wmma_f32_16x16x16_f16 v[64:71], v[224:227], v[56:59], v[64:71]
	v_lshrrev_b32_e32 v75, 16, v75
	s_wait_dscnt 0x1
	v_cvt_f32_f16_e32 v80, v76
	v_lshrrev_b32_e32 v76, 16, v76
	v_lshrrev_b32_e32 v81, 16, v77
	v_wmma_f32_16x16x16_f16 v[64:71], v[231:234], v[52:55], v[64:71]
	v_cvt_f32_f16_e32 v77, v77
	v_cvt_f32_f16_e32 v73, v73
	;; [unrolled: 1-line block ×4, first 2 shown]
	v_wmma_f32_16x16x16_f16 v[64:71], v[244:247], v[48:51], v[64:71]
	v_cvt_f32_f16_e32 v81, v81
	s_delay_alu instid0(VALU_DEP_2) | instskip(NEXT) | instid1(VALU_DEP_1)
	v_wmma_f32_16x16x16_f16 v[64:71], v[214:217], v[44:47], v[64:71]
	v_wmma_f32_16x16x16_f16 v[64:71], v[207:210], v[40:43], v[64:71]
	s_delay_alu instid0(VALU_DEP_1) | instskip(NEXT) | instid1(VALU_DEP_1)
	v_wmma_f32_16x16x16_f16 v[64:71], v[92:95], v[36:39], v[64:71]
	v_wmma_f32_16x16x16_f16 v[64:71], v[97:100], v[32:35], v[64:71]
	s_delay_alu instid0(VALU_DEP_1) | instskip(NEXT) | instid1(VALU_DEP_2)
	v_dual_add_f32 v161, v64, v72 :: v_dual_add_f32 v160, v65, v73
	v_dual_add_f32 v163, v66, v74 :: v_dual_add_f32 v224, v67, v75
	s_delay_alu instid0(VALU_DEP_3) | instskip(NEXT) | instid1(VALU_DEP_4)
	v_dual_add_f32 v228, v68, v80 :: v_dual_add_f32 v225, v71, v81
	v_dual_add_f32 v227, v69, v76 :: v_dual_add_f32 v226, v70, v77
	v_wmma_f32_16x16x16_f16 v[64:71], v[248:251], v[60:63], 0
	ds_load_2addr_b32 v[72:73], v219 offset1:1
	s_wait_dscnt 0x1
	v_lshrrev_b32_e32 v75, 16, v78
	v_cvt_f32_f16_e32 v74, v78
	v_wmma_f32_16x16x16_f16 v[64:71], v[144:147], v[56:59], v[64:71]
	v_lshrrev_b32_e32 v77, 16, v79
	v_cvt_f32_f16_e32 v76, v79
	v_cvt_f32_f16_e32 v75, v75
	v_mov_b32_e32 v144, v148
	v_wmma_f32_16x16x16_f16 v[64:71], v[123:126], v[52:55], v[64:71]
	v_cvt_f32_f16_e32 v77, v77
	s_delay_alu instid0(VALU_DEP_2) | instskip(NEXT) | instid1(VALU_DEP_1)
	v_wmma_f32_16x16x16_f16 v[64:71], v[192:195], v[48:51], v[64:71]
	v_wmma_f32_16x16x16_f16 v[64:71], v[153:156], v[44:47], v[64:71]
	s_wait_dscnt 0x0
	v_cvt_f32_f16_e32 v78, v72
	v_lshrrev_b32_e32 v72, 16, v72
	v_lshrrev_b32_e32 v79, 16, v73
	v_wmma_f32_16x16x16_f16 v[64:71], v[88:91], v[40:43], v[64:71]
	v_cvt_f32_f16_e32 v73, v73
	v_add_nc_u32_e32 v88, 0x400, v204
	v_cvt_f32_f16_e32 v72, v72
	v_cvt_f32_f16_e32 v79, v79
	v_wmma_f32_16x16x16_f16 v[64:71], v[101:104], v[36:39], v[64:71]
	s_delay_alu instid0(VALU_DEP_1) | instskip(NEXT) | instid1(VALU_DEP_1)
	v_wmma_f32_16x16x16_f16 v[64:71], v[149:152], v[32:35], v[64:71]
	v_dual_add_f32 v164, v64, v74 :: v_dual_add_f32 v221, v66, v76
	s_delay_alu instid0(VALU_DEP_2) | instskip(SKIP_1) | instid1(VALU_DEP_4)
	v_dual_add_f32 v220, v65, v75 :: v_dual_add_f32 v159, v68, v78
	v_lshlrev_b64_e32 v[64:65], 2, v[165:166]
	v_dual_add_f32 v222, v67, v77 :: v_dual_add_f32 v223, v69, v72
	v_dual_add_f32 v158, v70, v73 :: v_dual_add_f32 v157, v71, v79
	s_wait_alu 0xfffe
	s_delay_alu instid0(VALU_DEP_3) | instskip(SKIP_3) | instid1(VALU_DEP_1)
	v_add_co_u32 v66, vcc_lo, s0, v64
	s_wait_alu 0xfffd
	v_add_co_ci_u32_e64 v67, null, s1, v65, vcc_lo
	v_lshlrev_b64_e32 v[64:65], 2, v[167:168]
	v_add_co_u32 v68, vcc_lo, s0, v64
	s_wait_alu 0xfffd
	s_delay_alu instid0(VALU_DEP_2)
	v_add_co_ci_u32_e64 v69, null, s1, v65, vcc_lo
	v_add_co_u32 v64, vcc_lo, v66, v213
	s_wait_alu 0xfffd
	v_add_co_ci_u32_e64 v65, null, 0, v67, vcc_lo
	v_add_co_u32 v68, vcc_lo, v68, v213
	s_wait_alu 0xfffd
	v_add_co_ci_u32_e64 v69, null, 0, v69, vcc_lo
	s_clause 0x1
	global_load_b128 v[64:67], v[64:65], off
	global_load_b128 v[68:71], v[68:69], off
	s_wait_loadcnt 0x1
	ds_store_b128 v198, v[64:67]
	s_wait_loadcnt 0x0
	ds_store_b128 v111, v[68:71]
	v_lshlrev_b64_e32 v[64:65], 2, v[129:130]
	s_delay_alu instid0(VALU_DEP_1) | instskip(SKIP_1) | instid1(VALU_DEP_2)
	v_add_co_u32 v66, vcc_lo, s0, v64
	s_wait_alu 0xfffd
	v_add_co_ci_u32_e64 v67, null, s1, v65, vcc_lo
	v_lshlrev_b64_e32 v[64:65], 2, v[131:132]
	s_delay_alu instid0(VALU_DEP_1) | instskip(SKIP_1) | instid1(VALU_DEP_2)
	v_add_co_u32 v68, vcc_lo, s0, v64
	s_wait_alu 0xfffd
	v_add_co_ci_u32_e64 v69, null, s1, v65, vcc_lo
	v_add_co_u32 v64, vcc_lo, v66, v213
	s_wait_alu 0xfffd
	v_add_co_ci_u32_e64 v65, null, 0, v67, vcc_lo
	v_add_co_u32 v68, vcc_lo, v68, v213
	s_wait_alu 0xfffd
	v_add_co_ci_u32_e64 v69, null, 0, v69, vcc_lo
	s_clause 0x1
	global_load_b128 v[64:67], v[64:65], off
	global_load_b128 v[68:71], v[68:69], off
	s_wait_loadcnt 0x1
	ds_store_b128 v205, v[64:67]
	s_wait_loadcnt 0x0
	ds_store_b128 v141, v[68:71]
	v_lshlrev_b64_e32 v[64:65], 2, v[133:134]
	s_delay_alu instid0(VALU_DEP_1) | instskip(SKIP_1) | instid1(VALU_DEP_2)
	v_add_co_u32 v66, vcc_lo, s0, v64
	s_wait_alu 0xfffd
	v_add_co_ci_u32_e64 v67, null, s1, v65, vcc_lo
	v_lshlrev_b64_e32 v[64:65], 2, v[135:136]
	s_delay_alu instid0(VALU_DEP_1) | instskip(SKIP_1) | instid1(VALU_DEP_2)
	v_add_co_u32 v68, vcc_lo, s0, v64
	s_wait_alu 0xfffd
	;; [unrolled: 23-line block ×3, first 2 shown]
	v_add_co_ci_u32_e64 v69, null, s1, v65, vcc_lo
	v_add_co_u32 v64, vcc_lo, v66, v213
	s_wait_alu 0xfffd
	v_add_co_ci_u32_e64 v65, null, 0, v67, vcc_lo
	v_add_co_u32 v68, vcc_lo, v68, v213
	s_wait_alu 0xfffd
	v_add_co_ci_u32_e64 v69, null, 0, v69, vcc_lo
	s_clause 0x1
	global_load_b128 v[64:67], v[64:65], off
	global_load_b128 v[68:71], v[68:69], off
	s_wait_loadcnt 0x1
	ds_store_b128 v187, v[64:67]
	s_wait_loadcnt 0x0
	ds_store_b128 v107, v[68:71]
	s_wait_dscnt 0x0
	s_barrier_signal -1
	s_barrier_wait -1
	global_inv scope:SCOPE_SE
	ds_load_2addr_b32 v[64:65], v88 offset0:16 offset1:32
	ds_load_2addr_b32 v[68:69], v88 offset0:84 offset1:100
	ds_load_2addr_b32 v[71:72], v211 offset1:16
	ds_load_2addr_b32 v[75:76], v212 offset1:16
	s_wait_dscnt 0x2
	v_perm_b32 v74, v69, v65, 0x7060302
	v_perm_b32 v78, v69, v65, 0x5040100
	s_wait_dscnt 0x0
	v_perm_b32 v67, v75, v71, 0x7060302
	v_perm_b32 v71, v75, v71, 0x5040100
	;; [unrolled: 1-line block ×4, first 2 shown]
	ds_load_2addr_b32 v[76:77], v204 offset0:136 offset1:152
	ds_load_2addr_b32 v[80:81], v204 offset0:204 offset1:220
	v_perm_b32 v66, v68, v64, 0x7060302
	v_perm_b32 v70, v68, v64, 0x5040100
	s_wait_dscnt 0x0
	v_perm_b32 v65, v80, v76, 0x7060302
	v_perm_b32 v69, v80, v76, 0x5040100
	;; [unrolled: 1-line block ×4, first 2 shown]
	ds_load_2addr_b32 v[80:81], v204 offset1:16
	ds_load_2addr_b32 v[82:83], v204 offset0:68 offset1:84
	s_wait_dscnt 0x0
	v_perm_b32 v64, v82, v80, 0x7060302
	v_perm_b32 v68, v82, v80, 0x5040100
	;; [unrolled: 1-line block ×4, first 2 shown]
	ds_load_2addr_b32 v[80:81], v88 offset0:48 offset1:64
	ds_load_2addr_b32 v[88:89], v88 offset0:116 offset1:132
	ds_load_2addr_b32 v[91:92], v211 offset0:32 offset1:48
	ds_load_2addr_b32 v[97:98], v212 offset0:32 offset1:48
	s_wait_dscnt 0x2
	v_perm_b32 v94, v89, v81, 0x7060302
	v_perm_b32 v99, v89, v81, 0x5040100
	s_wait_dscnt 0x0
	v_perm_b32 v83, v97, v91, 0x7060302
	v_perm_b32 v91, v97, v91, 0x5040100
	;; [unrolled: 1-line block ×4, first 2 shown]
	ds_load_2addr_b32 v[97:98], v204 offset0:168 offset1:184
	ds_load_2addr_b32 v[101:102], v204 offset0:236 offset1:252
	v_perm_b32 v82, v88, v80, 0x7060302
	v_perm_b32 v90, v88, v80, 0x5040100
	s_wait_dscnt 0x0
	v_perm_b32 v81, v101, v97, 0x7060302
	v_perm_b32 v89, v101, v97, 0x5040100
	;; [unrolled: 1-line block ×4, first 2 shown]
	ds_load_2addr_b32 v[101:102], v204 offset0:32 offset1:48
	ds_load_2addr_b32 v[103:104], v204 offset0:100 offset1:116
	s_wait_dscnt 0x0
	v_perm_b32 v80, v103, v101, 0x7060302
	v_perm_b32 v88, v103, v101, 0x5040100
	;; [unrolled: 1-line block ×4, first 2 shown]
	v_dual_add_f32 v101, 0x40051340, v84 :: v_dual_add_f32 v102, 0x40051340, v85
	v_add_f32_e32 v103, 0x40051340, v87
	s_delay_alu instid0(VALU_DEP_2) | instskip(SKIP_1) | instid1(VALU_DEP_1)
	v_max3_num_f32 v101, v144, v101, v102
	v_add_f32_e32 v102, 0x40051340, v86
	v_max3_num_f32 v101, v101, v102, v103
	v_dual_add_f32 v102, 0x40051340, v230 :: v_dual_add_f32 v103, 0x40051340, v229
	s_delay_alu instid0(VALU_DEP_1) | instskip(SKIP_1) | instid1(VALU_DEP_1)
	v_max3_num_f32 v101, v101, v102, v103
	v_dual_add_f32 v102, 0x40051340, v162 :: v_dual_add_f32 v103, 0x40051340, v96
	v_max3_num_f32 v101, v101, v102, v103
	v_dual_add_f32 v102, 0x40051340, v236 :: v_dual_add_f32 v103, 0x40051340, v237
	s_delay_alu instid0(VALU_DEP_1) | instskip(SKIP_1) | instid1(VALU_DEP_1)
	v_max3_num_f32 v101, v101, v102, v103
	v_dual_add_f32 v102, 0x40051340, v238 :: v_dual_add_f32 v103, 0x40051340, v239
	v_max3_num_f32 v101, v101, v102, v103
	v_dual_add_f32 v102, 0x40051340, v243 :: v_dual_add_f32 v103, 0x40051340, v242
	s_delay_alu instid0(VALU_DEP_1) | instskip(SKIP_1) | instid1(VALU_DEP_1)
	v_max3_num_f32 v101, v101, v102, v103
	v_dual_add_f32 v102, 0x40051340, v241 :: v_dual_add_f32 v103, 0x40051340, v240
	v_max3_num_f32 v101, v101, v102, v103
	v_dual_add_f32 v102, 0x40051340, v161 :: v_dual_add_f32 v103, 0x40051340, v160
	s_delay_alu instid0(VALU_DEP_1) | instskip(SKIP_1) | instid1(VALU_DEP_1)
	v_max3_num_f32 v101, v101, v102, v103
	v_dual_add_f32 v102, 0x40051340, v163 :: v_dual_add_f32 v103, 0x40051340, v224
	v_max3_num_f32 v101, v101, v102, v103
	v_dual_add_f32 v102, 0x40051340, v228 :: v_dual_add_f32 v103, 0x40051340, v227
	s_delay_alu instid0(VALU_DEP_1) | instskip(SKIP_1) | instid1(VALU_DEP_1)
	v_max3_num_f32 v101, v101, v102, v103
	v_dual_add_f32 v102, 0x40051340, v226 :: v_dual_add_f32 v103, 0x40051340, v225
	v_max3_num_f32 v101, v101, v102, v103
	v_add_f32_e32 v102, 0x40051340, v164
	v_add_f32_e32 v103, 0x40051340, v220
	s_delay_alu instid0(VALU_DEP_1) | instskip(SKIP_1) | instid1(VALU_DEP_1)
	v_max3_num_f32 v101, v101, v102, v103
	v_dual_add_f32 v102, 0x40051340, v221 :: v_dual_add_f32 v103, 0x40051340, v222
	v_max3_num_f32 v101, v101, v102, v103
	v_add_f32_e32 v102, 0x40051340, v159
	v_add_f32_e32 v103, 0x40051340, v223
	s_delay_alu instid0(VALU_DEP_1) | instskip(SKIP_1) | instid1(VALU_DEP_1)
	v_max3_num_f32 v101, v101, v102, v103
	v_dual_add_f32 v102, 0x40051340, v158 :: v_dual_add_f32 v103, 0x40051340, v157
	v_max3_num_f32 v101, v101, v102, v103
	scratch_load_b32 v102, off, off offset:24 ; 4-byte Folded Reload
	s_wait_loadcnt 0x0
	ds_bpermute_b32 v102, v102, v101
	s_wait_dscnt 0x0
	v_max_num_f32_e32 v102, v102, v102
	s_delay_alu instid0(VALU_DEP_1) | instskip(NEXT) | instid1(VALU_DEP_1)
	v_max_num_f32_e32 v148, v101, v102
	v_sub_f32_e32 v101, v230, v148
	s_delay_alu instid0(VALU_DEP_1) | instskip(SKIP_1) | instid1(VALU_DEP_2)
	v_mul_f32_e32 v102, 0x3fb8aa3b, v101
	v_cmp_ngt_f32_e64 s2, 0xc2ce8ed0, v101
	v_fma_f32 v103, 0x3fb8aa3b, v101, -v102
	v_rndne_f32_e32 v104, v102
	s_delay_alu instid0(VALU_DEP_1) | instskip(SKIP_1) | instid1(VALU_DEP_2)
	v_dual_fmac_f32 v103, 0x32a5705f, v101 :: v_dual_sub_f32 v102, v102, v104
	v_cvt_i32_f32_e32 v104, v104
	v_dual_add_f32 v102, v102, v103 :: v_dual_sub_f32 v103, v229, v148
	s_delay_alu instid0(VALU_DEP_1)
	v_mul_f32_e32 v145, 0x3fb8aa3b, v103
	v_cmp_ngt_f32_e32 vcc_lo, 0xc2ce8ed0, v103
	v_sub_f32_e32 v87, v87, v148
	v_sub_f32_e32 v96, v96, v148
	;; [unrolled: 1-line block ×3, first 2 shown]
	v_fma_f32 v146, 0x3fb8aa3b, v103, -v145
	v_rndne_f32_e32 v147, v145
	v_sub_f32_e32 v86, v86, v148
	v_cmp_ngt_f32_e64 s1, 0xc2ce8ed0, v96
	v_sub_f32_e32 v84, v84, v148
	v_fmac_f32_e32 v146, 0x32a5705f, v103
	v_sub_f32_e32 v145, v145, v147
	v_cvt_i32_f32_e32 v147, v147
	s_delay_alu instid0(VALU_DEP_2) | instskip(NEXT) | instid1(VALU_DEP_1)
	v_dual_add_f32 v145, v145, v146 :: v_dual_sub_f32 v146, v162, v148
	v_exp_f32_e32 v145, v145
	s_delay_alu instid0(VALU_DEP_1) | instskip(SKIP_1) | instid1(VALU_DEP_1)
	v_mul_f32_e32 v149, 0x3fb8aa3b, v146
	v_exp_f32_e32 v102, v102
	v_fma_f32 v150, 0x3fb8aa3b, v146, -v149
	v_rndne_f32_e32 v151, v149
	s_delay_alu instid0(TRANS32_DEP_2) | instskip(NEXT) | instid1(VALU_DEP_2)
	v_ldexp_f32 v145, v145, v147
	v_dual_sub_f32 v149, v149, v151 :: v_dual_fmac_f32 v150, 0x32a5705f, v146
	s_delay_alu instid0(TRANS32_DEP_1) | instskip(SKIP_1) | instid1(VALU_DEP_3)
	v_ldexp_f32 v102, v102, v104
	s_wait_alu 0xfffd
	v_cndmask_b32_e32 v145, 0, v145, vcc_lo
	v_cmp_nlt_f32_e32 vcc_lo, 0x42b17218, v103
	v_cvt_i32_f32_e32 v104, v151
	v_dual_add_f32 v149, v149, v150 :: v_dual_mul_f32 v150, 0x3fb8aa3b, v96
	v_cmp_ngt_f32_e64 s0, 0xc2ce8ed0, v146
	s_wait_alu 0xfffd
	v_cndmask_b32_e32 v230, 0x7f800000, v145, vcc_lo
	v_cmp_ngt_f32_e32 vcc_lo, 0xc2ce8ed0, v87
	v_exp_f32_e32 v149, v149
	v_fma_f32 v152, 0x3fb8aa3b, v96, -v150
	v_rndne_f32_e32 v153, v150
	v_cvt_f16_f32_e64 v145, v230
	s_delay_alu instid0(VALU_DEP_3) | instskip(NEXT) | instid1(VALU_DEP_3)
	v_fmac_f32_e32 v152, 0x32a5705f, v96
	v_sub_f32_e32 v150, v150, v153
	v_cvt_i32_f32_e32 v147, v153
	s_delay_alu instid0(TRANS32_DEP_1) | instskip(NEXT) | instid1(VALU_DEP_3)
	v_ldexp_f32 v104, v149, v104
	v_add_f32_e32 v150, v150, v152
	s_wait_alu 0xf1ff
	s_delay_alu instid0(VALU_DEP_2) | instskip(SKIP_1) | instid1(VALU_DEP_3)
	v_cndmask_b32_e64 v103, 0, v104, s0
	v_cmp_nlt_f32_e64 s0, 0x42b17218, v146
	v_exp_f32_e32 v149, v150
	s_delay_alu instid0(TRANS32_DEP_1) | instskip(NEXT) | instid1(VALU_DEP_1)
	v_ldexp_f32 v147, v149, v147
	v_cndmask_b32_e64 v104, 0, v147, s1
	v_cmp_nlt_f32_e64 s1, 0x42b17218, v96
	v_cndmask_b32_e64 v96, 0, v102, s2
	v_cmp_nlt_f32_e64 s2, 0x42b17218, v101
	s_wait_alu 0xf1ff
	s_delay_alu instid0(VALU_DEP_3) | instskip(NEXT) | instid1(VALU_DEP_2)
	v_cndmask_b32_e64 v162, 0x7f800000, v104, s1
	v_cndmask_b32_e64 v229, 0x7f800000, v96, s2
	v_cndmask_b32_e64 v96, 0x7f800000, v103, s0
	v_cmp_ngt_f32_e64 s0, 0xc2ce8ed0, v86
	s_delay_alu instid0(VALU_DEP_4) | instskip(NEXT) | instid1(VALU_DEP_4)
	v_cvt_f16_f32_e64 v103, v162
	v_cvt_f16_f32_e64 v101, v229
	s_delay_alu instid0(VALU_DEP_4) | instskip(NEXT) | instid1(VALU_DEP_1)
	v_cvt_f16_f32_e32 v102, v96
	v_pack_b32_f16 v104, v102, v103
	s_delay_alu instid0(VALU_DEP_3) | instskip(SKIP_1) | instid1(VALU_DEP_1)
	v_pack_b32_f16 v103, v101, v145
	v_mul_f32_e32 v101, 0x3fb8aa3b, v87
	v_fma_f32 v102, 0x3fb8aa3b, v87, -v101
	v_rndne_f32_e32 v145, v101
	s_delay_alu instid0(VALU_DEP_1) | instskip(SKIP_1) | instid1(VALU_DEP_2)
	v_dual_fmac_f32 v102, 0x32a5705f, v87 :: v_dual_sub_f32 v101, v101, v145
	v_cvt_i32_f32_e32 v145, v145
	v_add_f32_e32 v101, v101, v102
	v_mul_f32_e32 v102, 0x3fb8aa3b, v86
	s_delay_alu instid0(VALU_DEP_2) | instskip(NEXT) | instid1(VALU_DEP_1)
	v_exp_f32_e32 v101, v101
	v_fma_f32 v146, 0x3fb8aa3b, v86, -v102
	v_rndne_f32_e32 v147, v102
	s_delay_alu instid0(VALU_DEP_2) | instskip(NEXT) | instid1(VALU_DEP_2)
	v_fmac_f32_e32 v146, 0x32a5705f, v86
	v_sub_f32_e32 v102, v102, v147
	s_delay_alu instid0(TRANS32_DEP_1) | instskip(SKIP_2) | instid1(VALU_DEP_2)
	v_ldexp_f32 v101, v101, v145
	v_cvt_i32_f32_e32 v145, v147
	s_wait_alu 0xfffd
	v_dual_add_f32 v102, v102, v146 :: v_dual_cndmask_b32 v101, 0, v101
	v_cmp_nlt_f32_e32 vcc_lo, 0x42b17218, v87
	s_delay_alu instid0(VALU_DEP_2) | instskip(SKIP_1) | instid1(VALU_DEP_2)
	v_exp_f32_e32 v102, v102
	s_wait_alu 0xfffd
	v_cndmask_b32_e32 v232, 0x7f800000, v101, vcc_lo
	v_cmp_ngt_f32_e32 vcc_lo, 0xc2ce8ed0, v85
	s_delay_alu instid0(TRANS32_DEP_1) | instskip(SKIP_1) | instid1(VALU_DEP_1)
	v_ldexp_f32 v102, v102, v145
	s_wait_alu 0xf1ff
	v_cndmask_b32_e64 v87, 0, v102, s0
	v_cmp_nlt_f32_e64 s0, 0x42b17218, v86
	s_wait_alu 0xf1ff
	s_delay_alu instid0(VALU_DEP_1) | instskip(SKIP_2) | instid1(VALU_DEP_3)
	v_cndmask_b32_e64 v231, 0x7f800000, v87, s0
	v_cvt_f16_f32_e64 v87, v232
	v_cmp_ngt_f32_e64 s0, 0xc2ce8ed0, v84
	v_cvt_f16_f32_e64 v86, v231
	s_delay_alu instid0(VALU_DEP_1) | instskip(SKIP_1) | instid1(VALU_DEP_1)
	v_pack_b32_f16 v102, v86, v87
	v_mul_f32_e32 v86, 0x3fb8aa3b, v85
	v_fma_f32 v87, 0x3fb8aa3b, v85, -v86
	v_rndne_f32_e32 v101, v86
	s_delay_alu instid0(VALU_DEP_2) | instskip(NEXT) | instid1(VALU_DEP_2)
	v_fmac_f32_e32 v87, 0x32a5705f, v85
	v_sub_f32_e32 v86, v86, v101
	v_cvt_i32_f32_e32 v101, v101
	s_delay_alu instid0(VALU_DEP_2) | instskip(NEXT) | instid1(VALU_DEP_1)
	v_dual_add_f32 v86, v86, v87 :: v_dual_mul_f32 v87, 0x3fb8aa3b, v84
	v_exp_f32_e32 v86, v86
	s_delay_alu instid0(VALU_DEP_1) | instskip(SKIP_1) | instid1(VALU_DEP_2)
	v_fma_f32 v145, 0x3fb8aa3b, v84, -v87
	v_rndne_f32_e32 v146, v87
	v_fmac_f32_e32 v145, 0x32a5705f, v84
	s_delay_alu instid0(VALU_DEP_2) | instskip(NEXT) | instid1(TRANS32_DEP_1)
	v_sub_f32_e32 v87, v87, v146
	v_ldexp_f32 v86, v86, v101
	v_cvt_i32_f32_e32 v101, v146
	s_wait_alu 0xfffd
	s_delay_alu instid0(VALU_DEP_2) | instskip(SKIP_1) | instid1(VALU_DEP_2)
	v_dual_add_f32 v87, v87, v145 :: v_dual_cndmask_b32 v86, 0, v86
	v_cmp_nlt_f32_e32 vcc_lo, 0x42b17218, v85
	v_exp_f32_e32 v87, v87
	s_wait_alu 0xfffd
	s_delay_alu instid0(VALU_DEP_2) | instskip(NEXT) | instid1(TRANS32_DEP_1)
	v_cndmask_b32_e32 v234, 0x7f800000, v86, vcc_lo
	v_ldexp_f32 v87, v87, v101
	s_wait_alu 0xf1ff
	s_delay_alu instid0(VALU_DEP_1) | instskip(SKIP_2) | instid1(VALU_DEP_1)
	v_cndmask_b32_e64 v85, 0, v87, s0
	v_cmp_nlt_f32_e64 s0, 0x42b17218, v84
	s_wait_alu 0xf1ff
	v_cndmask_b32_e64 v233, 0x7f800000, v85, s0
	v_cvt_f16_f32_e64 v85, v234
	s_delay_alu instid0(VALU_DEP_2) | instskip(NEXT) | instid1(VALU_DEP_1)
	v_cvt_f16_f32_e64 v84, v233
	v_pack_b32_f16 v101, v84, v85
	v_sub_f32_e32 v84, v144, v148
	s_delay_alu instid0(VALU_DEP_1) | instskip(SKIP_1) | instid1(VALU_DEP_2)
	v_mul_f32_e32 v85, 0x3fb8aa3b, v84
	v_cmp_ngt_f32_e32 vcc_lo, 0xc2ce8ed0, v84
	v_fma_f32 v86, 0x3fb8aa3b, v84, -v85
	v_rndne_f32_e32 v87, v85
	s_delay_alu instid0(VALU_DEP_1) | instskip(NEXT) | instid1(VALU_DEP_1)
	v_dual_fmac_f32 v86, 0x32a5705f, v84 :: v_dual_sub_f32 v85, v85, v87
	v_add_f32_e32 v85, v85, v86
	v_cvt_i32_f32_e32 v86, v87
	s_delay_alu instid0(VALU_DEP_2) | instskip(NEXT) | instid1(TRANS32_DEP_1)
	v_exp_f32_e32 v85, v85
	v_ldexp_f32 v85, v85, v86
	s_wait_alu 0xfffd
	s_delay_alu instid0(VALU_DEP_1) | instskip(SKIP_2) | instid1(VALU_DEP_2)
	v_cndmask_b32_e32 v85, 0, v85, vcc_lo
	v_cmp_nlt_f32_e32 vcc_lo, 0x42b17218, v84
	s_wait_alu 0xfffd
	v_cndmask_b32_e32 v85, 0x7f800000, v85, vcc_lo
	v_cmp_le_f32_e32 vcc_lo, 0xc1a00000, v84
	s_wait_alu 0xfffd
	s_delay_alu instid0(VALU_DEP_2) | instskip(SKIP_1) | instid1(VALU_DEP_2)
	v_cndmask_b32_e32 v235, 0, v85, vcc_lo
	v_add_nc_u32_e32 v85, 0x1400, v204
	v_cvt_f16_f32_e64 v84, v235
	s_delay_alu instid0(VALU_DEP_1) | instskip(NEXT) | instid1(VALU_DEP_1)
	v_and_b32_e32 v84, 0xffff, v84
	v_mul_u32_u24_e32 v84, 0x10001, v84
	s_delay_alu instid0(VALU_DEP_1)
	v_pk_mul_f16 v24, v24, v84
	v_pk_mul_f16 v25, v25, v84
	;; [unrolled: 1-line block ×16, first 2 shown]
	v_wmma_f16_16x16x16_f16 v[24:27], v[76:79], v[101:104], v[24:27]
	v_add_nc_u32_e32 v76, 0x1000, v211
	v_add_nc_u32_e32 v77, 0x1000, v212
	v_wmma_f16_16x16x16_f16 v[28:31], v[68:71], v[101:104], v[28:31]
	v_wmma_f16_16x16x16_f16 v[20:23], v[64:67], v[101:104], v[20:23]
	;; [unrolled: 1-line block ×3, first 2 shown]
	ds_load_2addr_b32 v[64:65], v85 offset0:80 offset1:96
	ds_load_2addr_b32 v[67:68], v85 offset0:148 offset1:164
	;; [unrolled: 1-line block ×4, first 2 shown]
	v_pk_mul_f16 v4, v4, v84
	v_pk_mul_f16 v5, v5, v84
	;; [unrolled: 1-line block ×8, first 2 shown]
	v_wmma_f16_16x16x16_f16 v[4:7], v[97:100], v[101:104], v[4:7]
	v_pk_mul_f16 v0, v0, v84
	v_pk_mul_f16 v1, v1, v84
	;; [unrolled: 1-line block ×4, first 2 shown]
	v_add_nc_u32_e32 v99, 0x1000, v204
	v_wmma_f16_16x16x16_f16 v[12:15], v[88:91], v[101:104], v[12:15]
	v_pk_mul_f16 v8, v8, v84
	v_pk_mul_f16 v9, v9, v84
	v_wmma_f16_16x16x16_f16 v[0:3], v[92:95], v[101:104], v[0:3]
	s_wait_dscnt 0x2
	v_perm_b32 v90, v67, v64, 0x7060302
	s_wait_dscnt 0x0
	v_perm_b32 v91, v71, v69, 0x7060302
	v_perm_b32 v95, v71, v69, 0x5040100
	;; [unrolled: 1-line block ×7, first 2 shown]
	ds_load_2addr_b32 v[68:69], v99 offset0:200 offset1:216
	ds_load_2addr_b32 v[72:73], v85 offset0:12 offset1:28
	v_pk_mul_f16 v10, v10, v84
	v_pk_mul_f16 v11, v11, v84
	s_delay_alu instid0(VALU_DEP_1)
	v_wmma_f16_16x16x16_f16 v[8:11], v[80:83], v[101:104], v[8:11]
	s_wait_dscnt 0x0
	v_perm_b32 v89, v72, v68, 0x7060302
	v_perm_b32 v93, v72, v68, 0x5040100
	;; [unrolled: 1-line block ×4, first 2 shown]
	ds_load_2addr_b32 v[72:73], v99 offset0:64 offset1:80
	ds_load_2addr_b32 v[74:75], v99 offset0:132 offset1:148
	s_wait_dscnt 0x0
	v_perm_b32 v88, v74, v72, 0x7060302
	v_perm_b32 v92, v74, v72, 0x5040100
	;; [unrolled: 1-line block ×4, first 2 shown]
	ds_load_2addr_b32 v[72:73], v76 offset0:96 offset1:112
	ds_load_2addr_b32 v[76:77], v77 offset0:96 offset1:112
	;; [unrolled: 1-line block ×4, first 2 shown]
	s_wait_dscnt 0x2
	v_perm_b32 v87, v77, v73, 0x5040100
	v_perm_b32 v75, v76, v72, 0x7060302
	s_wait_dscnt 0x0
	v_perm_b32 v82, v84, v81, 0x7060302
	v_perm_b32 v86, v84, v81, 0x5040100
	ds_load_2addr_b32 v[84:85], v85 offset0:44 offset1:60
	ds_load_2addr_b32 v[97:98], v99 offset0:232 offset1:248
	v_perm_b32 v74, v83, v80, 0x7060302
	v_perm_b32 v78, v83, v80, 0x5040100
	;; [unrolled: 1-line block ×4, first 2 shown]
	s_wait_dscnt 0x0
	v_perm_b32 v73, v84, v97, 0x7060302
	v_perm_b32 v77, v84, v97, 0x5040100
	;; [unrolled: 1-line block ×4, first 2 shown]
	ds_load_2addr_b32 v[97:98], v99 offset0:96 offset1:112
	ds_load_2addr_b32 v[99:100], v99 offset0:164 offset1:180
	s_wait_dscnt 0x0
	v_perm_b32 v72, v99, v97, 0x7060302
	v_perm_b32 v76, v99, v97, 0x5040100
	v_sub_f32_e32 v97, v243, v148
	v_perm_b32 v80, v100, v98, 0x7060302
	v_perm_b32 v84, v100, v98, 0x5040100
	s_delay_alu instid0(VALU_DEP_3) | instskip(SKIP_1) | instid1(VALU_DEP_2)
	v_mul_f32_e32 v98, 0x3fb8aa3b, v97
	v_cmp_ngt_f32_e64 s2, 0xc2ce8ed0, v97
	v_fma_f32 v99, 0x3fb8aa3b, v97, -v98
	v_rndne_f32_e32 v100, v98
	s_delay_alu instid0(VALU_DEP_1) | instskip(SKIP_1) | instid1(VALU_DEP_2)
	v_dual_fmac_f32 v99, 0x32a5705f, v97 :: v_dual_sub_f32 v98, v98, v100
	v_cvt_i32_f32_e32 v100, v100
	v_add_f32_e32 v98, v98, v99
	v_sub_f32_e32 v99, v242, v148
	s_delay_alu instid0(VALU_DEP_2) | instskip(NEXT) | instid1(VALU_DEP_1)
	v_exp_f32_e32 v98, v98
	v_mul_f32_e32 v101, 0x3fb8aa3b, v99
	v_cmp_ngt_f32_e32 vcc_lo, 0xc2ce8ed0, v99
	s_delay_alu instid0(VALU_DEP_2) | instskip(SKIP_1) | instid1(TRANS32_DEP_1)
	v_fma_f32 v102, 0x3fb8aa3b, v99, -v101
	v_rndne_f32_e32 v103, v101
	v_ldexp_f32 v98, v98, v100
	s_delay_alu instid0(VALU_DEP_3) | instskip(NEXT) | instid1(VALU_DEP_3)
	v_fmac_f32_e32 v102, 0x32a5705f, v99
	v_sub_f32_e32 v101, v101, v103
	v_cvt_i32_f32_e32 v103, v103
	s_wait_alu 0xf1ff
	v_cndmask_b32_e64 v98, 0, v98, s2
	v_cmp_nlt_f32_e64 s2, 0x42b17218, v97
	v_add_f32_e32 v101, v101, v102
	s_wait_alu 0xf1ff
	s_delay_alu instid0(VALU_DEP_2) | instskip(NEXT) | instid1(VALU_DEP_2)
	v_cndmask_b32_e64 v242, 0x7f800000, v98, s2
	v_exp_f32_e32 v101, v101
	s_delay_alu instid0(VALU_DEP_1) | instskip(NEXT) | instid1(TRANS32_DEP_1)
	v_cvt_f16_f32_e64 v97, v242
	v_ldexp_f32 v101, v101, v103
	s_wait_alu 0xfffd
	s_delay_alu instid0(VALU_DEP_1) | instskip(SKIP_2) | instid1(VALU_DEP_2)
	v_cndmask_b32_e32 v101, 0, v101, vcc_lo
	v_cmp_nlt_f32_e32 vcc_lo, 0x42b17218, v99
	s_wait_alu 0xfffd
	v_dual_sub_f32 v102, v241, v148 :: v_dual_cndmask_b32 v243, 0x7f800000, v101
	s_delay_alu instid0(VALU_DEP_1) | instskip(SKIP_1) | instid1(VALU_DEP_3)
	v_mul_f32_e32 v104, 0x3fb8aa3b, v102
	v_cmp_ngt_f32_e64 s0, 0xc2ce8ed0, v102
	v_cvt_f16_f32_e64 v101, v243
	s_delay_alu instid0(VALU_DEP_3) | instskip(SKIP_1) | instid1(VALU_DEP_2)
	v_fma_f32 v144, 0x3fb8aa3b, v102, -v104
	v_rndne_f32_e32 v145, v104
	v_fmac_f32_e32 v144, 0x32a5705f, v102
	s_delay_alu instid0(VALU_DEP_2) | instskip(SKIP_1) | instid1(VALU_DEP_2)
	v_sub_f32_e32 v104, v104, v145
	v_cvt_i32_f32_e32 v100, v145
	v_add_f32_e32 v104, v104, v144
	v_sub_f32_e32 v144, v240, v148
	s_delay_alu instid0(VALU_DEP_2) | instskip(NEXT) | instid1(VALU_DEP_1)
	v_exp_f32_e32 v104, v104
	v_mul_f32_e32 v146, 0x3fb8aa3b, v144
	v_cmp_ngt_f32_e64 s1, 0xc2ce8ed0, v144
	s_delay_alu instid0(VALU_DEP_2) | instskip(SKIP_1) | instid1(TRANS32_DEP_1)
	v_fma_f32 v147, 0x3fb8aa3b, v144, -v146
	v_rndne_f32_e32 v149, v146
	v_ldexp_f32 v100, v104, v100
	s_delay_alu instid0(VALU_DEP_2) | instskip(SKIP_2) | instid1(VALU_DEP_3)
	v_dual_fmac_f32 v147, 0x32a5705f, v144 :: v_dual_sub_f32 v146, v146, v149
	v_cvt_i32_f32_e32 v103, v149
	s_wait_alu 0xf1ff
	v_cndmask_b32_e64 v99, 0, v100, s0
	v_cmp_nlt_f32_e64 s0, 0x42b17218, v102
	v_add_f32_e32 v146, v146, v147
	s_wait_alu 0xf1ff
	s_delay_alu instid0(VALU_DEP_2) | instskip(NEXT) | instid1(VALU_DEP_2)
	v_cndmask_b32_e64 v240, 0x7f800000, v99, s0
	v_exp_f32_e32 v104, v146
	s_delay_alu instid0(VALU_DEP_1) | instskip(NEXT) | instid1(TRANS32_DEP_1)
	v_cvt_f16_f32_e64 v98, v240
	v_ldexp_f32 v103, v104, v103
	s_delay_alu instid0(VALU_DEP_1) | instskip(SKIP_2) | instid1(VALU_DEP_1)
	v_cndmask_b32_e64 v100, 0, v103, s1
	v_cmp_nlt_f32_e64 s1, 0x42b17218, v144
	s_wait_alu 0xf1ff
	v_cndmask_b32_e64 v241, 0x7f800000, v100, s1
	s_delay_alu instid0(VALU_DEP_1) | instskip(NEXT) | instid1(VALU_DEP_1)
	v_cvt_f16_f32_e64 v99, v241
	v_pack_b32_f16 v100, v98, v99
	v_pack_b32_f16 v99, v97, v101
	v_sub_f32_e32 v97, v239, v148
	s_delay_alu instid0(VALU_DEP_1) | instskip(SKIP_1) | instid1(VALU_DEP_2)
	v_mul_f32_e32 v98, 0x3fb8aa3b, v97
	v_cmp_ngt_f32_e32 vcc_lo, 0xc2ce8ed0, v97
	v_fma_f32 v101, 0x3fb8aa3b, v97, -v98
	v_rndne_f32_e32 v102, v98
	s_delay_alu instid0(VALU_DEP_1) | instskip(SKIP_1) | instid1(VALU_DEP_2)
	v_dual_fmac_f32 v101, 0x32a5705f, v97 :: v_dual_sub_f32 v98, v98, v102
	v_cvt_i32_f32_e32 v102, v102
	v_add_f32_e32 v98, v98, v101
	v_sub_f32_e32 v101, v238, v148
	s_delay_alu instid0(VALU_DEP_2) | instskip(NEXT) | instid1(VALU_DEP_1)
	v_exp_f32_e32 v98, v98
	v_mul_f32_e32 v103, 0x3fb8aa3b, v101
	v_cmp_ngt_f32_e64 s0, 0xc2ce8ed0, v101
	s_delay_alu instid0(VALU_DEP_2) | instskip(SKIP_1) | instid1(TRANS32_DEP_1)
	v_fma_f32 v104, 0x3fb8aa3b, v101, -v103
	v_rndne_f32_e32 v144, v103
	v_ldexp_f32 v98, v98, v102
	s_delay_alu instid0(VALU_DEP_2) | instskip(SKIP_2) | instid1(VALU_DEP_3)
	v_dual_fmac_f32 v104, 0x32a5705f, v101 :: v_dual_sub_f32 v103, v103, v144
	v_cvt_i32_f32_e32 v102, v144
	s_wait_alu 0xfffd
	v_cndmask_b32_e32 v98, 0, v98, vcc_lo
	v_cmp_nlt_f32_e32 vcc_lo, 0x42b17218, v97
	v_add_f32_e32 v103, v103, v104
	s_wait_alu 0xfffd
	s_delay_alu instid0(VALU_DEP_3) | instskip(NEXT) | instid1(VALU_DEP_2)
	v_cndmask_b32_e32 v239, 0x7f800000, v98, vcc_lo
	v_exp_f32_e32 v103, v103
	s_delay_alu instid0(VALU_DEP_1) | instskip(NEXT) | instid1(TRANS32_DEP_1)
	v_cvt_f16_f32_e64 v98, v239
	v_ldexp_f32 v102, v103, v102
	s_wait_alu 0xf1ff
	s_delay_alu instid0(VALU_DEP_1) | instskip(SKIP_2) | instid1(VALU_DEP_1)
	v_cndmask_b32_e64 v97, 0, v102, s0
	v_cmp_nlt_f32_e64 s0, 0x42b17218, v101
	s_wait_alu 0xf1ff
	v_cndmask_b32_e64 v238, 0x7f800000, v97, s0
	s_delay_alu instid0(VALU_DEP_1) | instskip(NEXT) | instid1(VALU_DEP_1)
	v_cvt_f16_f32_e64 v97, v238
	v_pack_b32_f16 v98, v97, v98
	v_sub_f32_e32 v97, v237, v148
	s_delay_alu instid0(VALU_DEP_1) | instskip(SKIP_1) | instid1(VALU_DEP_2)
	v_mul_f32_e32 v101, 0x3fb8aa3b, v97
	v_cmp_ngt_f32_e32 vcc_lo, 0xc2ce8ed0, v97
	v_fma_f32 v102, 0x3fb8aa3b, v97, -v101
	v_rndne_f32_e32 v103, v101
	s_delay_alu instid0(VALU_DEP_1) | instskip(SKIP_1) | instid1(VALU_DEP_2)
	v_dual_fmac_f32 v102, 0x32a5705f, v97 :: v_dual_sub_f32 v101, v101, v103
	v_cvt_i32_f32_e32 v103, v103
	v_add_f32_e32 v101, v101, v102
	s_delay_alu instid0(VALU_DEP_1) | instskip(NEXT) | instid1(TRANS32_DEP_1)
	v_exp_f32_e32 v101, v101
	v_ldexp_f32 v101, v101, v103
	s_wait_alu 0xfffd
	s_delay_alu instid0(VALU_DEP_1) | instskip(SKIP_2) | instid1(VALU_DEP_2)
	v_cndmask_b32_e32 v101, 0, v101, vcc_lo
	v_cmp_nlt_f32_e32 vcc_lo, 0x42b17218, v97
	s_wait_alu 0xfffd
	v_dual_sub_f32 v102, v236, v148 :: v_dual_cndmask_b32 v237, 0x7f800000, v101
	s_delay_alu instid0(VALU_DEP_1) | instskip(SKIP_1) | instid1(VALU_DEP_3)
	v_mul_f32_e32 v104, 0x3fb8aa3b, v102
	v_cmp_ngt_f32_e64 s0, 0xc2ce8ed0, v102
	v_cvt_f16_f32_e64 v101, v237
	s_delay_alu instid0(VALU_DEP_3) | instskip(SKIP_1) | instid1(VALU_DEP_2)
	v_fma_f32 v144, 0x3fb8aa3b, v102, -v104
	v_rndne_f32_e32 v145, v104
	v_fmac_f32_e32 v144, 0x32a5705f, v102
	s_delay_alu instid0(VALU_DEP_2) | instskip(SKIP_1) | instid1(VALU_DEP_2)
	v_sub_f32_e32 v104, v104, v145
	v_cvt_i32_f32_e32 v103, v145
	v_add_f32_e32 v104, v104, v144
	s_delay_alu instid0(VALU_DEP_1) | instskip(NEXT) | instid1(TRANS32_DEP_1)
	v_exp_f32_e32 v104, v104
	v_ldexp_f32 v103, v104, v103
	s_wait_alu 0xf1ff
	s_delay_alu instid0(VALU_DEP_1) | instskip(SKIP_2) | instid1(VALU_DEP_1)
	v_cndmask_b32_e64 v97, 0, v103, s0
	v_cmp_nlt_f32_e64 s0, 0x42b17218, v102
	s_wait_alu 0xf1ff
	v_cndmask_b32_e64 v236, 0x7f800000, v97, s0
	s_delay_alu instid0(VALU_DEP_1) | instskip(NEXT) | instid1(VALU_DEP_1)
	v_cvt_f16_f32_e64 v97, v236
	v_pack_b32_f16 v97, v97, v101
	s_delay_alu instid0(VALU_DEP_1)
	v_wmma_f16_16x16x16_f16 v[20:23], v[88:91], v[97:100], v[20:23]
	v_add_nc_u32_e32 v89, 0x2400, v204
	v_wmma_f16_16x16x16_f16 v[4:7], v[84:87], v[97:100], v[4:7]
	v_add_nc_u32_e32 v84, 0x2000, v211
	v_add_nc_u32_e32 v86, 0x2000, v212
	v_wmma_f16_16x16x16_f16 v[24:27], v[68:71], v[97:100], v[24:27]
	v_wmma_f16_16x16x16_f16 v[16:19], v[64:67], v[97:100], v[16:19]
	;; [unrolled: 1-line block ×4, first 2 shown]
	ds_load_2addr_b32 v[64:65], v89 offset0:144 offset1:160
	ds_load_2addr_b32 v[68:69], v89 offset0:212 offset1:228
	;; [unrolled: 1-line block ×4, first 2 shown]
	v_wmma_f16_16x16x16_f16 v[0:3], v[80:83], v[97:100], v[0:3]
	v_wmma_f16_16x16x16_f16 v[28:31], v[92:95], v[97:100], v[28:31]
	v_add_nc_u32_e32 v99, 0x2000, v204
	s_wait_dscnt 0x2
	v_perm_b32 v74, v69, v65, 0x7060302
	v_perm_b32 v78, v69, v65, 0x5040100
	s_wait_dscnt 0x0
	v_perm_b32 v67, v75, v71, 0x7060302
	v_perm_b32 v71, v75, v71, 0x5040100
	v_perm_b32 v75, v76, v72, 0x7060302
	v_perm_b32 v79, v76, v72, 0x5040100
	ds_load_2addr_b32 v[76:77], v89 offset0:8 offset1:24
	ds_load_2addr_b32 v[80:81], v89 offset0:76 offset1:92
	v_perm_b32 v66, v68, v64, 0x7060302
	v_perm_b32 v70, v68, v64, 0x5040100
	s_wait_dscnt 0x0
	v_perm_b32 v65, v80, v76, 0x7060302
	v_perm_b32 v69, v80, v76, 0x5040100
	;; [unrolled: 1-line block ×4, first 2 shown]
	ds_load_2addr_b32 v[80:81], v99 offset0:128 offset1:144
	ds_load_2addr_b32 v[82:83], v99 offset0:196 offset1:212
	s_wait_dscnt 0x0
	v_perm_b32 v64, v82, v80, 0x7060302
	v_perm_b32 v68, v82, v80, 0x5040100
	v_add_nc_u32_e32 v80, 0x2600, v204
	v_perm_b32 v72, v83, v81, 0x7060302
	v_perm_b32 v76, v83, v81, 0x5040100
	ds_load_2addr_b32 v[80:81], v80 offset0:116 offset1:132
	ds_load_2addr_b32 v[84:85], v84 offset0:160 offset1:176
	;; [unrolled: 1-line block ×4, first 2 shown]
	s_wait_dscnt 0x1
	v_perm_b32 v95, v88, v85, 0x5040100
	s_wait_dscnt 0x0
	v_perm_b32 v90, v81, v92, 0x7060302
	v_perm_b32 v94, v81, v92, 0x5040100
	ds_load_2addr_b32 v[92:93], v89 offset0:40 offset1:56
	ds_load_2addr_b32 v[97:98], v89 offset0:108 offset1:124
	v_perm_b32 v82, v80, v91, 0x7060302
	v_perm_b32 v86, v80, v91, 0x5040100
	;; [unrolled: 1-line block ×5, first 2 shown]
	s_wait_dscnt 0x0
	v_perm_b32 v81, v97, v92, 0x7060302
	v_perm_b32 v85, v97, v92, 0x5040100
	;; [unrolled: 1-line block ×4, first 2 shown]
	ds_load_2addr_b32 v[97:98], v99 offset0:160 offset1:176
	ds_load_2addr_b32 v[99:100], v99 offset0:228 offset1:244
	s_wait_dscnt 0x0
	v_perm_b32 v80, v99, v97, 0x7060302
	v_perm_b32 v84, v99, v97, 0x5040100
	v_sub_f32_e32 v97, v228, v148
	v_perm_b32 v88, v100, v98, 0x7060302
	v_perm_b32 v92, v100, v98, 0x5040100
	s_delay_alu instid0(VALU_DEP_3) | instskip(SKIP_1) | instid1(VALU_DEP_2)
	v_mul_f32_e32 v98, 0x3fb8aa3b, v97
	v_cmp_ngt_f32_e64 s2, 0xc2ce8ed0, v97
	v_fma_f32 v99, 0x3fb8aa3b, v97, -v98
	v_rndne_f32_e32 v100, v98
	s_delay_alu instid0(VALU_DEP_1) | instskip(SKIP_1) | instid1(VALU_DEP_2)
	v_dual_fmac_f32 v99, 0x32a5705f, v97 :: v_dual_sub_f32 v98, v98, v100
	v_cvt_i32_f32_e32 v100, v100
	v_dual_add_f32 v98, v98, v99 :: v_dual_sub_f32 v99, v227, v148
	s_delay_alu instid0(VALU_DEP_1) | instskip(SKIP_1) | instid1(VALU_DEP_2)
	v_mul_f32_e32 v101, 0x3fb8aa3b, v99
	v_cmp_ngt_f32_e32 vcc_lo, 0xc2ce8ed0, v99
	v_fma_f32 v102, 0x3fb8aa3b, v99, -v101
	v_rndne_f32_e32 v103, v101
	s_delay_alu instid0(VALU_DEP_2) | instskip(NEXT) | instid1(VALU_DEP_2)
	v_fmac_f32_e32 v102, 0x32a5705f, v99
	v_sub_f32_e32 v101, v101, v103
	v_cvt_i32_f32_e32 v103, v103
	s_delay_alu instid0(VALU_DEP_2) | instskip(NEXT) | instid1(VALU_DEP_1)
	v_dual_add_f32 v101, v101, v102 :: v_dual_sub_f32 v102, v226, v148
	v_exp_f32_e32 v101, v101
	s_delay_alu instid0(VALU_DEP_1) | instskip(SKIP_1) | instid1(VALU_DEP_2)
	v_mul_f32_e32 v104, 0x3fb8aa3b, v102
	v_cmp_ngt_f32_e64 s0, 0xc2ce8ed0, v102
	v_fma_f32 v144, 0x3fb8aa3b, v102, -v104
	v_rndne_f32_e32 v145, v104
	s_delay_alu instid0(TRANS32_DEP_1) | instskip(NEXT) | instid1(VALU_DEP_3)
	v_ldexp_f32 v101, v101, v103
	v_fmac_f32_e32 v144, 0x32a5705f, v102
	s_delay_alu instid0(VALU_DEP_3) | instskip(SKIP_1) | instid1(VALU_DEP_3)
	v_sub_f32_e32 v104, v104, v145
	s_wait_alu 0xfffd
	v_cndmask_b32_e32 v101, 0, v101, vcc_lo
	v_cmp_nlt_f32_e32 vcc_lo, 0x42b17218, v99
	s_delay_alu instid0(VALU_DEP_3) | instskip(SKIP_1) | instid1(VALU_DEP_3)
	v_add_f32_e32 v104, v104, v144
	s_wait_alu 0xfffd
	v_dual_sub_f32 v144, v225, v148 :: v_dual_cndmask_b32 v101, 0x7f800000, v101
	s_delay_alu instid0(VALU_DEP_2) | instskip(NEXT) | instid1(VALU_DEP_1)
	v_exp_f32_e32 v104, v104
	v_mul_f32_e32 v146, 0x3fb8aa3b, v144
	v_cmp_ngt_f32_e64 s1, 0xc2ce8ed0, v144
	s_delay_alu instid0(VALU_DEP_2) | instskip(SKIP_1) | instid1(VALU_DEP_2)
	v_fma_f32 v147, 0x3fb8aa3b, v144, -v146
	v_rndne_f32_e32 v149, v146
	v_fmac_f32_e32 v147, 0x32a5705f, v144
	v_exp_f32_e32 v98, v98
	s_delay_alu instid0(VALU_DEP_2) | instskip(SKIP_1) | instid1(VALU_DEP_2)
	v_sub_f32_e32 v146, v146, v149
	v_cvt_i32_f32_e32 v103, v149
	v_add_f32_e32 v146, v146, v147
	s_delay_alu instid0(TRANS32_DEP_1) | instskip(SKIP_2) | instid1(VALU_DEP_2)
	v_ldexp_f32 v98, v98, v100
	v_cvt_i32_f32_e32 v100, v145
	s_wait_alu 0xf1ff
	v_cndmask_b32_e64 v98, 0, v98, s2
	s_delay_alu instid0(VALU_DEP_2) | instskip(SKIP_2) | instid1(VALU_DEP_2)
	v_ldexp_f32 v100, v104, v100
	v_exp_f32_e32 v104, v146
	v_cmp_nlt_f32_e64 s2, 0x42b17218, v97
	v_cndmask_b32_e64 v99, 0, v100, s0
	v_cmp_nlt_f32_e64 s0, 0x42b17218, v102
	s_wait_alu 0xf1ff
	s_delay_alu instid0(VALU_DEP_3) | instskip(NEXT) | instid1(TRANS32_DEP_1)
	v_cndmask_b32_e64 v102, 0x7f800000, v98, s2
	v_ldexp_f32 v103, v104, v103
	s_delay_alu instid0(VALU_DEP_2) | instskip(NEXT) | instid1(VALU_DEP_2)
	v_cvt_f16_f32_e32 v97, v102
	v_cndmask_b32_e64 v100, 0, v103, s1
	v_cmp_nlt_f32_e64 s1, 0x42b17218, v144
	v_cndmask_b32_e64 v103, 0x7f800000, v99, s0
	v_cvt_f16_f32_e64 v144, v101
	s_wait_alu 0xf1ff
	s_delay_alu instid0(VALU_DEP_3) | instskip(NEXT) | instid1(VALU_DEP_3)
	v_cndmask_b32_e64 v104, 0x7f800000, v100, s1
	v_cvt_f16_f32_e32 v98, v103
	s_delay_alu instid0(VALU_DEP_2) | instskip(NEXT) | instid1(VALU_DEP_1)
	v_cvt_f16_f32_e32 v99, v104
	v_pack_b32_f16 v100, v98, v99
	v_pack_b32_f16 v99, v97, v144
	v_sub_f32_e32 v97, v224, v148
	s_delay_alu instid0(VALU_DEP_1) | instskip(SKIP_1) | instid1(VALU_DEP_2)
	v_mul_f32_e32 v98, 0x3fb8aa3b, v97
	v_cmp_ngt_f32_e32 vcc_lo, 0xc2ce8ed0, v97
	v_fma_f32 v144, 0x3fb8aa3b, v97, -v98
	v_rndne_f32_e32 v145, v98
	s_delay_alu instid0(VALU_DEP_2) | instskip(NEXT) | instid1(VALU_DEP_2)
	v_fmac_f32_e32 v144, 0x32a5705f, v97
	v_sub_f32_e32 v98, v98, v145
	v_cvt_i32_f32_e32 v145, v145
	s_delay_alu instid0(VALU_DEP_2) | instskip(SKIP_1) | instid1(VALU_DEP_2)
	v_add_f32_e32 v98, v98, v144
	v_sub_f32_e32 v144, v163, v148
	v_exp_f32_e32 v98, v98
	s_delay_alu instid0(VALU_DEP_1) | instskip(SKIP_1) | instid1(VALU_DEP_2)
	v_mul_f32_e32 v146, 0x3fb8aa3b, v144
	v_cmp_ngt_f32_e64 s0, 0xc2ce8ed0, v144
	v_fma_f32 v147, 0x3fb8aa3b, v144, -v146
	v_rndne_f32_e32 v149, v146
	s_delay_alu instid0(TRANS32_DEP_1) | instskip(NEXT) | instid1(VALU_DEP_2)
	v_ldexp_f32 v98, v98, v145
	v_dual_fmac_f32 v147, 0x32a5705f, v144 :: v_dual_sub_f32 v146, v146, v149
	v_cvt_i32_f32_e32 v145, v149
	s_wait_alu 0xfffd
	s_delay_alu instid0(VALU_DEP_3) | instskip(SKIP_2) | instid1(VALU_DEP_1)
	v_cndmask_b32_e32 v98, 0, v98, vcc_lo
	v_cmp_nlt_f32_e32 vcc_lo, 0x42b17218, v97
	v_add_f32_e32 v146, v146, v147
	v_exp_f32_e32 v146, v146
	s_delay_alu instid0(TRANS32_DEP_1) | instskip(SKIP_1) | instid1(VALU_DEP_1)
	v_ldexp_f32 v145, v146, v145
	s_wait_alu 0xf1ff
	v_cndmask_b32_e64 v97, 0, v145, s0
	v_cmp_nlt_f32_e64 s0, 0x42b17218, v144
	s_wait_alu 0xfffd
	v_cndmask_b32_e32 v145, 0x7f800000, v98, vcc_lo
	s_wait_alu 0xf1ff
	s_delay_alu instid0(VALU_DEP_2) | instskip(NEXT) | instid1(VALU_DEP_2)
	v_cndmask_b32_e64 v144, 0x7f800000, v97, s0
	v_cvt_f16_f32_e64 v98, v145
	s_delay_alu instid0(VALU_DEP_2) | instskip(NEXT) | instid1(VALU_DEP_1)
	v_cvt_f16_f32_e64 v97, v144
	v_pack_b32_f16 v98, v97, v98
	v_sub_f32_e32 v97, v160, v148
	s_delay_alu instid0(VALU_DEP_1) | instskip(SKIP_1) | instid1(VALU_DEP_2)
	v_mul_f32_e32 v146, 0x3fb8aa3b, v97
	v_cmp_ngt_f32_e32 vcc_lo, 0xc2ce8ed0, v97
	v_fma_f32 v147, 0x3fb8aa3b, v97, -v146
	v_rndne_f32_e32 v149, v146
	s_delay_alu instid0(VALU_DEP_2) | instskip(NEXT) | instid1(VALU_DEP_2)
	v_fmac_f32_e32 v147, 0x32a5705f, v97
	v_sub_f32_e32 v146, v146, v149
	v_cvt_i32_f32_e32 v149, v149
	s_delay_alu instid0(VALU_DEP_2) | instskip(NEXT) | instid1(VALU_DEP_1)
	v_dual_add_f32 v146, v146, v147 :: v_dual_sub_f32 v147, v161, v148
	v_exp_f32_e32 v146, v146
	s_delay_alu instid0(VALU_DEP_1) | instskip(SKIP_1) | instid1(VALU_DEP_2)
	v_mul_f32_e32 v150, 0x3fb8aa3b, v147
	v_cmp_ngt_f32_e64 s0, 0xc2ce8ed0, v147
	v_fma_f32 v151, 0x3fb8aa3b, v147, -v150
	v_rndne_f32_e32 v152, v150
	s_delay_alu instid0(TRANS32_DEP_1) | instskip(NEXT) | instid1(VALU_DEP_2)
	v_ldexp_f32 v146, v146, v149
	v_dual_fmac_f32 v151, 0x32a5705f, v147 :: v_dual_sub_f32 v150, v150, v152
	v_cvt_i32_f32_e32 v149, v152
	s_wait_alu 0xfffd
	s_delay_alu instid0(VALU_DEP_3) | instskip(SKIP_3) | instid1(VALU_DEP_3)
	v_cndmask_b32_e32 v146, 0, v146, vcc_lo
	v_cmp_nlt_f32_e32 vcc_lo, 0x42b17218, v97
	v_add_f32_e32 v150, v150, v151
	s_wait_alu 0xfffd
	v_cndmask_b32_e32 v146, 0x7f800000, v146, vcc_lo
	s_delay_alu instid0(VALU_DEP_2) | instskip(NEXT) | instid1(TRANS32_DEP_1)
	v_exp_f32_e32 v150, v150
	v_ldexp_f32 v149, v150, v149
	s_wait_alu 0xf1ff
	s_delay_alu instid0(VALU_DEP_1) | instskip(SKIP_3) | instid1(VALU_DEP_2)
	v_cndmask_b32_e64 v97, 0, v149, s0
	v_cmp_nlt_f32_e64 s0, 0x42b17218, v147
	v_cvt_f16_f32_e64 v149, v146
	s_wait_alu 0xf1ff
	v_cndmask_b32_e64 v147, 0x7f800000, v97, s0
	s_delay_alu instid0(VALU_DEP_1) | instskip(NEXT) | instid1(VALU_DEP_1)
	v_cvt_f16_f32_e64 v97, v147
	v_pack_b32_f16 v97, v97, v149
	s_delay_alu instid0(VALU_DEP_1)
	v_wmma_f16_16x16x16_f16 v[28:31], v[68:71], v[97:100], v[28:31]
	v_wmma_f16_16x16x16_f16 v[20:23], v[64:67], v[97:100], v[20:23]
	v_wmma_f16_16x16x16_f16 v[24:27], v[76:79], v[97:100], v[24:27]
	v_wmma_f16_16x16x16_f16 v[16:19], v[72:75], v[97:100], v[16:19]
	v_wmma_f16_16x16x16_f16 v[12:15], v[84:87], v[97:100], v[12:15]
	v_wmma_f16_16x16x16_f16 v[8:11], v[80:83], v[97:100], v[8:11]
	v_wmma_f16_16x16x16_f16 v[4:7], v[92:95], v[97:100], v[4:7]
	v_wmma_f16_16x16x16_f16 v[0:3], v[88:91], v[97:100], v[0:3]
	v_add_nc_u32_e32 v99, 0x3400, v204
	v_add_nc_u32_e32 v84, 0x3800, v204
	v_add_nc_u32_e32 v86, 0x3000, v211
	v_add_nc_u32_e32 v89, 0x3000, v212
	ds_load_2addr_b32 v[64:65], v99 offset0:208 offset1:224
	ds_load_2addr_b32 v[68:69], v84 offset0:20 offset1:36
	;; [unrolled: 1-line block ×4, first 2 shown]
	v_add_nc_u32_e32 v100, 0x3000, v204
	s_wait_dscnt 0x2
	v_perm_b32 v74, v69, v65, 0x7060302
	v_perm_b32 v78, v69, v65, 0x5040100
	s_wait_dscnt 0x0
	v_perm_b32 v67, v75, v71, 0x7060302
	v_perm_b32 v71, v75, v71, 0x5040100
	;; [unrolled: 1-line block ×4, first 2 shown]
	ds_load_2addr_b32 v[76:77], v99 offset0:72 offset1:88
	ds_load_2addr_b32 v[80:81], v99 offset0:140 offset1:156
	v_perm_b32 v66, v68, v64, 0x7060302
	v_perm_b32 v70, v68, v64, 0x5040100
	s_wait_dscnt 0x0
	v_perm_b32 v65, v80, v76, 0x7060302
	v_perm_b32 v69, v80, v76, 0x5040100
	;; [unrolled: 1-line block ×4, first 2 shown]
	ds_load_2addr_b32 v[80:81], v100 offset0:192 offset1:208
	ds_load_2addr_b32 v[82:83], v99 offset0:4 offset1:20
	s_wait_dscnt 0x0
	v_perm_b32 v64, v82, v80, 0x7060302
	v_perm_b32 v68, v82, v80, 0x5040100
	v_add_nc_u32_e32 v80, 0x3600, v204
	v_perm_b32 v72, v83, v81, 0x7060302
	v_perm_b32 v76, v83, v81, 0x5040100
	ds_load_2addr_b32 v[80:81], v80 offset0:112 offset1:128
	ds_load_2addr_b32 v[84:85], v84 offset0:52 offset1:68
	;; [unrolled: 1-line block ×4, first 2 shown]
	s_wait_dscnt 0x2
	v_perm_b32 v90, v85, v81, 0x7060302
	v_perm_b32 v94, v85, v81, 0x5040100
	s_wait_dscnt 0x0
	v_perm_b32 v83, v91, v87, 0x7060302
	v_perm_b32 v87, v91, v87, 0x5040100
	;; [unrolled: 1-line block ×4, first 2 shown]
	ds_load_2addr_b32 v[92:93], v99 offset0:104 offset1:120
	ds_load_2addr_b32 v[97:98], v99 offset0:172 offset1:188
	v_perm_b32 v82, v84, v80, 0x7060302
	v_perm_b32 v86, v84, v80, 0x5040100
	s_wait_dscnt 0x0
	v_perm_b32 v81, v97, v92, 0x7060302
	v_perm_b32 v85, v97, v92, 0x5040100
	;; [unrolled: 1-line block ×4, first 2 shown]
	ds_load_2addr_b32 v[97:98], v100 offset0:224 offset1:240
	ds_load_2addr_b32 v[99:100], v99 offset0:36 offset1:52
	s_wait_dscnt 0x0
	s_barrier_signal -1
	s_barrier_wait -1
	global_inv scope:SCOPE_SE
	v_perm_b32 v80, v99, v97, 0x7060302
	v_perm_b32 v84, v99, v97, 0x5040100
	v_sub_f32_e32 v97, v159, v148
	v_perm_b32 v88, v100, v98, 0x7060302
	v_perm_b32 v92, v100, v98, 0x5040100
	s_delay_alu instid0(VALU_DEP_3) | instskip(SKIP_1) | instid1(VALU_DEP_2)
	v_mul_f32_e32 v98, 0x3fb8aa3b, v97
	v_cmp_ngt_f32_e64 s2, 0xc2ce8ed0, v97
	v_fma_f32 v99, 0x3fb8aa3b, v97, -v98
	v_rndne_f32_e32 v100, v98
	s_delay_alu instid0(VALU_DEP_1) | instskip(SKIP_1) | instid1(VALU_DEP_2)
	v_dual_fmac_f32 v99, 0x32a5705f, v97 :: v_dual_sub_f32 v98, v98, v100
	v_cvt_i32_f32_e32 v100, v100
	v_dual_add_f32 v98, v98, v99 :: v_dual_sub_f32 v99, v223, v148
	s_delay_alu instid0(VALU_DEP_1) | instskip(NEXT) | instid1(VALU_DEP_1)
	v_exp_f32_e32 v98, v98
	v_mul_f32_e32 v149, 0x3fb8aa3b, v99
	v_cmp_ngt_f32_e32 vcc_lo, 0xc2ce8ed0, v99
	s_delay_alu instid0(VALU_DEP_2) | instskip(SKIP_1) | instid1(TRANS32_DEP_1)
	v_fma_f32 v150, 0x3fb8aa3b, v99, -v149
	v_rndne_f32_e32 v151, v149
	v_ldexp_f32 v98, v98, v100
	s_delay_alu instid0(VALU_DEP_3) | instskip(NEXT) | instid1(VALU_DEP_3)
	v_fmac_f32_e32 v150, 0x32a5705f, v99
	v_sub_f32_e32 v149, v149, v151
	v_cvt_i32_f32_e32 v151, v151
	s_wait_alu 0xf1ff
	v_cndmask_b32_e64 v98, 0, v98, s2
	v_cmp_nlt_f32_e64 s2, 0x42b17218, v97
	v_dual_add_f32 v149, v149, v150 :: v_dual_sub_f32 v150, v158, v148
	s_delay_alu instid0(VALU_DEP_1) | instskip(NEXT) | instid1(VALU_DEP_1)
	v_exp_f32_e32 v149, v149
	v_mul_f32_e32 v152, 0x3fb8aa3b, v150
	v_cmp_ngt_f32_e64 s0, 0xc2ce8ed0, v150
	s_delay_alu instid0(VALU_DEP_2) | instskip(SKIP_1) | instid1(TRANS32_DEP_1)
	v_fma_f32 v153, 0x3fb8aa3b, v150, -v152
	v_rndne_f32_e32 v154, v152
	v_ldexp_f32 v149, v149, v151
	s_delay_alu instid0(VALU_DEP_3) | instskip(NEXT) | instid1(VALU_DEP_3)
	v_fmac_f32_e32 v153, 0x32a5705f, v150
	v_sub_f32_e32 v152, v152, v154
	v_cvt_i32_f32_e32 v100, v154
	s_wait_alu 0xfffd
	v_cndmask_b32_e32 v149, 0, v149, vcc_lo
	v_cmp_nlt_f32_e32 vcc_lo, 0x42b17218, v99
	v_dual_add_f32 v152, v152, v153 :: v_dual_sub_f32 v153, v157, v148
	s_wait_alu 0xfffd
	s_delay_alu instid0(VALU_DEP_3) | instskip(NEXT) | instid1(VALU_DEP_2)
	v_cndmask_b32_e32 v149, 0x7f800000, v149, vcc_lo
	v_exp_f32_e32 v152, v152
	s_delay_alu instid0(VALU_DEP_2) | instskip(SKIP_1) | instid1(VALU_DEP_2)
	v_mul_f32_e32 v155, 0x3fb8aa3b, v153
	v_cmp_ngt_f32_e64 s1, 0xc2ce8ed0, v153
	v_fma_f32 v156, 0x3fb8aa3b, v153, -v155
	v_rndne_f32_e32 v157, v155
	s_delay_alu instid0(TRANS32_DEP_1) | instskip(NEXT) | instid1(VALU_DEP_3)
	v_ldexp_f32 v100, v152, v100
	v_fmac_f32_e32 v156, 0x32a5705f, v153
	s_delay_alu instid0(VALU_DEP_3)
	v_sub_f32_e32 v155, v155, v157
	v_cvt_i32_f32_e32 v151, v157
	s_wait_alu 0xf1ff
	v_cndmask_b32_e64 v99, 0, v100, s0
	v_cmp_nlt_f32_e64 s0, 0x42b17218, v150
	v_add_f32_e32 v155, v155, v156
	v_cndmask_b32_e64 v150, 0x7f800000, v98, s2
	s_delay_alu instid0(VALU_DEP_2) | instskip(NEXT) | instid1(VALU_DEP_1)
	v_exp_f32_e32 v152, v155
	v_cvt_f16_f32_e64 v97, v150
	s_delay_alu instid0(TRANS32_DEP_1) | instskip(NEXT) | instid1(VALU_DEP_1)
	v_ldexp_f32 v151, v152, v151
	v_cndmask_b32_e64 v100, 0, v151, s1
	v_cmp_nlt_f32_e64 s1, 0x42b17218, v153
	s_wait_alu 0xf1ff
	v_cndmask_b32_e64 v151, 0x7f800000, v99, s0
	v_cvt_f16_f32_e64 v153, v149
	s_delay_alu instid0(VALU_DEP_3) | instskip(NEXT) | instid1(VALU_DEP_3)
	v_cndmask_b32_e64 v152, 0x7f800000, v100, s1
	v_cvt_f16_f32_e64 v98, v151
	s_delay_alu instid0(VALU_DEP_2) | instskip(NEXT) | instid1(VALU_DEP_1)
	v_cvt_f16_f32_e64 v99, v152
	v_pack_b32_f16 v100, v98, v99
	v_pack_b32_f16 v99, v97, v153
	v_sub_f32_e32 v97, v222, v148
	s_delay_alu instid0(VALU_DEP_1) | instskip(SKIP_1) | instid1(VALU_DEP_2)
	v_mul_f32_e32 v98, 0x3fb8aa3b, v97
	v_cmp_ngt_f32_e32 vcc_lo, 0xc2ce8ed0, v97
	v_fma_f32 v153, 0x3fb8aa3b, v97, -v98
	v_rndne_f32_e32 v154, v98
	s_delay_alu instid0(VALU_DEP_1) | instskip(SKIP_1) | instid1(VALU_DEP_2)
	v_dual_fmac_f32 v153, 0x32a5705f, v97 :: v_dual_sub_f32 v98, v98, v154
	v_cvt_i32_f32_e32 v154, v154
	v_dual_add_f32 v98, v98, v153 :: v_dual_sub_f32 v153, v221, v148
	s_delay_alu instid0(VALU_DEP_1) | instskip(NEXT) | instid1(VALU_DEP_1)
	v_exp_f32_e32 v98, v98
	v_mul_f32_e32 v155, 0x3fb8aa3b, v153
	v_cmp_ngt_f32_e64 s0, 0xc2ce8ed0, v153
	s_delay_alu instid0(VALU_DEP_2) | instskip(SKIP_1) | instid1(TRANS32_DEP_1)
	v_fma_f32 v156, 0x3fb8aa3b, v153, -v155
	v_rndne_f32_e32 v157, v155
	v_ldexp_f32 v98, v98, v154
	s_delay_alu instid0(VALU_DEP_3) | instskip(NEXT) | instid1(VALU_DEP_3)
	v_fmac_f32_e32 v156, 0x32a5705f, v153
	v_sub_f32_e32 v155, v155, v157
	v_cvt_i32_f32_e32 v154, v157
	s_wait_alu 0xfffd
	v_cndmask_b32_e32 v98, 0, v98, vcc_lo
	v_cmp_nlt_f32_e32 vcc_lo, 0x42b17218, v97
	v_add_f32_e32 v155, v155, v156
	s_delay_alu instid0(VALU_DEP_1) | instskip(NEXT) | instid1(TRANS32_DEP_1)
	v_exp_f32_e32 v155, v155
	v_ldexp_f32 v154, v155, v154
	s_wait_alu 0xf1ff
	s_delay_alu instid0(VALU_DEP_1) | instskip(SKIP_4) | instid1(VALU_DEP_2)
	v_cndmask_b32_e64 v97, 0, v154, s0
	v_cmp_nlt_f32_e64 s0, 0x42b17218, v153
	s_wait_alu 0xfffd
	v_cndmask_b32_e32 v154, 0x7f800000, v98, vcc_lo
	s_wait_alu 0xf1ff
	v_cndmask_b32_e64 v153, 0x7f800000, v97, s0
	s_delay_alu instid0(VALU_DEP_2) | instskip(NEXT) | instid1(VALU_DEP_2)
	v_cvt_f16_f32_e64 v98, v154
	v_cvt_f16_f32_e64 v97, v153
	s_delay_alu instid0(VALU_DEP_1) | instskip(SKIP_1) | instid1(VALU_DEP_1)
	v_pack_b32_f16 v98, v97, v98
	v_sub_f32_e32 v97, v220, v148
	v_mul_f32_e32 v155, 0x3fb8aa3b, v97
	v_cmp_ngt_f32_e32 vcc_lo, 0xc2ce8ed0, v97
	s_delay_alu instid0(VALU_DEP_2) | instskip(SKIP_1) | instid1(VALU_DEP_2)
	v_fma_f32 v156, 0x3fb8aa3b, v97, -v155
	v_rndne_f32_e32 v157, v155
	v_fmac_f32_e32 v156, 0x32a5705f, v97
	s_delay_alu instid0(VALU_DEP_2) | instskip(SKIP_1) | instid1(VALU_DEP_2)
	v_sub_f32_e32 v155, v155, v157
	v_cvt_i32_f32_e32 v157, v157
	v_add_f32_e32 v155, v155, v156
	v_sub_f32_e32 v156, v164, v148
	s_delay_alu instid0(VALU_DEP_2) | instskip(NEXT) | instid1(VALU_DEP_1)
	v_exp_f32_e32 v155, v155
	v_mul_f32_e32 v158, 0x3fb8aa3b, v156
	v_cmp_ngt_f32_e64 s0, 0xc2ce8ed0, v156
	s_delay_alu instid0(VALU_DEP_2) | instskip(SKIP_1) | instid1(TRANS32_DEP_1)
	v_fma_f32 v159, 0x3fb8aa3b, v156, -v158
	v_rndne_f32_e32 v160, v158
	v_ldexp_f32 v155, v155, v157
	s_delay_alu instid0(VALU_DEP_3) | instskip(NEXT) | instid1(VALU_DEP_3)
	v_fmac_f32_e32 v159, 0x32a5705f, v156
	v_sub_f32_e32 v158, v158, v160
	v_cvt_i32_f32_e32 v157, v160
	s_wait_alu 0xfffd
	v_cndmask_b32_e32 v155, 0, v155, vcc_lo
	v_cmp_nlt_f32_e32 vcc_lo, 0x42b17218, v97
	v_add_f32_e32 v158, v158, v159
	s_wait_alu 0xfffd
	s_delay_alu instid0(VALU_DEP_3) | instskip(NEXT) | instid1(VALU_DEP_2)
	v_cndmask_b32_e32 v155, 0x7f800000, v155, vcc_lo
	v_exp_f32_e32 v158, v158
	v_cmp_lt_i32_e32 vcc_lo, s95, v203
	s_and_b32 vcc_lo, exec_lo, vcc_lo
	s_delay_alu instid0(TRANS32_DEP_1) | instskip(SKIP_1) | instid1(VALU_DEP_1)
	v_ldexp_f32 v157, v158, v157
	s_wait_alu 0xf1ff
	v_cndmask_b32_e64 v97, 0, v157, s0
	v_cmp_nlt_f32_e64 s0, 0x42b17218, v156
	v_cvt_f16_f32_e64 v157, v155
	s_wait_alu 0xf1ff
	s_delay_alu instid0(VALU_DEP_2) | instskip(NEXT) | instid1(VALU_DEP_1)
	v_cndmask_b32_e64 v156, 0x7f800000, v97, s0
	v_cvt_f16_f32_e64 v97, v156
	s_delay_alu instid0(VALU_DEP_1) | instskip(NEXT) | instid1(VALU_DEP_1)
	v_pack_b32_f16 v97, v97, v157
	v_wmma_f16_16x16x16_f16 v[20:23], v[64:67], v[97:100], v[20:23]
	v_dual_add_f32 v64, v233, v234 :: v_dual_mov_b32 v65, v171
	v_wmma_f16_16x16x16_f16 v[28:31], v[68:71], v[97:100], v[28:31]
	v_dual_mov_b32 v70, v127 :: v_dual_mov_b32 v71, v128
	s_delay_alu instid0(VALU_DEP_3)
	v_add_f32_e32 v64, v231, v64
	v_wmma_f16_16x16x16_f16 v[24:27], v[76:79], v[97:100], v[24:27]
	v_wmma_f16_16x16x16_f16 v[16:19], v[72:75], v[97:100], v[16:19]
	;; [unrolled: 1-line block ×4, first 2 shown]
	v_add_f32_e32 v64, v232, v64
	v_wmma_f16_16x16x16_f16 v[4:7], v[92:95], v[97:100], v[4:7]
	v_mov_b32_e32 v93, v143
	v_wmma_f16_16x16x16_f16 v[0:3], v[88:91], v[97:100], v[0:3]
	s_delay_alu instid0(VALU_DEP_4) | instskip(NEXT) | instid1(VALU_DEP_1)
	v_add_f32_e32 v64, v229, v64
	v_add_f32_e32 v64, v230, v64
	s_delay_alu instid0(VALU_DEP_1) | instskip(NEXT) | instid1(VALU_DEP_1)
	v_add_f32_e32 v64, v96, v64
	v_add_f32_e32 v64, v162, v64
	s_delay_alu instid0(VALU_DEP_1) | instskip(NEXT) | instid1(VALU_DEP_1)
	;; [unrolled: 3-line block ×13, first 2 shown]
	v_add_f32_e32 v64, v151, v64
	v_add_f32_e32 v171, v152, v64
	s_delay_alu instid0(VALU_DEP_1)
	v_fmac_f32_e32 v171, v65, v235
	s_wait_alu 0xfffe
	s_cbranch_vccnz .LBB24_430
; %bb.431:
	s_clause 0x1f
	scratch_load_b32 v149, off, off offset:304
	scratch_load_b32 v150, off, off offset:40
	;; [unrolled: 1-line block ×32, first 2 shown]
	s_clause 0x9
	scratch_load_b32 v96, off, off offset:332
	scratch_load_b32 v123, off, off offset:336
	;; [unrolled: 1-line block ×9, first 2 shown]
	scratch_load_b64 v[107:108], off, off offset:368
	v_mbcnt_lo_u32_b32 v143, -1, 0
	v_dual_mov_b32 v65, s35 :: v_dual_mov_b32 v64, s34
	v_dual_mov_b32 v67, s27 :: v_dual_mov_b32 v66, s26
	s_delay_alu instid0(VALU_DEP_3)
	v_xor_b32_e32 v142, 16, v143
	s_wait_loadcnt 0x29
	v_dual_mov_b32 v154, 32 :: v_dual_add_nc_u32 v101, 60, v149
	v_add_nc_u32_e32 v102, 56, v149
	v_add_nc_u32_e32 v103, 52, v149
	;; [unrolled: 1-line block ×11, first 2 shown]
	s_branch .LBB24_433
.LBB24_432:
	v_dual_mov_b32 v31, 0 :: v_dual_mov_b32 v148, 0xfeffffff
	s_delay_alu instid0(VALU_DEP_1) | instskip(SKIP_1) | instid1(VALU_DEP_2)
	v_dual_mov_b32 v23, 0 :: v_dual_mov_b32 v30, v31
	v_dual_mov_b32 v29, v31 :: v_dual_mov_b32 v28, v31
	;; [unrolled: 1-line block ×15, first 2 shown]
	v_mov_b32_e32 v0, v23
.LBB24_433:
	s_lshl_b32 s0, s95, 6
	v_lshlrev_b64_e32 v[68:69], 1, v[252:253]
	s_wait_alu 0xfffe
	s_ashr_i32 s1, s0, 31
	v_lshlrev_b64_e32 v[70:71], 1, v[70:71]
	s_wait_alu 0xfffe
	s_lshl_b64 s[2:3], s[0:1], 1
	v_lshlrev_b64_e32 v[72:73], 1, v[182:183]
	s_wait_alu 0xfffe
	s_add_nc_u64 s[2:3], s[12:13], s[2:3]
	v_lshlrev_b64_e32 v[74:75], 1, v[121:122]
	s_wait_loadcnt 0x1
	s_wait_alu 0xfffe
	v_add_co_u32 v84, s2, s2, v127
	s_wait_alu 0xf1ff
	v_add_co_ci_u32_e64 v85, null, s3, 0, s2
	v_lshlrev_b64_e32 v[76:77], 1, v[190:191]
	s_delay_alu instid0(VALU_DEP_3) | instskip(SKIP_1) | instid1(VALU_DEP_3)
	v_add_co_u32 v68, vcc_lo, v84, v68
	s_wait_alu 0xfffd
	v_add_co_ci_u32_e64 v69, null, v85, v69, vcc_lo
	v_add_co_u32 v70, vcc_lo, v84, v70
	s_wait_alu 0xfffd
	v_add_co_ci_u32_e64 v71, null, v85, v71, vcc_lo
	v_add_co_u32 v72, vcc_lo, v84, v72
	v_lshlrev_b64_e32 v[78:79], 1, v[178:179]
	s_wait_alu 0xfffd
	v_add_co_ci_u32_e64 v73, null, v85, v73, vcc_lo
	v_add_co_u32 v74, vcc_lo, v84, v74
	v_lshlrev_b64_e32 v[80:81], 1, v[196:197]
	;; [unrolled: 4-line block ×3, first 2 shown]
	s_wait_alu 0xfffd
	v_add_co_ci_u32_e64 v77, null, v85, v77, vcc_lo
	v_add_co_u32 v78, vcc_lo, v84, v78
	s_wait_alu 0xfffd
	v_add_co_ci_u32_e64 v79, null, v85, v79, vcc_lo
	v_add_co_u32 v80, vcc_lo, v84, v80
	;; [unrolled: 3-line block ×3, first 2 shown]
	s_wait_alu 0xfffd
	v_add_co_ci_u32_e64 v83, null, v85, v83, vcc_lo
	s_clause 0x7
	global_load_b32 v68, v[68:69], off
	global_load_b32 v69, v[70:71], off
	;; [unrolled: 1-line block ×8, first 2 shown]
	v_add_nc_u32_e32 v76, 0, v127
	v_mul_lo_u32 v67, s0, v67
	v_mul_lo_u32 v84, s1, v66
	s_wait_loadcnt 0x8
	v_lshlrev_b32_e32 v83, 2, v107
	v_add_nc_u32_e32 v77, v76, v254
	s_delay_alu instid0(VALU_DEP_3) | instskip(SKIP_2) | instid1(VALU_DEP_2)
	v_add_nc_u32_e32 v67, v67, v84
	v_mul_hi_u32 v84, s0, v66
	v_mul_lo_u32 v66, s0, v66
	v_add_nc_u32_e32 v67, v67, v84
	s_delay_alu instid0(VALU_DEP_1) | instskip(NEXT) | instid1(VALU_DEP_1)
	v_lshlrev_b64_e32 v[66:67], 2, v[66:67]
	v_add_co_u32 v81, vcc_lo, s10, v66
	s_wait_alu 0xfffd
	s_delay_alu instid0(VALU_DEP_2)
	v_add_co_ci_u32_e64 v82, null, s11, v67, vcc_lo
	v_lshlrev_b64_e32 v[66:67], 2, v[109:110]
	s_wait_loadcnt 0x7
	ds_store_b32 v77, v68 offset:17408
	v_add_nc_u32_e32 v68, v76, v89
	s_wait_loadcnt 0x6
	ds_store_b32 v68, v69 offset:17408
	v_add_nc_u32_e32 v68, v76, v90
	s_wait_loadcnt 0x5
	ds_store_b32 v68, v70 offset:17408
	v_add_nc_u32_e32 v68, v76, v91
	s_wait_loadcnt 0x4
	ds_store_b32 v68, v71 offset:17408
	v_add_nc_u32_e32 v68, v76, v92
	s_wait_loadcnt 0x3
	ds_store_b32 v68, v72 offset:17408
	v_add_nc_u32_e32 v68, v76, v93
	s_wait_loadcnt 0x2
	ds_store_b32 v68, v73 offset:17408
	v_add_nc_u32_e32 v68, v76, v95
	s_wait_loadcnt 0x1
	ds_store_b32 v68, v74 offset:17408
	v_add_nc_u32_e32 v68, v76, v96
	s_wait_loadcnt 0x0
	ds_store_b32 v68, v75 offset:17408
	v_add_co_u32 v68, vcc_lo, v81, v66
	s_wait_alu 0xfffd
	v_add_co_ci_u32_e64 v70, null, v82, v67, vcc_lo
	v_lshlrev_b64_e32 v[66:67], 2, v[113:114]
	s_delay_alu instid0(VALU_DEP_1) | instskip(SKIP_1) | instid1(VALU_DEP_2)
	v_add_co_u32 v71, vcc_lo, v81, v66
	s_wait_alu 0xfffd
	v_add_co_ci_u32_e64 v72, null, v82, v67, vcc_lo
	v_lshlrev_b64_e32 v[66:67], 2, v[107:108]
	s_delay_alu instid0(VALU_DEP_1) | instskip(SKIP_1) | instid1(VALU_DEP_2)
	v_add_co_u32 v69, vcc_lo, v68, v66
	s_wait_alu 0xfffd
	v_add_co_ci_u32_e64 v70, null, v70, v67, vcc_lo
	v_add_co_u32 v73, vcc_lo, v71, v66
	s_wait_alu 0xfffd
	v_add_co_ci_u32_e64 v74, null, v72, v67, vcc_lo
	s_clause 0x1
	global_load_b128 v[69:72], v[69:70], off
	global_load_b128 v[73:76], v[73:74], off
	v_add3_u32 v68, 0, v94, v83
	s_wait_loadcnt 0x1
	ds_store_b128 v68, v[69:72]
	v_lshlrev_b64_e32 v[70:71], 2, v[117:118]
	v_add3_u32 v69, 0, v123, v83
	s_delay_alu instid0(VALU_DEP_2)
	v_add_co_u32 v72, vcc_lo, v81, v70
	s_wait_loadcnt 0x0
	ds_store_b128 v69, v[73:76]
	s_wait_alu 0xfffd
	v_add_co_ci_u32_e64 v73, null, v82, v71, vcc_lo
	v_lshlrev_b64_e32 v[70:71], 2, v[184:185]
	s_delay_alu instid0(VALU_DEP_1) | instskip(SKIP_1) | instid1(VALU_DEP_2)
	v_add_co_u32 v70, vcc_lo, v81, v70
	s_wait_alu 0xfffd
	v_add_co_ci_u32_e64 v74, null, v82, v71, vcc_lo
	v_add_co_u32 v71, vcc_lo, v72, v66
	s_wait_alu 0xfffd
	v_add_co_ci_u32_e64 v72, null, v73, v67, vcc_lo
	v_add_co_u32 v75, vcc_lo, v70, v66
	s_wait_alu 0xfffd
	v_add_co_ci_u32_e64 v76, null, v74, v67, vcc_lo
	s_clause 0x1
	global_load_b128 v[71:74], v[71:72], off
	global_load_b128 v[75:78], v[75:76], off
	v_add3_u32 v70, 0, v124, v83
	s_wait_loadcnt 0x1
	ds_store_b128 v70, v[71:74]
	v_lshlrev_b64_e32 v[72:73], 2, v[105:106]
	v_add3_u32 v71, 0, v126, v83
	s_delay_alu instid0(VALU_DEP_2)
	v_add_co_u32 v74, vcc_lo, v81, v72
	s_wait_loadcnt 0x0
	ds_store_b128 v71, v[75:78]
	s_wait_alu 0xfffd
	v_add_co_ci_u32_e64 v75, null, v82, v73, vcc_lo
	v_lshlrev_b64_e32 v[72:73], 2, v[119:120]
	s_delay_alu instid0(VALU_DEP_1) | instskip(SKIP_1) | instid1(VALU_DEP_2)
	v_add_co_u32 v72, vcc_lo, v81, v72
	s_wait_alu 0xfffd
	v_add_co_ci_u32_e64 v76, null, v82, v73, vcc_lo
	;; [unrolled: 25-line block ×3, first 2 shown]
	v_add_co_u32 v75, vcc_lo, v76, v66
	s_wait_alu 0xfffd
	v_add_co_ci_u32_e64 v76, null, v77, v67, vcc_lo
	v_add_co_u32 v79, vcc_lo, v74, v66
	s_wait_alu 0xfffd
	v_add_co_ci_u32_e64 v80, null, v78, v67, vcc_lo
	s_clause 0x1
	global_load_b128 v[75:78], v[75:76], off
	global_load_b128 v[79:82], v[79:80], off
	v_add3_u32 v74, 0, v115, v83
	v_cmp_lt_i32_e32 vcc_lo, v142, v154
	s_wait_loadcnt 0x1
	ds_store_b128 v74, v[75:78]
	v_add3_u32 v75, 0, v116, v83
	v_add3_u32 v76, 0, v86, v87
	s_wait_loadcnt 0x0
	ds_store_b128 v75, v[79:82]
	s_wait_storecnt_dscnt 0x0
	s_barrier_signal -1
	s_barrier_wait -1
	global_inv scope:SCOPE_SE
	ds_load_b128 v[85:88], v76
	ds_load_b128 v[89:92], v76 offset:32
	s_wait_dscnt 0x1
	v_wmma_f32_16x16x16_f16 v[77:84], v[85:88], v[60:63], 0
	s_wait_dscnt 0x0
	s_delay_alu instid0(VALU_DEP_1)
	v_wmma_f32_16x16x16_f16 v[77:84], v[89:92], v[56:59], v[77:84]
	ds_load_b128 v[85:88], v76 offset:4352
	ds_load_b128 v[89:92], v76 offset:4384
	s_wait_dscnt 0x1
	v_wmma_f32_16x16x16_f16 v[105:112], v[85:88], v[60:63], 0
	s_wait_dscnt 0x0
	s_delay_alu instid0(VALU_DEP_1)
	v_wmma_f32_16x16x16_f16 v[105:112], v[89:92], v[56:59], v[105:112]
	ds_load_b128 v[85:88], v76 offset:8704
	;; [unrolled: 7-line block ×4, first 2 shown]
	ds_load_b128 v[60:63], v76 offset:96
	s_wait_dscnt 0x1
	v_wmma_f32_16x16x16_f16 v[77:84], v[56:59], v[52:55], v[77:84]
	ds_load_b128 v[56:59], v76 offset:4416
	ds_load_b128 v[85:88], v76 offset:4448
	s_wait_dscnt 0x2
	v_wmma_f32_16x16x16_f16 v[77:84], v[60:63], v[48:51], v[77:84]
	s_wait_dscnt 0x1
	v_wmma_f32_16x16x16_f16 v[105:112], v[56:59], v[52:55], v[105:112]
	ds_load_b128 v[56:59], v76 offset:8768
	ds_load_b128 v[89:92], v76 offset:8800
	s_wait_dscnt 0x2
	v_wmma_f32_16x16x16_f16 v[105:112], v[85:88], v[48:51], v[105:112]
	;; [unrolled: 6-line block ×3, first 2 shown]
	s_wait_dscnt 0x1
	v_wmma_f32_16x16x16_f16 v[121:128], v[56:59], v[52:55], v[121:128]
	s_wait_dscnt 0x0
	s_delay_alu instid0(VALU_DEP_1)
	v_wmma_f32_16x16x16_f16 v[121:128], v[93:96], v[48:51], v[121:128]
	ds_load_b128 v[48:51], v76 offset:128
	ds_load_b128 v[52:55], v76 offset:160
	s_wait_dscnt 0x1
	v_wmma_f32_16x16x16_f16 v[77:84], v[48:51], v[44:47], v[77:84]
	ds_load_b128 v[48:51], v76 offset:4480
	ds_load_b128 v[56:59], v76 offset:4512
	s_wait_dscnt 0x2
	v_wmma_f32_16x16x16_f16 v[77:84], v[52:55], v[40:43], v[77:84]
	s_wait_dscnt 0x1
	v_wmma_f32_16x16x16_f16 v[105:112], v[48:51], v[44:47], v[105:112]
	ds_load_b128 v[48:51], v76 offset:8832
	ds_load_b128 v[60:63], v76 offset:8864
	s_wait_dscnt 0x2
	v_wmma_f32_16x16x16_f16 v[105:112], v[56:59], v[40:43], v[105:112]
	;; [unrolled: 6-line block ×3, first 2 shown]
	s_wait_dscnt 0x1
	v_wmma_f32_16x16x16_f16 v[121:128], v[48:51], v[44:47], v[121:128]
	s_wait_dscnt 0x0
	s_delay_alu instid0(VALU_DEP_1)
	v_wmma_f32_16x16x16_f16 v[121:128], v[85:88], v[40:43], v[121:128]
	ds_load_b128 v[40:43], v76 offset:192
	ds_load_b128 v[44:47], v76 offset:224
	s_wait_dscnt 0x1
	v_wmma_f32_16x16x16_f16 v[77:84], v[40:43], v[36:39], v[77:84]
	ds_load_b128 v[40:43], v76 offset:4544
	ds_load_b128 v[48:51], v76 offset:4576
	s_wait_dscnt 0x2
	v_wmma_f32_16x16x16_f16 v[77:84], v[44:47], v[32:35], v[77:84]
	s_wait_dscnt 0x1
	v_wmma_f32_16x16x16_f16 v[105:112], v[40:43], v[36:39], v[105:112]
	ds_load_b128 v[40:43], v76 offset:8896
	ds_load_b128 v[52:55], v76 offset:8928
	s_wait_dscnt 0x2
	v_wmma_f32_16x16x16_f16 v[105:112], v[48:51], v[32:35], v[105:112]
	s_wait_dscnt 0x1
	v_wmma_f32_16x16x16_f16 v[113:120], v[40:43], v[36:39], v[113:120]
	ds_load_b128 v[40:43], v76 offset:13248
	ds_load_b128 v[56:59], v76 offset:13280
	s_wait_loadcnt_dscnt 0x0
	s_barrier_signal -1
	s_barrier_wait -1
	v_wmma_f32_16x16x16_f16 v[113:120], v[52:55], v[32:35], v[113:120]
	global_inv scope:SCOPE_SE
	v_wmma_f32_16x16x16_f16 v[121:128], v[40:43], v[36:39], v[121:128]
	s_delay_alu instid0(VALU_DEP_1) | instskip(SKIP_1) | instid1(VALU_DEP_1)
	v_wmma_f32_16x16x16_f16 v[121:128], v[56:59], v[32:35], v[121:128]
	v_add_nc_u32_e32 v34, 0, v169
	v_lshl_add_u32 v32, v170, 2, v34
	v_lshl_add_u32 v33, v162, 2, v34
	;; [unrolled: 1-line block ×7, first 2 shown]
	ds_load_b32 v40, v33 offset:17408
	ds_load_b32 v35, v35 offset:17408
	;; [unrolled: 1-line block ×6, first 2 shown]
	v_add_nc_u32_e32 v33, 0x4400, v32
	ds_load_b32 v41, v32 offset:17416
	ds_load_2addr_b32 v[32:33], v33 offset1:1
	s_wait_dscnt 0x7
	v_lshrrev_b32_e32 v45, 16, v40
	v_cvt_f32_f16_e32 v40, v40
	s_delay_alu instid0(VALU_DEP_2)
	v_cvt_f32_f16_e32 v45, v45
	s_wait_dscnt 0x1
	v_cvt_f32_f16_e32 v44, v41
	s_wait_dscnt 0x0
	v_cvt_f32_f16_e32 v42, v32
	v_lshrrev_b32_e32 v32, 16, v32
	v_cvt_f32_f16_e32 v43, v33
	v_lshrrev_b32_e32 v33, 16, v33
	v_lshrrev_b32_e32 v41, 16, v41
	v_add_f32_e32 v62, v77, v42
	v_cvt_f32_f16_e32 v32, v32
	v_add_f32_e32 v76, v79, v43
	v_cvt_f32_f16_e32 v33, v33
	v_cvt_f32_f16_e32 v41, v41
	v_add_f32_e32 v79, v83, v40
	v_add_f32_e32 v63, v78, v32
	v_cvt_f32_f16_e32 v32, v35
	v_add_f32_e32 v77, v80, v33
	v_lshrrev_b32_e32 v33, 16, v35
	v_cvt_f32_f16_e32 v35, v36
	v_lshrrev_b32_e32 v36, 16, v36
	v_cvt_f32_f16_e32 v40, v37
	;; [unrolled: 2-line block ×3, first 2 shown]
	v_add_f32_e32 v80, v82, v41
	v_cvt_f32_f16_e32 v36, v36
	v_lshrrev_b32_e32 v41, 16, v38
	v_cvt_f32_f16_e32 v38, v38
	v_cvt_f32_f16_e32 v37, v37
	v_add_f32_e32 v54, v105, v32
	v_add_f32_e32 v57, v108, v36
	v_lshl_add_u32 v32, v156, 2, v34
	v_add_f32_e32 v55, v106, v33
	v_lshl_add_u32 v33, v159, 2, v34
	;; [unrolled: 2-line block ×3, first 2 shown]
	v_lshl_add_u32 v36, v155, 2, v34
	v_dual_add_f32 v60, v110, v37 :: v_dual_add_f32 v59, v111, v38
	v_lshl_add_u32 v37, v157, 2, v34
	v_lshl_add_u32 v38, v161, 2, v34
	v_lshl_add_u32 v34, v164, 2, v34
	ds_load_b32 v32, v32 offset:17408
	ds_load_b32 v33, v33 offset:17408
	;; [unrolled: 1-line block ×7, first 2 shown]
	v_cvt_f32_f16_e32 v41, v41
	v_add_f32_e32 v61, v109, v40
	v_cvt_f32_f16_e32 v40, v39
	v_lshrrev_b32_e32 v39, 16, v39
	v_dual_add_f32 v81, v81, v44 :: v_dual_add_f32 v78, v84, v45
	s_delay_alu instid0(VALU_DEP_2) | instskip(NEXT) | instid1(VALU_DEP_1)
	v_cvt_f32_f16_e32 v39, v39
	v_add_f32_e32 v47, v114, v39
	s_wait_dscnt 0x5
	v_cvt_f32_f16_e32 v42, v33
	v_lshrrev_b32_e32 v33, 16, v33
	s_wait_dscnt 0x4
	v_lshrrev_b32_e32 v43, 16, v35
	v_cvt_f32_f16_e32 v35, v35
	v_add_f32_e32 v58, v112, v41
	v_cvt_f32_f16_e32 v41, v32
	v_lshrrev_b32_e32 v32, 16, v32
	v_cvt_f32_f16_e32 v33, v33
	s_wait_dscnt 0x0
	v_lshrrev_b32_e32 v39, 16, v34
	v_cvt_f32_f16_e32 v34, v34
	v_add_f32_e32 v51, v119, v35
	v_cvt_f32_f16_e32 v32, v32
	v_add_f32_e32 v52, v118, v33
	v_lshrrev_b32_e32 v33, 16, v36
	v_cvt_f32_f16_e32 v35, v37
	v_cvt_f32_f16_e32 v43, v43
	v_add_f32_e32 v49, v116, v32
	v_cvt_f32_f16_e32 v32, v36
	v_lshrrev_b32_e32 v36, 16, v37
	v_cvt_f32_f16_e32 v37, v38
	v_lshrrev_b32_e32 v38, 16, v38
	v_cvt_f32_f16_e32 v33, v33
	v_add_f32_e32 v46, v113, v40
	v_add_f32_e32 v53, v117, v42
	v_cvt_f32_f16_e32 v82, v39
	v_cvt_f32_f16_e32 v42, v38
	v_dual_add_f32 v38, v121, v32 :: v_dual_add_f32 v39, v122, v33
	v_dual_add_f32 v32, 0x40051340, v62 :: v_dual_add_f32 v33, 0x40051340, v63
	;; [unrolled: 1-line block ×3, first 2 shown]
	v_add_f32_e32 v40, v123, v35
	v_add_f32_e32 v43, v127, v34
	s_delay_alu instid0(VALU_DEP_4)
	v_max3_num_f32 v32, v148, v32, v33
	v_dual_add_f32 v33, 0x40051340, v76 :: v_dual_add_f32 v34, 0x40051340, v77
	v_add_f32_e32 v44, v126, v42
	v_add_f32_e32 v42, v128, v82
	v_cvt_f32_f16_e32 v36, v36
	v_add_f32_e32 v48, v115, v41
	v_max3_num_f32 v32, v32, v33, v34
	v_dual_add_f32 v33, 0x40051340, v81 :: v_dual_add_f32 v34, 0x40051340, v80
	s_delay_alu instid0(VALU_DEP_4) | instskip(NEXT) | instid1(VALU_DEP_2)
	v_add_f32_e32 v41, v124, v36
	v_max3_num_f32 v32, v32, v33, v34
	v_dual_add_f32 v33, 0x40051340, v79 :: v_dual_add_f32 v34, 0x40051340, v78
	s_delay_alu instid0(VALU_DEP_1) | instskip(SKIP_1) | instid1(VALU_DEP_1)
	v_max3_num_f32 v32, v32, v33, v34
	v_dual_add_f32 v33, 0x40051340, v54 :: v_dual_add_f32 v34, 0x40051340, v55
	v_max3_num_f32 v32, v32, v33, v34
	v_dual_add_f32 v33, 0x40051340, v56 :: v_dual_add_f32 v34, 0x40051340, v57
	s_delay_alu instid0(VALU_DEP_1) | instskip(SKIP_1) | instid1(VALU_DEP_1)
	v_max3_num_f32 v32, v32, v33, v34
	v_dual_add_f32 v33, 0x40051340, v61 :: v_dual_add_f32 v34, 0x40051340, v60
	;; [unrolled: 5-line block ×6, first 2 shown]
	v_max3_num_f32 v32, v32, v33, v34
	v_dual_add_f32 v33, 0x40051340, v43 :: v_dual_add_f32 v34, 0x40051340, v42
	s_delay_alu instid0(VALU_DEP_1) | instskip(SKIP_2) | instid1(VALU_DEP_1)
	v_max3_num_f32 v32, v32, v33, v34
	s_wait_alu 0xfffd
	v_cndmask_b32_e32 v33, v143, v142, vcc_lo
	v_lshlrev_b32_e32 v37, 2, v33
	ds_bpermute_b32 v33, v37, v32
	s_wait_dscnt 0x0
	v_max_num_f32_e32 v33, v33, v33
	s_delay_alu instid0(VALU_DEP_1) | instskip(NEXT) | instid1(VALU_DEP_1)
	v_max_num_f32_e32 v36, v32, v33
	v_sub_f32_e32 v32, v148, v36
	s_delay_alu instid0(VALU_DEP_1)
	v_mul_f32_e32 v33, 0x3fb8aa3b, v32
	v_sub_f32_e32 v62, v62, v36
	v_sub_f32_e32 v59, v59, v36
	;; [unrolled: 1-line block ×4, first 2 shown]
	v_fma_f32 v34, 0x3fb8aa3b, v32, -v33
	v_rndne_f32_e32 v35, v33
	v_sub_f32_e32 v53, v53, v36
	v_sub_f32_e32 v51, v51, v36
	;; [unrolled: 1-line block ×3, first 2 shown]
	s_delay_alu instid0(VALU_DEP_4)
	v_dual_fmac_f32 v34, 0x32a5705f, v32 :: v_dual_sub_f32 v33, v33, v35
	v_sub_f32_e32 v49, v49, v36
	v_sub_f32_e32 v41, v41, v36
	;; [unrolled: 1-line block ×4, first 2 shown]
	v_add_f32_e32 v33, v33, v34
	v_cvt_i32_f32_e32 v34, v35
	v_cmp_ngt_f32_e32 vcc_lo, 0xc2ce8ed0, v32
	v_sub_f32_e32 v60, v60, v36
	v_sub_f32_e32 v43, v43, v36
	v_exp_f32_e32 v33, v33
	v_sub_f32_e32 v44, v44, v36
	v_sub_f32_e32 v56, v56, v36
	;; [unrolled: 1-line block ×8, first 2 shown]
	s_delay_alu instid0(TRANS32_DEP_1) | instskip(SKIP_1) | instid1(VALU_DEP_1)
	v_ldexp_f32 v33, v33, v34
	s_wait_alu 0xfffd
	v_cndmask_b32_e32 v33, 0, v33, vcc_lo
	v_cmp_nlt_f32_e32 vcc_lo, 0x42b17218, v32
	s_wait_alu 0xfffd
	s_delay_alu instid0(VALU_DEP_2) | instskip(SKIP_2) | instid1(VALU_DEP_2)
	v_cndmask_b32_e32 v33, 0x7f800000, v33, vcc_lo
	v_cmp_le_f32_e32 vcc_lo, 0xc1a00000, v32
	s_wait_alu 0xfffd
	v_cndmask_b32_e32 v82, 0, v33, vcc_lo
	s_delay_alu instid0(VALU_DEP_1) | instskip(NEXT) | instid1(VALU_DEP_1)
	v_cvt_f16_f32_e32 v32, v82
	v_and_b32_e32 v32, 0xffff, v32
	s_delay_alu instid0(VALU_DEP_1) | instskip(NEXT) | instid1(VALU_DEP_1)
	v_mul_u32_u24_e32 v83, 0x10001, v32
	v_pk_mul_f16 v32, v20, v83
	v_pk_mul_f16 v33, v21, v83
	;; [unrolled: 1-line block ×4, first 2 shown]
	v_mul_lo_u32 v24, s0, v65
	v_mul_lo_u32 v25, s1, v64
	v_pk_mul_f16 v34, v22, v83
	v_pk_mul_f16 v22, v26, v83
	v_mul_hi_u32 v26, s0, v64
	v_pk_mul_f16 v35, v23, v83
	v_pk_mul_f16 v23, v27, v83
	;; [unrolled: 1-line block ×4, first 2 shown]
	v_add_nc_u32_e32 v25, v24, v25
	v_mul_lo_u32 v24, s0, v64
	v_pk_mul_f16 v30, v30, v83
	v_pk_mul_f16 v31, v31, v83
	;; [unrolled: 1-line block ×3, first 2 shown]
	v_add_nc_u32_e32 v25, v25, v26
	v_pk_mul_f16 v17, v17, v83
	v_pk_mul_f16 v18, v18, v83
	;; [unrolled: 1-line block ×4, first 2 shown]
	v_lshlrev_b64_e32 v[24:25], 2, v[24:25]
	v_pk_mul_f16 v13, v13, v83
	v_pk_mul_f16 v14, v14, v83
	v_pk_mul_f16 v15, v15, v83
	v_pk_mul_f16 v8, v8, v83
	v_pk_mul_f16 v9, v9, v83
	v_add_co_u32 v87, vcc_lo, s8, v24
	s_wait_alu 0xfffd
	v_add_co_ci_u32_e64 v88, null, s9, v25, vcc_lo
	v_lshlrev_b64_e32 v[24:25], 2, v[165:166]
	v_pk_mul_f16 v10, v10, v83
	v_pk_mul_f16 v11, v11, v83
	v_pk_mul_f16 v4, v4, v83
	v_pk_mul_f16 v5, v5, v83
	v_pk_mul_f16 v6, v6, v83
	v_add_co_u32 v26, vcc_lo, v87, v24
	s_wait_alu 0xfffd
	v_add_co_ci_u32_e64 v27, null, v88, v25, vcc_lo
	;; [unrolled: 9-line block ×3, first 2 shown]
	v_add_co_u32 v24, vcc_lo, v26, v66
	s_wait_alu 0xfffd
	v_add_co_ci_u32_e64 v25, null, v27, v67, vcc_lo
	v_add_co_u32 v64, vcc_lo, v64, v66
	s_wait_alu 0xfffd
	v_add_co_ci_u32_e64 v65, null, v65, v67, vcc_lo
	s_clause 0x1
	global_load_b128 v[24:27], v[24:25], off
	global_load_b128 v[83:86], v[64:65], off
	s_wait_loadcnt 0x1
	ds_store_b128 v68, v[24:27]
	s_wait_loadcnt 0x0
	ds_store_b128 v69, v[83:86]
	v_lshlrev_b64_e32 v[24:25], 2, v[129:130]
	s_delay_alu instid0(VALU_DEP_1) | instskip(SKIP_1) | instid1(VALU_DEP_2)
	v_add_co_u32 v26, vcc_lo, v87, v24
	s_wait_alu 0xfffd
	v_add_co_ci_u32_e64 v27, null, v88, v25, vcc_lo
	v_lshlrev_b64_e32 v[24:25], 2, v[131:132]
	s_delay_alu instid0(VALU_DEP_1) | instskip(SKIP_1) | instid1(VALU_DEP_2)
	v_add_co_u32 v64, vcc_lo, v87, v24
	s_wait_alu 0xfffd
	v_add_co_ci_u32_e64 v65, null, v88, v25, vcc_lo
	v_add_co_u32 v24, vcc_lo, v26, v66
	s_wait_alu 0xfffd
	v_add_co_ci_u32_e64 v25, null, v27, v67, vcc_lo
	v_add_co_u32 v64, vcc_lo, v64, v66
	s_wait_alu 0xfffd
	v_add_co_ci_u32_e64 v65, null, v65, v67, vcc_lo
	s_clause 0x1
	global_load_b128 v[24:27], v[24:25], off
	global_load_b128 v[83:86], v[64:65], off
	s_wait_loadcnt 0x1
	ds_store_b128 v70, v[24:27]
	s_wait_loadcnt 0x0
	ds_store_b128 v71, v[83:86]
	v_lshlrev_b64_e32 v[24:25], 2, v[133:134]
	s_delay_alu instid0(VALU_DEP_1) | instskip(SKIP_1) | instid1(VALU_DEP_2)
	v_add_co_u32 v26, vcc_lo, v87, v24
	s_wait_alu 0xfffd
	v_add_co_ci_u32_e64 v27, null, v88, v25, vcc_lo
	v_lshlrev_b64_e32 v[24:25], 2, v[135:136]
	s_delay_alu instid0(VALU_DEP_1) | instskip(SKIP_1) | instid1(VALU_DEP_2)
	v_add_co_u32 v64, vcc_lo, v87, v24
	s_wait_alu 0xfffd
	v_add_co_ci_u32_e64 v65, null, v88, v25, vcc_lo
	;; [unrolled: 23-line block ×3, first 2 shown]
	v_add_co_u32 v24, vcc_lo, v26, v66
	s_wait_alu 0xfffd
	v_add_co_ci_u32_e64 v25, null, v27, v67, vcc_lo
	v_add_co_u32 v64, vcc_lo, v64, v66
	s_wait_alu 0xfffd
	v_add_co_ci_u32_e64 v65, null, v65, v67, vcc_lo
	s_clause 0x1
	global_load_b128 v[24:27], v[24:25], off
	global_load_b128 v[64:67], v[64:65], off
	s_wait_loadcnt 0x1
	ds_store_b128 v74, v[24:27]
	s_wait_loadcnt 0x0
	ds_store_b128 v75, v[64:67]
	v_sub_f32_e32 v24, v81, v36
	s_wait_dscnt 0x0
	s_barrier_signal -1
	s_barrier_wait -1
	global_inv scope:SCOPE_SE
	v_mul_f32_e32 v25, 0x3fb8aa3b, v24
	v_cmp_ngt_f32_e64 s2, 0xc2ce8ed0, v24
	s_delay_alu instid0(VALU_DEP_2) | instskip(SKIP_1) | instid1(VALU_DEP_1)
	v_fma_f32 v26, 0x3fb8aa3b, v24, -v25
	v_rndne_f32_e32 v27, v25
	v_dual_fmac_f32 v26, 0x32a5705f, v24 :: v_dual_sub_f32 v25, v25, v27
	v_cvt_i32_f32_e32 v27, v27
	s_delay_alu instid0(VALU_DEP_2) | instskip(NEXT) | instid1(VALU_DEP_1)
	v_dual_add_f32 v25, v25, v26 :: v_dual_sub_f32 v26, v80, v36
	v_exp_f32_e32 v25, v25
	s_delay_alu instid0(VALU_DEP_1) | instskip(SKIP_1) | instid1(VALU_DEP_2)
	v_mul_f32_e32 v64, 0x3fb8aa3b, v26
	v_cmp_ngt_f32_e32 vcc_lo, 0xc2ce8ed0, v26
	v_fma_f32 v65, 0x3fb8aa3b, v26, -v64
	v_rndne_f32_e32 v66, v64
	s_delay_alu instid0(TRANS32_DEP_1) | instskip(NEXT) | instid1(VALU_DEP_3)
	v_ldexp_f32 v25, v25, v27
	v_fmac_f32_e32 v65, 0x32a5705f, v26
	s_delay_alu instid0(VALU_DEP_3) | instskip(SKIP_1) | instid1(VALU_DEP_3)
	v_sub_f32_e32 v64, v64, v66
	s_wait_alu 0xf1ff
	v_cndmask_b32_e64 v25, 0, v25, s2
	v_cmp_nlt_f32_e64 s2, 0x42b17218, v24
	s_delay_alu instid0(VALU_DEP_3) | instskip(NEXT) | instid1(VALU_DEP_1)
	v_dual_add_f32 v64, v64, v65 :: v_dual_sub_f32 v65, v79, v36
	v_mul_f32_e32 v67, 0x3fb8aa3b, v65
	v_cmp_ngt_f32_e64 s0, 0xc2ce8ed0, v65
	s_delay_alu instid0(VALU_DEP_2) | instskip(SKIP_1) | instid1(VALU_DEP_2)
	v_fma_f32 v68, 0x3fb8aa3b, v65, -v67
	v_rndne_f32_e32 v69, v67
	v_fmac_f32_e32 v68, 0x32a5705f, v65
	s_delay_alu instid0(VALU_DEP_2) | instskip(NEXT) | instid1(VALU_DEP_1)
	v_sub_f32_e32 v67, v67, v69
	v_add_f32_e32 v67, v67, v68
	v_sub_f32_e32 v68, v78, v36
	v_exp_f32_e32 v27, v64
	v_cvt_i32_f32_e32 v64, v66
	v_cvt_i32_f32_e32 v66, v69
	s_delay_alu instid0(VALU_DEP_3) | instskip(SKIP_1) | instid1(VALU_DEP_2)
	v_mul_f32_e32 v70, 0x3fb8aa3b, v68
	v_cmp_ngt_f32_e64 s1, 0xc2ce8ed0, v68
	v_fma_f32 v71, 0x3fb8aa3b, v68, -v70
	v_rndne_f32_e32 v72, v70
	s_delay_alu instid0(TRANS32_DEP_1) | instskip(SKIP_1) | instid1(VALU_DEP_3)
	v_ldexp_f32 v27, v27, v64
	v_exp_f32_e32 v64, v67
	v_fmac_f32_e32 v71, 0x32a5705f, v68
	s_delay_alu instid0(VALU_DEP_3)
	v_sub_f32_e32 v70, v70, v72
	v_cvt_i32_f32_e32 v67, v72
	s_wait_alu 0xfffd
	v_cndmask_b32_e32 v27, 0, v27, vcc_lo
	v_cmp_nlt_f32_e32 vcc_lo, 0x42b17218, v26
	s_wait_alu 0xf1ff
	v_cndmask_b32_e64 v26, 0x7f800000, v25, s2
	v_add_f32_e32 v70, v70, v71
	v_ldexp_f32 v64, v64, v66
	s_wait_alu 0xfffd
	v_cndmask_b32_e32 v27, 0x7f800000, v27, vcc_lo
	s_delay_alu instid0(VALU_DEP_3) | instskip(NEXT) | instid1(VALU_DEP_2)
	v_exp_f32_e32 v66, v70
	v_cndmask_b32_e64 v64, 0, v64, s0
	v_cmp_nlt_f32_e64 s0, 0x42b17218, v65
	s_wait_alu 0xf1ff
	s_delay_alu instid0(VALU_DEP_1) | instskip(SKIP_1) | instid1(TRANS32_DEP_1)
	v_cndmask_b32_e64 v24, 0x7f800000, v64, s0
	v_cvt_f16_f32_e32 v64, v26
	v_ldexp_f32 v66, v66, v67
	v_cvt_f16_f32_e32 v67, v27
	s_delay_alu instid0(VALU_DEP_2) | instskip(SKIP_1) | instid1(VALU_DEP_3)
	v_cndmask_b32_e64 v65, 0, v66, s1
	v_cmp_nlt_f32_e64 s1, 0x42b17218, v68
	v_pack_b32_f16 v71, v64, v67
	v_sub_f32_e32 v64, v77, v36
	s_wait_alu 0xf1ff
	s_delay_alu instid0(VALU_DEP_3) | instskip(SKIP_1) | instid1(VALU_DEP_3)
	v_cndmask_b32_e64 v25, 0x7f800000, v65, s1
	v_cvt_f16_f32_e32 v65, v24
	v_cmp_ngt_f32_e32 vcc_lo, 0xc2ce8ed0, v64
	s_delay_alu instid0(VALU_DEP_3) | instskip(NEXT) | instid1(VALU_DEP_1)
	v_cvt_f16_f32_e32 v66, v25
	v_pack_b32_f16 v72, v65, v66
	v_mul_f32_e32 v65, 0x3fb8aa3b, v64
	s_delay_alu instid0(VALU_DEP_1) | instskip(SKIP_1) | instid1(VALU_DEP_1)
	v_fma_f32 v66, 0x3fb8aa3b, v64, -v65
	v_rndne_f32_e32 v67, v65
	v_dual_fmac_f32 v66, 0x32a5705f, v64 :: v_dual_sub_f32 v65, v65, v67
	v_cvt_i32_f32_e32 v67, v67
	s_delay_alu instid0(VALU_DEP_2) | instskip(NEXT) | instid1(VALU_DEP_1)
	v_dual_add_f32 v65, v65, v66 :: v_dual_sub_f32 v66, v76, v36
	v_exp_f32_e32 v65, v65
	s_delay_alu instid0(VALU_DEP_1) | instskip(NEXT) | instid1(TRANS32_DEP_1)
	v_cmp_ngt_f32_e64 s0, 0xc2ce8ed0, v66
	v_ldexp_f32 v65, v65, v67
	s_wait_alu 0xfffd
	s_delay_alu instid0(VALU_DEP_1) | instskip(NEXT) | instid1(VALU_DEP_1)
	v_dual_mul_f32 v68, 0x3fb8aa3b, v66 :: v_dual_cndmask_b32 v65, 0, v65
	v_fma_f32 v69, 0x3fb8aa3b, v66, -v68
	v_rndne_f32_e32 v70, v68
	v_cmp_nlt_f32_e32 vcc_lo, 0x42b17218, v64
	s_delay_alu instid0(VALU_DEP_3) | instskip(SKIP_1) | instid1(VALU_DEP_3)
	v_fmac_f32_e32 v69, 0x32a5705f, v66
	s_wait_alu 0xfffd
	v_dual_sub_f32 v68, v68, v70 :: v_dual_cndmask_b32 v65, 0x7f800000, v65
	v_cmp_ngt_f32_e32 vcc_lo, 0xc2ce8ed0, v63
	s_delay_alu instid0(VALU_DEP_2) | instskip(NEXT) | instid1(VALU_DEP_1)
	v_add_f32_e32 v68, v68, v69
	v_exp_f32_e32 v67, v68
	v_cvt_i32_f32_e32 v68, v70
	s_delay_alu instid0(TRANS32_DEP_1) | instid1(VALU_DEP_1)
	v_ldexp_f32 v67, v67, v68
	s_wait_alu 0xf1ff
	s_delay_alu instid0(VALU_DEP_1) | instskip(SKIP_3) | instid1(VALU_DEP_2)
	v_cndmask_b32_e64 v64, 0, v67, s0
	v_cmp_nlt_f32_e64 s0, 0x42b17218, v66
	v_cvt_f16_f32_e32 v67, v65
	s_wait_alu 0xf1ff
	v_cndmask_b32_e64 v64, 0x7f800000, v64, s0
	s_delay_alu instid0(VALU_DEP_1) | instskip(NEXT) | instid1(VALU_DEP_1)
	v_cvt_f16_f32_e32 v66, v64
	v_pack_b32_f16 v70, v66, v67
	v_mul_f32_e32 v66, 0x3fb8aa3b, v63
	s_delay_alu instid0(VALU_DEP_1) | instskip(SKIP_1) | instid1(VALU_DEP_1)
	v_fma_f32 v67, 0x3fb8aa3b, v63, -v66
	v_rndne_f32_e32 v68, v66
	v_dual_fmac_f32 v67, 0x32a5705f, v63 :: v_dual_sub_f32 v66, v66, v68
	v_cvt_i32_f32_e32 v68, v68
	s_delay_alu instid0(VALU_DEP_2) | instskip(NEXT) | instid1(VALU_DEP_1)
	v_dual_add_f32 v66, v66, v67 :: v_dual_mul_f32 v67, 0x3fb8aa3b, v62
	v_exp_f32_e32 v66, v66
	s_delay_alu instid0(VALU_DEP_1) | instskip(SKIP_1) | instid1(VALU_DEP_1)
	v_fma_f32 v69, 0x3fb8aa3b, v62, -v67
	v_rndne_f32_e32 v73, v67
	v_sub_f32_e32 v67, v67, v73
	s_delay_alu instid0(VALU_DEP_3) | instskip(SKIP_1) | instid1(TRANS32_DEP_1)
	v_fmac_f32_e32 v69, 0x32a5705f, v62
	v_cmp_ngt_f32_e64 s0, 0xc2ce8ed0, v62
	v_ldexp_f32 v66, v66, v68
	v_cvt_i32_f32_e32 v68, v73
	s_wait_alu 0xfffd
	s_delay_alu instid0(VALU_DEP_2) | instskip(SKIP_1) | instid1(VALU_DEP_2)
	v_dual_add_f32 v67, v67, v69 :: v_dual_cndmask_b32 v66, 0, v66
	v_cmp_nlt_f32_e32 vcc_lo, 0x42b17218, v63
	v_exp_f32_e32 v67, v67
	s_delay_alu instid0(TRANS32_DEP_1) | instskip(SKIP_2) | instid1(VALU_DEP_2)
	v_ldexp_f32 v67, v67, v68
	v_add3_u32 v68, 0, v100, v97
	s_wait_alu 0xf1ff
	v_cndmask_b32_e64 v63, 0, v67, s0
	v_cmp_nlt_f32_e64 s0, 0x42b17218, v62
	s_wait_alu 0xf1ff
	s_delay_alu instid0(VALU_DEP_1) | instskip(SKIP_3) | instid1(VALU_DEP_3)
	v_cndmask_b32_e64 v62, 0x7f800000, v63, s0
	s_wait_alu 0xfffd
	v_cndmask_b32_e32 v63, 0x7f800000, v66, vcc_lo
	v_cmp_ngt_f32_e32 vcc_lo, 0xc2ce8ed0, v60
	v_cvt_f16_f32_e32 v66, v62
	s_delay_alu instid0(VALU_DEP_3) | instskip(NEXT) | instid1(VALU_DEP_1)
	v_cvt_f16_f32_e32 v67, v63
	v_pack_b32_f16 v69, v66, v67
	v_add3_u32 v66, 0, v98, v97
	v_add3_u32 v67, 0, v99, v97
	v_sub_f32_e32 v55, v55, v36
	v_add_nc_u32_e32 v97, 0x1000, v68
	s_delay_alu instid0(VALU_DEP_4)
	v_dual_sub_f32 v46, v46, v36 :: v_dual_add_nc_u32 v95, 0x400, v66
	ds_load_2addr_b32 v[77:78], v95 offset0:16 offset1:32
	ds_load_2addr_b32 v[80:81], v67 offset1:16
	ds_load_2addr_b32 v[83:84], v68 offset1:16
	ds_load_2addr_b32 v[85:86], v95 offset0:84 offset1:100
	ds_load_2addr_b32 v[87:88], v66 offset0:136 offset1:152
	;; [unrolled: 1-line block ×3, first 2 shown]
	ds_load_2addr_b32 v[91:92], v66 offset1:16
	ds_load_2addr_b32 v[93:94], v66 offset0:68 offset1:84
	v_add_nc_u32_e32 v96, 0x1000, v67
	v_add_nc_u32_e32 v98, 0x1000, v66
	;; [unrolled: 1-line block ×4, first 2 shown]
	v_sub_f32_e32 v38, v38, v36
	s_wait_dscnt 0x5
	v_perm_b32 v76, v83, v80, 0x5040100
	s_wait_dscnt 0x4
	v_perm_b32 v75, v85, v77, 0x5040100
	;; [unrolled: 2-line block ×4, first 2 shown]
	v_perm_b32 v79, v86, v78, 0x5040100
	s_delay_alu instid0(VALU_DEP_2)
	v_wmma_f16_16x16x16_f16 v[28:31], v[73:76], v[69:72], v[28:31]
	v_perm_b32 v73, v93, v91, 0x7060302
	v_perm_b32 v74, v89, v87, 0x7060302
	;; [unrolled: 1-line block ×6, first 2 shown]
	s_delay_alu instid0(VALU_DEP_3)
	v_wmma_f16_16x16x16_f16 v[32:35], v[73:76], v[69:72], v[32:35]
	v_perm_b32 v75, v86, v78, 0x7060302
	v_perm_b32 v78, v90, v88, 0x5040100
	;; [unrolled: 1-line block ×5, first 2 shown]
	s_delay_alu instid0(VALU_DEP_4)
	v_wmma_f16_16x16x16_f16 v[20:23], v[77:80], v[69:72], v[20:23]
	ds_load_2addr_b32 v[80:81], v95 offset0:48 offset1:64
	ds_load_2addr_b32 v[85:86], v95 offset0:116 offset1:132
	;; [unrolled: 1-line block ×4, first 2 shown]
	v_wmma_f16_16x16x16_f16 v[16:19], v[73:76], v[69:72], v[16:19]
	s_wait_dscnt 0x2
	v_perm_b32 v79, v85, v80, 0x7060302
	v_perm_b32 v85, v85, v80, 0x5040100
	s_wait_dscnt 0x0
	v_perm_b32 v78, v91, v89, 0x7060302
	v_perm_b32 v84, v91, v89, 0x5040100
	;; [unrolled: 1-line block ×6, first 2 shown]
	ds_load_2addr_b32 v[80:81], v66 offset0:32 offset1:48
	ds_load_2addr_b32 v[90:91], v66 offset0:100 offset1:116
	s_wait_dscnt 0x0
	v_perm_b32 v77, v90, v80, 0x7060302
	v_perm_b32 v83, v90, v80, 0x5040100
	v_perm_b32 v87, v91, v81, 0x7060302
	v_perm_b32 v91, v91, v81, 0x5040100
	ds_load_2addr_b32 v[80:81], v67 offset0:32 offset1:48
	ds_load_2addr_b32 v[94:95], v68 offset0:32 offset1:48
	s_wait_dscnt 0x0
	v_perm_b32 v86, v94, v80, 0x5040100
	v_perm_b32 v80, v94, v80, 0x7060302
	;; [unrolled: 1-line block ×4, first 2 shown]
	v_add_nc_u32_e32 v95, 0x1400, v66
	v_wmma_f16_16x16x16_f16 v[12:15], v[83:86], v[69:72], v[12:15]
	v_wmma_f16_16x16x16_f16 v[8:11], v[77:80], v[69:72], v[8:11]
	;; [unrolled: 1-line block ×4, first 2 shown]
	v_mul_f32_e32 v69, 0x3fb8aa3b, v61
	ds_load_2addr_b32 v[77:78], v95 offset0:80 offset1:96
	ds_load_2addr_b32 v[80:81], v96 offset0:64 offset1:80
	;; [unrolled: 1-line block ×8, first 2 shown]
	v_fma_f32 v70, 0x3fb8aa3b, v61, -v69
	v_rndne_f32_e32 v71, v69
	s_delay_alu instid0(VALU_DEP_1) | instskip(SKIP_1) | instid1(VALU_DEP_2)
	v_dual_fmac_f32 v70, 0x32a5705f, v61 :: v_dual_sub_f32 v69, v69, v71
	v_cvt_i32_f32_e32 v71, v71
	v_dual_add_f32 v69, v69, v70 :: v_dual_mul_f32 v70, 0x3fb8aa3b, v60
	s_wait_dscnt 0x4
	v_perm_b32 v79, v86, v78, 0x5040100
	s_delay_alu instid0(VALU_DEP_2) | instskip(SKIP_1) | instid1(VALU_DEP_2)
	v_fma_f32 v72, 0x3fb8aa3b, v60, -v70
	v_rndne_f32_e32 v73, v70
	v_fmac_f32_e32 v72, 0x32a5705f, v60
	s_delay_alu instid0(VALU_DEP_2) | instskip(NEXT) | instid1(VALU_DEP_1)
	v_sub_f32_e32 v70, v70, v73
	v_add_f32_e32 v70, v70, v72
	v_mul_f32_e32 v72, 0x3fb8aa3b, v59
	v_cmp_ngt_f32_e64 s2, 0xc2ce8ed0, v61
	s_delay_alu instid0(VALU_DEP_3) | instskip(NEXT) | instid1(VALU_DEP_2)
	v_exp_f32_e32 v70, v70
	v_fma_f32 v74, 0x3fb8aa3b, v59, -v72
	v_rndne_f32_e32 v75, v72
	s_delay_alu instid0(VALU_DEP_1) | instskip(NEXT) | instid1(VALU_DEP_3)
	v_sub_f32_e32 v72, v72, v75
	v_fmac_f32_e32 v74, 0x32a5705f, v59
	v_exp_f32_e32 v69, v69
	v_cmp_ngt_f32_e64 s0, 0xc2ce8ed0, v59
	s_delay_alu instid0(TRANS32_DEP_1)
	v_ldexp_f32 v69, v69, v71
	v_cvt_i32_f32_e32 v71, v73
	s_delay_alu instid0(TRANS32_DEP_2) | instid1(VALU_DEP_1)
	v_ldexp_f32 v70, v70, v71
	v_mul_f32_e32 v71, 0x3fb8aa3b, v58
	s_wait_alu 0xfffd
	s_delay_alu instid0(VALU_DEP_2) | instskip(NEXT) | instid1(VALU_DEP_2)
	v_cndmask_b32_e32 v70, 0, v70, vcc_lo
	v_fma_f32 v73, 0x3fb8aa3b, v58, -v71
	v_cmp_nlt_f32_e32 vcc_lo, 0x42b17218, v60
	s_delay_alu instid0(VALU_DEP_2) | instskip(SKIP_2) | instid1(VALU_DEP_1)
	v_fmac_f32_e32 v73, 0x32a5705f, v58
	v_add_f32_e32 v72, v72, v74
	v_rndne_f32_e32 v74, v71
	v_sub_f32_e32 v71, v71, v74
	v_cmp_ngt_f32_e64 s1, 0xc2ce8ed0, v58
	s_delay_alu instid0(VALU_DEP_2) | instskip(SKIP_2) | instid1(VALU_DEP_2)
	v_add_f32_e32 v71, v71, v73
	v_exp_f32_e32 v72, v72
	v_cvt_i32_f32_e32 v73, v75
	v_exp_f32_e32 v60, v71
	v_cvt_i32_f32_e32 v71, v74
	s_delay_alu instid0(TRANS32_DEP_2) | instid1(VALU_DEP_2)
	v_ldexp_f32 v72, v72, v73
	s_delay_alu instid0(TRANS32_DEP_1) | instid1(VALU_DEP_2)
	v_ldexp_f32 v60, v60, v71
	s_wait_alu 0xf1ff
	s_delay_alu instid0(VALU_DEP_2) | instskip(SKIP_1) | instid1(VALU_DEP_3)
	v_cndmask_b32_e64 v71, 0, v72, s0
	v_cmp_nlt_f32_e64 s0, 0x42b17218, v59
	v_cndmask_b32_e64 v59, 0, v60, s1
	v_cmp_nlt_f32_e64 s1, 0x42b17218, v58
	;; [unrolled: 2-line block ×3, first 2 shown]
	s_wait_alu 0xfffd
	v_cndmask_b32_e32 v61, 0x7f800000, v70, vcc_lo
	v_cmp_ngt_f32_e32 vcc_lo, 0xc2ce8ed0, v57
	s_wait_alu 0xf1ff
	v_cndmask_b32_e64 v59, 0x7f800000, v59, s1
	v_cmp_ngt_f32_e64 s1, 0xc2ce8ed0, v50
	v_cndmask_b32_e64 v60, 0x7f800000, v58, s2
	v_cndmask_b32_e64 v58, 0x7f800000, v71, s0
	v_cvt_f16_f32_e32 v73, v61
	v_cvt_f16_f32_e32 v71, v59
	v_cmp_ngt_f32_e64 s0, 0xc2ce8ed0, v56
	v_cvt_f16_f32_e32 v69, v60
	v_cvt_f16_f32_e32 v70, v58
	s_delay_alu instid0(VALU_DEP_1) | instskip(NEXT) | instid1(VALU_DEP_3)
	v_pack_b32_f16 v72, v70, v71
	v_pack_b32_f16 v71, v69, v73
	v_mul_f32_e32 v69, 0x3fb8aa3b, v57
	s_delay_alu instid0(VALU_DEP_1) | instskip(SKIP_1) | instid1(VALU_DEP_2)
	v_fma_f32 v70, 0x3fb8aa3b, v57, -v69
	v_rndne_f32_e32 v73, v69
	v_fmac_f32_e32 v70, 0x32a5705f, v57
	s_delay_alu instid0(VALU_DEP_2) | instskip(SKIP_1) | instid1(VALU_DEP_2)
	v_sub_f32_e32 v69, v69, v73
	v_cvt_i32_f32_e32 v73, v73
	v_dual_add_f32 v69, v69, v70 :: v_dual_mul_f32 v70, 0x3fb8aa3b, v56
	s_delay_alu instid0(VALU_DEP_1) | instskip(NEXT) | instid1(VALU_DEP_1)
	v_exp_f32_e32 v69, v69
	v_fma_f32 v74, 0x3fb8aa3b, v56, -v70
	v_rndne_f32_e32 v75, v70
	s_delay_alu instid0(VALU_DEP_2) | instskip(NEXT) | instid1(VALU_DEP_2)
	v_fmac_f32_e32 v74, 0x32a5705f, v56
	v_sub_f32_e32 v70, v70, v75
	s_delay_alu instid0(TRANS32_DEP_1) | instskip(SKIP_2) | instid1(VALU_DEP_2)
	v_ldexp_f32 v69, v69, v73
	v_cvt_i32_f32_e32 v73, v75
	s_wait_alu 0xfffd
	v_dual_add_f32 v70, v70, v74 :: v_dual_cndmask_b32 v69, 0, v69
	v_cmp_nlt_f32_e32 vcc_lo, 0x42b17218, v57
	s_delay_alu instid0(VALU_DEP_2) | instskip(NEXT) | instid1(TRANS32_DEP_1)
	v_exp_f32_e32 v70, v70
	v_ldexp_f32 v70, v70, v73
	s_wait_alu 0xf1ff
	s_delay_alu instid0(VALU_DEP_1) | instskip(SKIP_2) | instid1(VALU_DEP_1)
	v_cndmask_b32_e64 v57, 0, v70, s0
	v_cmp_nlt_f32_e64 s0, 0x42b17218, v56
	s_wait_alu 0xf1ff
	v_cndmask_b32_e64 v56, 0x7f800000, v57, s0
	s_wait_alu 0xfffd
	v_cndmask_b32_e32 v57, 0x7f800000, v69, vcc_lo
	v_cmp_ngt_f32_e32 vcc_lo, 0xc2ce8ed0, v55
	v_cmp_ngt_f32_e64 s0, 0xc2ce8ed0, v54
	v_cvt_f16_f32_e32 v69, v56
	s_delay_alu instid0(VALU_DEP_4) | instskip(NEXT) | instid1(VALU_DEP_1)
	v_cvt_f16_f32_e32 v70, v57
	v_pack_b32_f16 v70, v69, v70
	v_mul_f32_e32 v69, 0x3fb8aa3b, v55
	s_delay_alu instid0(VALU_DEP_1) | instskip(SKIP_1) | instid1(VALU_DEP_2)
	v_fma_f32 v73, 0x3fb8aa3b, v55, -v69
	v_rndne_f32_e32 v74, v69
	v_fmac_f32_e32 v73, 0x32a5705f, v55
	s_delay_alu instid0(VALU_DEP_2) | instskip(SKIP_1) | instid1(VALU_DEP_2)
	v_sub_f32_e32 v69, v69, v74
	v_cvt_i32_f32_e32 v74, v74
	v_add_f32_e32 v69, v69, v73
	v_mul_f32_e32 v73, 0x3fb8aa3b, v54
	s_delay_alu instid0(VALU_DEP_2) | instskip(NEXT) | instid1(VALU_DEP_1)
	v_exp_f32_e32 v69, v69
	v_fma_f32 v75, 0x3fb8aa3b, v54, -v73
	v_rndne_f32_e32 v76, v73
	s_delay_alu instid0(VALU_DEP_2) | instskip(NEXT) | instid1(VALU_DEP_2)
	v_fmac_f32_e32 v75, 0x32a5705f, v54
	v_sub_f32_e32 v73, v73, v76
	s_delay_alu instid0(TRANS32_DEP_1) | instskip(SKIP_1) | instid1(VALU_DEP_3)
	v_ldexp_f32 v69, v69, v74
	v_cvt_i32_f32_e32 v74, v76
	v_add_f32_e32 v73, v73, v75
	v_perm_b32 v76, v83, v80, 0x5040100
	v_perm_b32 v75, v85, v77, 0x5040100
	s_wait_alu 0xfffd
	v_cndmask_b32_e32 v69, 0, v69, vcc_lo
	v_cmp_nlt_f32_e32 vcc_lo, 0x42b17218, v55
	v_exp_f32_e32 v73, v73
	s_delay_alu instid0(TRANS32_DEP_1) | instskip(SKIP_3) | instid1(VALU_DEP_2)
	v_ldexp_f32 v73, v73, v74
	s_wait_dscnt 0x2
	v_perm_b32 v74, v89, v87, 0x5040100
	s_wait_alu 0xf1ff
	v_cndmask_b32_e64 v55, 0, v73, s0
	v_cmp_nlt_f32_e64 s0, 0x42b17218, v54
	s_wait_alu 0xf1ff
	s_delay_alu instid0(VALU_DEP_1) | instskip(SKIP_3) | instid1(VALU_DEP_3)
	v_cndmask_b32_e64 v54, 0x7f800000, v55, s0
	s_wait_alu 0xfffd
	v_cndmask_b32_e32 v55, 0x7f800000, v69, vcc_lo
	v_cmp_ngt_f32_e32 vcc_lo, 0xc2ce8ed0, v52
	v_cvt_f16_f32_e32 v69, v54
	s_delay_alu instid0(VALU_DEP_3) | instskip(NEXT) | instid1(VALU_DEP_1)
	v_cvt_f16_f32_e32 v73, v55
	v_pack_b32_f16 v69, v69, v73
	s_wait_dscnt 0x0
	v_perm_b32 v73, v93, v91, 0x5040100
	s_delay_alu instid0(VALU_DEP_1)
	v_wmma_f16_16x16x16_f16 v[28:31], v[73:76], v[69:72], v[28:31]
	v_perm_b32 v73, v93, v91, 0x7060302
	v_perm_b32 v74, v89, v87, 0x7060302
	;; [unrolled: 1-line block ×6, first 2 shown]
	s_delay_alu instid0(VALU_DEP_3)
	v_wmma_f16_16x16x16_f16 v[32:35], v[73:76], v[69:72], v[32:35]
	v_perm_b32 v75, v86, v78, 0x7060302
	v_perm_b32 v78, v90, v88, 0x5040100
	;; [unrolled: 1-line block ×5, first 2 shown]
	s_delay_alu instid0(VALU_DEP_4)
	v_wmma_f16_16x16x16_f16 v[20:23], v[77:80], v[69:72], v[20:23]
	ds_load_2addr_b32 v[80:81], v95 offset0:44 offset1:60
	ds_load_2addr_b32 v[85:86], v95 offset0:112 offset1:128
	;; [unrolled: 1-line block ×4, first 2 shown]
	v_wmma_f16_16x16x16_f16 v[16:19], v[73:76], v[69:72], v[16:19]
	s_wait_dscnt 0x1
	v_perm_b32 v79, v89, v85, 0x7060302
	s_wait_dscnt 0x0
	v_perm_b32 v78, v80, v91, 0x7060302
	v_perm_b32 v85, v89, v85, 0x5040100
	;; [unrolled: 1-line block ×7, first 2 shown]
	ds_load_2addr_b32 v[80:81], v98 offset0:96 offset1:112
	ds_load_2addr_b32 v[90:91], v98 offset0:164 offset1:180
	s_wait_dscnt 0x0
	v_perm_b32 v77, v90, v80, 0x7060302
	v_perm_b32 v83, v90, v80, 0x5040100
	;; [unrolled: 1-line block ×4, first 2 shown]
	ds_load_2addr_b32 v[80:81], v96 offset0:96 offset1:112
	ds_load_2addr_b32 v[94:95], v97 offset0:96 offset1:112
	s_wait_dscnt 0x0
	v_perm_b32 v86, v94, v80, 0x5040100
	v_perm_b32 v80, v94, v80, 0x7060302
	;; [unrolled: 1-line block ×4, first 2 shown]
	s_delay_alu instid0(VALU_DEP_4) | instskip(NEXT) | instid1(VALU_DEP_4)
	v_wmma_f16_16x16x16_f16 v[12:15], v[83:86], v[69:72], v[12:15]
	v_wmma_f16_16x16x16_f16 v[8:11], v[77:80], v[69:72], v[8:11]
	s_delay_alu instid0(VALU_DEP_4) | instskip(NEXT) | instid1(VALU_DEP_4)
	v_wmma_f16_16x16x16_f16 v[4:7], v[91:94], v[69:72], v[4:7]
	v_wmma_f16_16x16x16_f16 v[0:3], v[87:90], v[69:72], v[0:3]
	v_mul_f32_e32 v69, 0x3fb8aa3b, v53
	v_add_nc_u32_e32 v87, 0x2400, v66
	v_add_nc_u32_e32 v90, 0x2000, v67
	s_delay_alu instid0(VALU_DEP_3) | instskip(SKIP_1) | instid1(VALU_DEP_1)
	v_fma_f32 v70, 0x3fb8aa3b, v53, -v69
	v_rndne_f32_e32 v71, v69
	v_dual_fmac_f32 v70, 0x32a5705f, v53 :: v_dual_sub_f32 v69, v69, v71
	v_cvt_i32_f32_e32 v71, v71
	s_delay_alu instid0(VALU_DEP_2) | instskip(NEXT) | instid1(VALU_DEP_1)
	v_dual_add_f32 v69, v69, v70 :: v_dual_mul_f32 v70, 0x3fb8aa3b, v52
	v_exp_f32_e32 v69, v69
	s_delay_alu instid0(VALU_DEP_1) | instskip(SKIP_1) | instid1(VALU_DEP_2)
	v_fma_f32 v72, 0x3fb8aa3b, v52, -v70
	v_rndne_f32_e32 v73, v70
	v_fmac_f32_e32 v72, 0x32a5705f, v52
	s_delay_alu instid0(VALU_DEP_2) | instskip(NEXT) | instid1(TRANS32_DEP_1)
	v_sub_f32_e32 v70, v70, v73
	v_ldexp_f32 v69, v69, v71
	v_cvt_i32_f32_e32 v71, v73
	s_delay_alu instid0(VALU_DEP_3) | instskip(NEXT) | instid1(VALU_DEP_1)
	v_add_f32_e32 v70, v70, v72
	v_exp_f32_e32 v70, v70
	s_delay_alu instid0(TRANS32_DEP_1) | instskip(SKIP_1) | instid1(VALU_DEP_1)
	v_ldexp_f32 v70, v70, v71
	s_wait_alu 0xfffd
	v_cndmask_b32_e32 v70, 0, v70, vcc_lo
	v_cmp_nlt_f32_e32 vcc_lo, 0x42b17218, v52
	v_mul_f32_e32 v52, 0x3fb8aa3b, v50
	v_cmp_ngt_f32_e64 s2, 0xc2ce8ed0, v53
	s_wait_alu 0xfffd
	v_cndmask_b32_e32 v94, 0x7f800000, v70, vcc_lo
	v_mul_f32_e32 v71, 0x3fb8aa3b, v51
	v_rndne_f32_e32 v74, v52
	v_cmp_ngt_f32_e64 s0, 0xc2ce8ed0, v51
	v_cmp_ngt_f32_e32 vcc_lo, 0xc2ce8ed0, v49
	s_delay_alu instid0(VALU_DEP_4) | instskip(SKIP_1) | instid1(VALU_DEP_1)
	v_fma_f32 v72, 0x3fb8aa3b, v51, -v71
	v_rndne_f32_e32 v73, v71
	v_dual_fmac_f32 v72, 0x32a5705f, v51 :: v_dual_sub_f32 v71, v71, v73
	s_delay_alu instid0(VALU_DEP_1) | instskip(SKIP_2) | instid1(VALU_DEP_3)
	v_add_f32_e32 v71, v71, v72
	v_fma_f32 v72, 0x3fb8aa3b, v50, -v52
	v_sub_f32_e32 v52, v52, v74
	v_exp_f32_e32 v71, v71
	s_delay_alu instid0(VALU_DEP_2) | instskip(NEXT) | instid1(VALU_DEP_1)
	v_fmac_f32_e32 v72, 0x32a5705f, v50
	v_add_f32_e32 v52, v52, v72
	v_cvt_i32_f32_e32 v72, v73
	s_delay_alu instid0(VALU_DEP_2)
	v_exp_f32_e32 v52, v52
	s_delay_alu instid0(TRANS32_DEP_2) | instid1(VALU_DEP_1)
	v_ldexp_f32 v71, v71, v72
	v_cvt_i32_f32_e32 v72, v74
	s_wait_alu 0xf1ff
	s_delay_alu instid0(VALU_DEP_2)
	v_cndmask_b32_e64 v71, 0, v71, s0
	v_cmp_nlt_f32_e64 s0, 0x42b17218, v51
	s_delay_alu instid0(TRANS32_DEP_1) | instid1(VALU_DEP_3)
	v_ldexp_f32 v52, v52, v72
	s_wait_alu 0xf1ff
	s_delay_alu instid0(VALU_DEP_2) | instskip(SKIP_1) | instid1(VALU_DEP_3)
	v_cndmask_b32_e64 v92, 0x7f800000, v71, s0
	v_cmp_ngt_f32_e64 s0, 0xc2ce8ed0, v48
	v_cndmask_b32_e64 v51, 0, v52, s1
	v_cmp_nlt_f32_e64 s1, 0x42b17218, v50
	v_cndmask_b32_e64 v50, 0, v69, s2
	v_cmp_nlt_f32_e64 s2, 0x42b17218, v53
	v_cvt_f16_f32_e32 v53, v94
	s_wait_alu 0xf1ff
	v_cndmask_b32_e64 v93, 0x7f800000, v51, s1
	v_cvt_f16_f32_e32 v51, v92
	v_cndmask_b32_e64 v91, 0x7f800000, v50, s2
	v_cmp_ngt_f32_e64 s2, 0xc2ce8ed0, v45
	s_delay_alu instid0(VALU_DEP_4) | instskip(NEXT) | instid1(VALU_DEP_3)
	v_cvt_f16_f32_e32 v52, v93
	v_cvt_f16_f32_e32 v50, v91
	s_delay_alu instid0(VALU_DEP_2) | instskip(SKIP_1) | instid1(VALU_DEP_3)
	v_pack_b32_f16 v51, v51, v52
	v_mul_f32_e32 v52, 0x3fb8aa3b, v49
	v_pack_b32_f16 v50, v50, v53
	s_delay_alu instid0(VALU_DEP_2) | instskip(SKIP_1) | instid1(VALU_DEP_2)
	v_fma_f32 v53, 0x3fb8aa3b, v49, -v52
	v_rndne_f32_e32 v69, v52
	v_fmac_f32_e32 v53, 0x32a5705f, v49
	s_delay_alu instid0(VALU_DEP_2) | instskip(SKIP_1) | instid1(VALU_DEP_2)
	v_sub_f32_e32 v52, v52, v69
	v_cvt_i32_f32_e32 v69, v69
	v_dual_add_f32 v52, v52, v53 :: v_dual_mul_f32 v53, 0x3fb8aa3b, v48
	s_delay_alu instid0(VALU_DEP_1) | instskip(NEXT) | instid1(VALU_DEP_1)
	v_exp_f32_e32 v52, v52
	v_fma_f32 v70, 0x3fb8aa3b, v48, -v53
	v_rndne_f32_e32 v71, v53
	s_delay_alu instid0(VALU_DEP_2) | instskip(NEXT) | instid1(TRANS32_DEP_1)
	v_fmac_f32_e32 v70, 0x32a5705f, v48
	v_ldexp_f32 v52, v52, v69
	s_delay_alu instid0(VALU_DEP_3) | instskip(SKIP_1) | instid1(VALU_DEP_2)
	v_cvt_i32_f32_e32 v69, v71
	s_wait_alu 0xfffd
	v_cndmask_b32_e32 v52, 0, v52, vcc_lo
	v_cmp_nlt_f32_e32 vcc_lo, 0x42b17218, v49
	s_wait_alu 0xfffd
	s_delay_alu instid0(VALU_DEP_2) | instskip(NEXT) | instid1(VALU_DEP_1)
	v_dual_sub_f32 v53, v53, v71 :: v_dual_cndmask_b32 v96, 0x7f800000, v52
	v_add_f32_e32 v53, v53, v70
	s_delay_alu instid0(VALU_DEP_1) | instskip(NEXT) | instid1(TRANS32_DEP_1)
	v_exp_f32_e32 v53, v53
	v_ldexp_f32 v53, v53, v69
	s_delay_alu instid0(VALU_DEP_1) | instskip(SKIP_2) | instid1(VALU_DEP_1)
	v_cndmask_b32_e64 v49, 0, v53, s0
	v_cmp_nlt_f32_e64 s0, 0x42b17218, v48
	s_wait_alu 0xf1ff
	v_cndmask_b32_e64 v95, 0x7f800000, v49, s0
	v_cvt_f16_f32_e32 v49, v96
	v_cmp_ngt_f32_e64 s0, 0xc2ce8ed0, v46
	s_delay_alu instid0(VALU_DEP_3) | instskip(NEXT) | instid1(VALU_DEP_1)
	v_cvt_f16_f32_e32 v48, v95
	v_pack_b32_f16 v49, v48, v49
	v_mul_f32_e32 v48, 0x3fb8aa3b, v47
	s_delay_alu instid0(VALU_DEP_1) | instskip(SKIP_1) | instid1(VALU_DEP_1)
	v_fma_f32 v52, 0x3fb8aa3b, v47, -v48
	v_rndne_f32_e32 v53, v48
	v_sub_f32_e32 v48, v48, v53
	s_delay_alu instid0(VALU_DEP_3) | instskip(SKIP_2) | instid1(VALU_DEP_3)
	v_fmac_f32_e32 v52, 0x32a5705f, v47
	v_cvt_i32_f32_e32 v53, v53
	v_cmp_ngt_f32_e32 vcc_lo, 0xc2ce8ed0, v47
	v_add_f32_e32 v48, v48, v52
	v_mul_f32_e32 v52, 0x3fb8aa3b, v46
	s_delay_alu instid0(VALU_DEP_2) | instskip(NEXT) | instid1(VALU_DEP_1)
	v_exp_f32_e32 v48, v48
	v_fma_f32 v69, 0x3fb8aa3b, v46, -v52
	v_rndne_f32_e32 v70, v52
	s_delay_alu instid0(VALU_DEP_1) | instskip(NEXT) | instid1(TRANS32_DEP_1)
	v_sub_f32_e32 v52, v52, v70
	v_ldexp_f32 v48, v48, v53
	s_delay_alu instid0(VALU_DEP_4) | instskip(SKIP_2) | instid1(VALU_DEP_3)
	v_fmac_f32_e32 v69, 0x32a5705f, v46
	v_cvt_i32_f32_e32 v53, v70
	s_wait_alu 0xfffd
	v_cndmask_b32_e32 v48, 0, v48, vcc_lo
	s_delay_alu instid0(VALU_DEP_3) | instskip(SKIP_1) | instid1(VALU_DEP_2)
	v_add_f32_e32 v52, v52, v69
	v_cmp_nlt_f32_e32 vcc_lo, 0x42b17218, v47
	v_exp_f32_e32 v52, v52
	s_wait_alu 0xfffd
	v_cndmask_b32_e32 v98, 0x7f800000, v48, vcc_lo
	s_delay_alu instid0(TRANS32_DEP_1) | instskip(SKIP_1) | instid1(VALU_DEP_1)
	v_ldexp_f32 v52, v52, v53
	s_wait_alu 0xf1ff
	v_cndmask_b32_e64 v47, 0, v52, s0
	v_cmp_nlt_f32_e64 s0, 0x42b17218, v46
	s_wait_alu 0xf1ff
	s_delay_alu instid0(VALU_DEP_1) | instskip(SKIP_2) | instid1(VALU_DEP_3)
	v_cndmask_b32_e64 v97, 0x7f800000, v47, s0
	v_cvt_f16_f32_e32 v47, v98
	v_cmp_ngt_f32_e64 s0, 0xc2ce8ed0, v43
	v_cvt_f16_f32_e32 v46, v97
	s_delay_alu instid0(VALU_DEP_1)
	v_pack_b32_f16 v48, v46, v47
	ds_load_2addr_b32 v[46:47], v87 offset0:144 offset1:160
	ds_load_2addr_b32 v[52:53], v90 offset0:128 offset1:144
	;; [unrolled: 1-line block ×8, first 2 shown]
	s_wait_dscnt 0x5
	v_perm_b32 v72, v76, v52, 0x5040100
	s_wait_dscnt 0x4
	v_perm_b32 v71, v73, v46, 0x5040100
	;; [unrolled: 2-line block ×4, first 2 shown]
	v_perm_b32 v75, v74, v47, 0x5040100
	s_delay_alu instid0(VALU_DEP_2)
	v_wmma_f16_16x16x16_f16 v[28:31], v[69:72], v[48:51], v[28:31]
	v_perm_b32 v69, v85, v83, 0x7060302
	v_perm_b32 v70, v80, v78, 0x7060302
	;; [unrolled: 1-line block ×6, first 2 shown]
	v_add_nc_u32_e32 v46, 0x2600, v66
	s_delay_alu instid0(VALU_DEP_4)
	v_wmma_f16_16x16x16_f16 v[32:35], v[69:72], v[48:51], v[32:35]
	v_perm_b32 v71, v74, v47, 0x7060302
	v_perm_b32 v74, v81, v79, 0x5040100
	;; [unrolled: 1-line block ×5, first 2 shown]
	s_delay_alu instid0(VALU_DEP_4)
	v_wmma_f16_16x16x16_f16 v[20:23], v[73:76], v[48:51], v[20:23]
	ds_load_2addr_b32 v[46:47], v46 offset0:116 offset1:132
	ds_load_2addr_b32 v[52:53], v87 offset0:40 offset1:56
	;; [unrolled: 1-line block ×4, first 2 shown]
	v_wmma_f16_16x16x16_f16 v[16:19], v[69:72], v[48:51], v[16:19]
	s_wait_dscnt 0x1
	v_perm_b32 v75, v46, v76, 0x5040100
	s_wait_dscnt 0x0
	v_perm_b32 v74, v79, v52, 0x5040100
	v_perm_b32 v78, v79, v52, 0x7060302
	;; [unrolled: 1-line block ×7, first 2 shown]
	ds_load_2addr_b32 v[46:47], v100 offset0:160 offset1:176
	ds_load_2addr_b32 v[52:53], v100 offset0:228 offset1:244
	s_wait_dscnt 0x0
	v_perm_b32 v77, v52, v46, 0x7060302
	v_perm_b32 v73, v52, v46, 0x5040100
	;; [unrolled: 1-line block ×4, first 2 shown]
	ds_load_2addr_b32 v[46:47], v90 offset0:160 offset1:176
	ds_load_2addr_b32 v[52:53], v99 offset0:160 offset1:176
	s_wait_dscnt 0x0
	v_perm_b32 v76, v52, v46, 0x5040100
	v_perm_b32 v80, v52, v46, 0x7060302
	;; [unrolled: 1-line block ×4, first 2 shown]
	v_mul_f32_e32 v46, 0x3fb8aa3b, v45
	v_wmma_f16_16x16x16_f16 v[12:15], v[73:76], v[48:51], v[12:15]
	v_wmma_f16_16x16x16_f16 v[8:11], v[77:80], v[48:51], v[8:11]
	;; [unrolled: 1-line block ×4, first 2 shown]
	v_fma_f32 v47, 0x3fb8aa3b, v45, -v46
	v_rndne_f32_e32 v48, v46
	v_add_nc_u32_e32 v87, 0x3400, v66
	v_sub_f32_e32 v39, v39, v36
	v_add_nc_u32_e32 v85, 0x3000, v67
	s_delay_alu instid0(VALU_DEP_4)
	v_dual_fmac_f32 v47, 0x32a5705f, v45 :: v_dual_sub_f32 v46, v46, v48
	v_cvt_i32_f32_e32 v48, v48
	v_add_nc_u32_e32 v89, 0x3000, v66
	v_add_nc_u32_e32 v86, 0x3000, v68
	;; [unrolled: 1-line block ×3, first 2 shown]
	v_dual_add_f32 v46, v46, v47 :: v_dual_mul_f32 v47, 0x3fb8aa3b, v44
	s_delay_alu instid0(VALU_DEP_1) | instskip(SKIP_1) | instid1(VALU_DEP_2)
	v_fma_f32 v49, 0x3fb8aa3b, v44, -v47
	v_rndne_f32_e32 v50, v47
	v_fmac_f32_e32 v49, 0x32a5705f, v44
	s_delay_alu instid0(VALU_DEP_2) | instskip(SKIP_1) | instid1(VALU_DEP_1)
	v_sub_f32_e32 v47, v47, v50
	v_exp_f32_e32 v46, v46
	v_add_f32_e32 v47, v47, v49
	s_delay_alu instid0(VALU_DEP_1) | instskip(NEXT) | instid1(TRANS32_DEP_2)
	v_exp_f32_e32 v47, v47
	v_ldexp_f32 v46, v46, v48
	v_cvt_i32_f32_e32 v48, v50
	s_delay_alu instid0(TRANS32_DEP_1) | instid1(VALU_DEP_1)
	v_ldexp_f32 v47, v47, v48
	v_sub_f32_e32 v42, v42, v36
	v_mul_f32_e32 v48, 0x3fb8aa3b, v43
	s_delay_alu instid0(VALU_DEP_1) | instskip(SKIP_1) | instid1(VALU_DEP_1)
	v_fma_f32 v49, 0x3fb8aa3b, v43, -v48
	v_rndne_f32_e32 v50, v48
	v_dual_fmac_f32 v49, 0x32a5705f, v43 :: v_dual_sub_f32 v48, v48, v50
	v_cmp_ngt_f32_e32 vcc_lo, 0xc2ce8ed0, v44
	s_wait_alu 0xfffd
	s_delay_alu instid0(VALU_DEP_2) | instskip(SKIP_3) | instid1(VALU_DEP_3)
	v_dual_cndmask_b32 v47, 0, v47 :: v_dual_add_f32 v48, v48, v49
	v_mul_f32_e32 v49, 0x3fb8aa3b, v42
	v_cmp_nlt_f32_e32 vcc_lo, 0x42b17218, v44
	v_cmp_ngt_f32_e64 s1, 0xc2ce8ed0, v42
	v_fma_f32 v51, 0x3fb8aa3b, v42, -v49
	v_rndne_f32_e32 v52, v49
	s_delay_alu instid0(VALU_DEP_2) | instskip(NEXT) | instid1(VALU_DEP_2)
	v_fmac_f32_e32 v51, 0x32a5705f, v42
	v_sub_f32_e32 v49, v49, v52
	v_exp_f32_e32 v44, v48
	v_cvt_i32_f32_e32 v48, v50
	s_delay_alu instid0(VALU_DEP_2)
	v_add_f32_e32 v49, v49, v51
	s_delay_alu instid0(TRANS32_DEP_1) | instid1(VALU_DEP_2)
	v_ldexp_f32 v44, v44, v48
	s_delay_alu instid0(VALU_DEP_2) | instskip(SKIP_2) | instid1(VALU_DEP_2)
	v_exp_f32_e32 v48, v49
	v_cvt_i32_f32_e32 v49, v52
	s_wait_alu 0xf1ff
	v_cndmask_b32_e64 v44, 0, v44, s0
	v_cmp_nlt_f32_e64 s0, 0x42b17218, v43
	s_delay_alu instid0(TRANS32_DEP_1) | instid1(VALU_DEP_3)
	v_ldexp_f32 v48, v48, v49
	s_wait_alu 0xf1ff
	s_delay_alu instid0(VALU_DEP_2) | instskip(NEXT) | instid1(VALU_DEP_2)
	v_cndmask_b32_e64 v77, 0x7f800000, v44, s0
	v_cndmask_b32_e64 v43, 0, v48, s1
	v_cmp_nlt_f32_e64 s1, 0x42b17218, v42
	v_cndmask_b32_e64 v42, 0, v46, s2
	v_cmp_nlt_f32_e64 s2, 0x42b17218, v45
	s_wait_alu 0xf1ff
	s_delay_alu instid0(VALU_DEP_3) | instskip(SKIP_1) | instid1(VALU_DEP_3)
	v_cndmask_b32_e64 v78, 0x7f800000, v43, s1
	v_cvt_f16_f32_e32 v43, v77
	v_cndmask_b32_e64 v53, 0x7f800000, v42, s2
	s_mov_b32 s1, 0
	s_mov_b32 s2, exec_lo
	v_cvt_f16_f32_e32 v44, v78
	s_delay_alu instid0(VALU_DEP_2) | instskip(NEXT) | instid1(VALU_DEP_2)
	v_cvt_f16_f32_e32 v42, v53
	v_pack_b32_f16 v43, v43, v44
	v_mul_f32_e32 v44, 0x3fb8aa3b, v41
	s_delay_alu instid0(VALU_DEP_1) | instskip(SKIP_2) | instid1(VALU_DEP_1)
	v_rndne_f32_e32 v46, v44
	s_wait_alu 0xfffd
	v_cndmask_b32_e32 v79, 0x7f800000, v47, vcc_lo
	v_cvt_f16_f32_e32 v45, v79
	s_delay_alu instid0(VALU_DEP_1) | instskip(SKIP_3) | instid1(VALU_DEP_3)
	v_pack_b32_f16 v42, v42, v45
	v_fma_f32 v45, 0x3fb8aa3b, v41, -v44
	v_sub_f32_e32 v44, v44, v46
	v_cvt_i32_f32_e32 v46, v46
	v_fmac_f32_e32 v45, 0x32a5705f, v41
	s_delay_alu instid0(VALU_DEP_1) | instskip(SKIP_1) | instid1(VALU_DEP_2)
	v_dual_add_f32 v44, v44, v45 :: v_dual_mul_f32 v45, 0x3fb8aa3b, v40
	v_cmp_ngt_f32_e32 vcc_lo, 0xc2ce8ed0, v41
	v_exp_f32_e32 v44, v44
	s_delay_alu instid0(VALU_DEP_2) | instskip(SKIP_1) | instid1(VALU_DEP_2)
	v_fma_f32 v47, 0x3fb8aa3b, v40, -v45
	v_rndne_f32_e32 v48, v45
	v_fmac_f32_e32 v47, 0x32a5705f, v40
	s_delay_alu instid0(VALU_DEP_2) | instskip(NEXT) | instid1(TRANS32_DEP_1)
	v_sub_f32_e32 v45, v45, v48
	v_ldexp_f32 v44, v44, v46
	v_cvt_i32_f32_e32 v46, v48
	s_delay_alu instid0(VALU_DEP_3)
	v_add_f32_e32 v45, v45, v47
	v_cmp_ngt_f32_e64 s0, 0xc2ce8ed0, v40
	s_wait_alu 0xfffd
	v_cndmask_b32_e32 v44, 0, v44, vcc_lo
	v_cmp_nlt_f32_e32 vcc_lo, 0x42b17218, v41
	v_exp_f32_e32 v45, v45
	s_wait_alu 0xfffd
	s_delay_alu instid0(VALU_DEP_2) | instskip(NEXT) | instid1(TRANS32_DEP_1)
	v_cndmask_b32_e32 v81, 0x7f800000, v44, vcc_lo
	v_ldexp_f32 v45, v45, v46
	s_wait_alu 0xf1ff
	s_delay_alu instid0(VALU_DEP_1) | instskip(SKIP_2) | instid1(VALU_DEP_1)
	v_cndmask_b32_e64 v41, 0, v45, s0
	v_cmp_nlt_f32_e64 s0, 0x42b17218, v40
	s_wait_alu 0xf1ff
	v_cndmask_b32_e64 v80, 0x7f800000, v41, s0
	v_cvt_f16_f32_e32 v41, v81
	v_cmp_ngt_f32_e64 s0, 0xc2ce8ed0, v38
	s_delay_alu instid0(VALU_DEP_3) | instskip(NEXT) | instid1(VALU_DEP_1)
	v_cvt_f16_f32_e32 v40, v80
	v_pack_b32_f16 v41, v40, v41
	v_mul_f32_e32 v40, 0x3fb8aa3b, v39
	s_delay_alu instid0(VALU_DEP_1) | instskip(SKIP_1) | instid1(VALU_DEP_2)
	v_fma_f32 v44, 0x3fb8aa3b, v39, -v40
	v_rndne_f32_e32 v45, v40
	v_fmac_f32_e32 v44, 0x32a5705f, v39
	s_delay_alu instid0(VALU_DEP_2) | instskip(SKIP_1) | instid1(VALU_DEP_2)
	v_sub_f32_e32 v40, v40, v45
	v_cvt_i32_f32_e32 v45, v45
	v_add_f32_e32 v40, v40, v44
	v_mul_f32_e32 v44, 0x3fb8aa3b, v38
	v_cmp_ngt_f32_e32 vcc_lo, 0xc2ce8ed0, v39
	s_delay_alu instid0(VALU_DEP_3) | instskip(NEXT) | instid1(VALU_DEP_2)
	v_exp_f32_e32 v40, v40
	v_fma_f32 v46, 0x3fb8aa3b, v38, -v44
	v_rndne_f32_e32 v47, v44
	s_delay_alu instid0(VALU_DEP_2) | instskip(NEXT) | instid1(VALU_DEP_2)
	v_fmac_f32_e32 v46, 0x32a5705f, v38
	v_sub_f32_e32 v44, v44, v47
	s_delay_alu instid0(TRANS32_DEP_1) | instskip(SKIP_1) | instid1(VALU_DEP_3)
	v_ldexp_f32 v40, v40, v45
	v_cvt_i32_f32_e32 v45, v47
	v_add_f32_e32 v44, v44, v46
	s_wait_alu 0xfffd
	s_delay_alu instid0(VALU_DEP_3) | instskip(SKIP_1) | instid1(VALU_DEP_3)
	v_cndmask_b32_e32 v40, 0, v40, vcc_lo
	v_cmp_nlt_f32_e32 vcc_lo, 0x42b17218, v39
	v_exp_f32_e32 v44, v44
	s_wait_alu 0xfffd
	s_delay_alu instid0(VALU_DEP_2) | instskip(NEXT) | instid1(TRANS32_DEP_1)
	v_cndmask_b32_e32 v84, 0x7f800000, v40, vcc_lo
	v_ldexp_f32 v44, v44, v45
	s_wait_alu 0xf1ff
	s_delay_alu instid0(VALU_DEP_1) | instskip(SKIP_2) | instid1(VALU_DEP_1)
	v_cndmask_b32_e64 v39, 0, v44, s0
	v_cmp_nlt_f32_e64 s0, 0x42b17218, v38
	s_wait_alu 0xf1ff
	v_cndmask_b32_e64 v83, 0x7f800000, v39, s0
	v_cvt_f16_f32_e32 v39, v84
	s_delay_alu instid0(VALU_DEP_2) | instskip(NEXT) | instid1(VALU_DEP_1)
	v_cvt_f16_f32_e32 v38, v83
	v_pack_b32_f16 v40, v38, v39
	ds_load_2addr_b32 v[38:39], v87 offset0:208 offset1:224
	ds_load_2addr_b32 v[51:52], v85 offset0:192 offset1:208
	;; [unrolled: 1-line block ×8, first 2 shown]
	s_wait_dscnt 0x5
	v_perm_b32 v47, v67, v51, 0x5040100
	s_wait_dscnt 0x4
	v_perm_b32 v46, v69, v38, 0x5040100
	;; [unrolled: 2-line block ×4, first 2 shown]
	v_perm_b32 v50, v70, v39, 0x5040100
	s_delay_alu instid0(VALU_DEP_2)
	v_wmma_f16_16x16x16_f16 v[28:31], v[44:47], v[40:43], v[28:31]
	v_perm_b32 v44, v75, v73, 0x7060302
	v_perm_b32 v45, v71, v48, 0x7060302
	;; [unrolled: 1-line block ×6, first 2 shown]
	v_add_nc_u32_e32 v38, 0x3600, v66
	s_delay_alu instid0(VALU_DEP_4)
	v_wmma_f16_16x16x16_f16 v[32:35], v[44:47], v[40:43], v[32:35]
	v_perm_b32 v45, v72, v49, 0x7060302
	v_perm_b32 v49, v72, v49, 0x5040100
	;; [unrolled: 1-line block ×5, first 2 shown]
	s_delay_alu instid0(VALU_DEP_4)
	v_wmma_f16_16x16x16_f16 v[20:23], v[48:51], v[40:43], v[20:23]
	ds_load_2addr_b32 v[38:39], v38 offset0:112 offset1:128
	ds_load_2addr_b32 v[51:52], v88 offset0:52 offset1:68
	;; [unrolled: 1-line block ×4, first 2 shown]
	v_wmma_f16_16x16x16_f16 v[16:19], v[44:47], v[40:43], v[16:19]
	s_wait_dscnt 0x2
	v_perm_b32 v50, v51, v38, 0x7060302
	v_perm_b32 v68, v51, v38, 0x5040100
	s_wait_dscnt 0x0
	v_perm_b32 v49, v72, v69, 0x7060302
	v_perm_b32 v67, v72, v69, 0x5040100
	;; [unrolled: 1-line block ×4, first 2 shown]
	ds_load_2addr_b32 v[38:39], v89 offset0:224 offset1:240
	ds_load_2addr_b32 v[51:52], v87 offset0:36 offset1:52
	v_perm_b32 v71, v73, v70, 0x7060302
	v_perm_b32 v75, v73, v70, 0x5040100
	s_wait_dscnt 0x0
	v_perm_b32 v48, v51, v38, 0x7060302
	v_perm_b32 v66, v51, v38, 0x5040100
	v_add_f32_e32 v38, v62, v63
	v_perm_b32 v70, v52, v39, 0x7060302
	v_perm_b32 v74, v52, v39, 0x5040100
	s_delay_alu instid0(VALU_DEP_3) | instskip(NEXT) | instid1(VALU_DEP_1)
	v_add_f32_e32 v38, v64, v38
	v_add_f32_e32 v38, v65, v38
	s_delay_alu instid0(VALU_DEP_1) | instskip(SKIP_2) | instid1(VALU_DEP_1)
	v_add_f32_e32 v26, v26, v38
	ds_load_2addr_b32 v[38:39], v86 offset0:224 offset1:240
	v_add_f32_e32 v26, v27, v26
	v_add_f32_e32 v24, v24, v26
	s_delay_alu instid0(VALU_DEP_1) | instskip(NEXT) | instid1(VALU_DEP_1)
	v_add_f32_e32 v24, v25, v24
	v_add_f32_e32 v24, v54, v24
	s_delay_alu instid0(VALU_DEP_1) | instskip(NEXT) | instid1(VALU_DEP_1)
	v_add_f32_e32 v24, v55, v24
	v_add_f32_e32 v24, v56, v24
	s_delay_alu instid0(VALU_DEP_1) | instskip(NEXT) | instid1(VALU_DEP_1)
	v_add_f32_e32 v24, v57, v24
	v_add_f32_e32 v24, v60, v24
	s_delay_alu instid0(VALU_DEP_1) | instskip(NEXT) | instid1(VALU_DEP_1)
	v_add_f32_e32 v24, v61, v24
	v_add_f32_e32 v24, v58, v24
	s_delay_alu instid0(VALU_DEP_1) | instskip(NEXT) | instid1(VALU_DEP_1)
	v_add_f32_e32 v24, v59, v24
	v_add_f32_e32 v24, v97, v24
	s_delay_alu instid0(VALU_DEP_1) | instskip(NEXT) | instid1(VALU_DEP_1)
	v_add_f32_e32 v24, v98, v24
	v_add_f32_e32 v24, v95, v24
	s_delay_alu instid0(VALU_DEP_1) | instskip(NEXT) | instid1(VALU_DEP_1)
	v_add_f32_e32 v24, v96, v24
	v_add_f32_e32 v24, v91, v24
	s_delay_alu instid0(VALU_DEP_1) | instskip(NEXT) | instid1(VALU_DEP_1)
	v_add_f32_e32 v24, v94, v24
	v_add_f32_e32 v24, v92, v24
	s_delay_alu instid0(VALU_DEP_1) | instskip(NEXT) | instid1(VALU_DEP_1)
	v_add_f32_e32 v24, v93, v24
	v_add_f32_e32 v24, v83, v24
	s_delay_alu instid0(VALU_DEP_1) | instskip(NEXT) | instid1(VALU_DEP_1)
	v_add_f32_e32 v24, v84, v24
	v_add_f32_e32 v24, v80, v24
	s_delay_alu instid0(VALU_DEP_1) | instskip(NEXT) | instid1(VALU_DEP_1)
	v_add_f32_e32 v24, v81, v24
	v_add_f32_e32 v24, v53, v24
	s_delay_alu instid0(VALU_DEP_1) | instskip(NEXT) | instid1(VALU_DEP_1)
	v_add_f32_e32 v24, v79, v24
	v_add_f32_e32 v26, v77, v24
	ds_load_2addr_b32 v[24:25], v85 offset0:224 offset1:240
	s_wait_loadcnt_dscnt 0x0
	s_barrier_signal -1
	s_barrier_wait -1
	global_inv scope:SCOPE_SE
	v_add_f32_e32 v26, v78, v26
	s_delay_alu instid0(VALU_DEP_1)
	v_fmac_f32_e32 v26, v171, v82
	ds_bpermute_b32 v27, v37, v26
	v_perm_b32 v51, v38, v24, 0x7060302
	v_perm_b32 v69, v38, v24, 0x5040100
	;; [unrolled: 1-line block ×4, first 2 shown]
	scratch_load_b64 v[38:39], off, off offset:272 ; 8-byte Folded Reload
	v_mov_b32_e32 v25, 0
	v_wmma_f16_16x16x16_f16 v[12:15], v[66:69], v[40:43], v[12:15]
	v_wmma_f16_16x16x16_f16 v[8:11], v[48:51], v[40:43], v[8:11]
	;; [unrolled: 1-line block ×4, first 2 shown]
	s_wait_loadcnt_dscnt 0x0
	s_barrier_signal -1
	s_barrier_wait -1
	global_inv scope:SCOPE_SE
	v_cmpx_gt_u32_e32 16, v38
	s_cbranch_execz .LBB24_435
; %bb.434:
	v_readlane_b32 s6, v255, 1
	v_or_b32_e32 v24, v152, v38
	v_readlane_b32 s7, v255, 2
	v_add_f32_e32 v37, v26, v27
	s_add_co_i32 s0, s6, ttmp9
	v_lshlrev_b64_e32 v[24:25], 3, v[24:25]
	s_wait_alu 0xfffe
	s_lshl_b32 s0, s0, 6
	s_wait_alu 0xfffe
	s_lshl_b64 s[6:7], s[0:1], 3
	s_wait_alu 0xfffe
	s_add_nc_u64 s[6:7], s[22:23], s[6:7]
	s_wait_alu 0xfffe
	v_add_co_u32 v24, vcc_lo, s6, v24
	s_wait_alu 0xfffd
	v_add_co_ci_u32_e64 v25, null, s7, v25, vcc_lo
	global_store_b64 v[24:25], v[36:37], off
.LBB24_435:
	s_wait_alu 0xfffe
	s_or_b32 exec_lo, exec_lo, s2
	v_or_b32_e32 v24, v152, v151
	v_lshlrev_b32_e32 v25, 2, v153
	v_perm_b32 v26, v32, v28, 0x5040100
	v_perm_b32 v27, v32, v28, 0x7060302
	;; [unrolled: 1-line block ×3, first 2 shown]
	v_mul_i32_i24_e32 v24, 0x110, v24
	v_perm_b32 v29, v33, v29, 0x7060302
	v_perm_b32 v32, v34, v30, 0x5040100
	;; [unrolled: 1-line block ×4, first 2 shown]
	v_add3_u32 v24, 0, v25, v24
	v_perm_b32 v25, v34, v30, 0x7060302
	v_perm_b32 v30, v35, v31, 0x5040100
	v_perm_b32 v31, v35, v31, 0x7060302
	s_clause 0x1
	s_load_b32 s0, s[4:5], 0x0
	s_load_u16 s2, s[4:5], 0x12
	v_perm_b32 v20, v17, v21, 0x5040100
	v_perm_b32 v17, v17, v21, 0x7060302
	;; [unrolled: 1-line block ×6, first 2 shown]
	ds_store_2addr_b32 v24, v26, v27 offset1:1
	ds_store_2addr_b32 v24, v28, v29 offset0:2 offset1:3
	ds_store_2addr_b32 v24, v32, v25 offset0:4 offset1:5
	;; [unrolled: 1-line block ×7, first 2 shown]
	v_perm_b32 v16, v8, v12, 0x5040100
	v_perm_b32 v8, v8, v12, 0x7060302
	;; [unrolled: 1-line block ×16, first 2 shown]
	ds_store_2addr_b32 v24, v16, v8 offset0:32 offset1:33
	ds_store_2addr_b32 v24, v12, v9 offset0:34 offset1:35
	ds_store_2addr_b32 v24, v13, v10 offset0:36 offset1:37
	ds_store_2addr_b32 v24, v14, v11 offset0:38 offset1:39
	ds_store_2addr_b32 v24, v15, v0 offset0:48 offset1:49
	ds_store_2addr_b32 v24, v4, v1 offset0:50 offset1:51
	ds_store_2addr_b32 v24, v5, v2 offset0:52 offset1:53
	ds_store_2addr_b32 v24, v6, v3 offset0:54 offset1:55
	scratch_load_b32 v0, off, off offset:296 th:TH_LOAD_LU ; 4-byte Folded Reload
	s_wait_storecnt 0x0
	s_wait_loadcnt_dscnt 0x0
	s_barrier_signal -1
	s_barrier_wait -1
	global_inv scope:SCOPE_SE
	s_wait_kmcnt 0x0
	s_cmp_lg_u32 s2, 0
	s_mov_b32 s3, s1
	s_cselect_b32 s2, -1, 0
	s_wait_alu 0xfffe
	s_cmp_lg_u32 s2, 0
	s_add_co_ci_u32 s0, s0, 0
	s_wait_alu 0xfffe
	s_lshl_b32 s2, ttmp9, 12
	s_lshl_b32 s0, s0, 7
	s_wait_alu 0xfffe
	s_lshl_b64 s[2:3], s[2:3], 3
	s_lshl_b64 s[4:5], s[0:1], 3
	s_wait_alu 0xfffe
	s_add_nc_u64 s[0:1], s[22:23], s[4:5]
	s_wait_alu 0xfffe
	s_add_nc_u64 s[0:1], s[0:1], s[2:3]
	v_add3_u32 v14, 0, v0, v150
	ds_load_2addr_b32 v[0:1], v14 offset1:32
	s_wait_dscnt 0x0
	v_lshrrev_b32_e32 v4, 16, v0
	v_lshrrev_b32_e32 v6, 16, v1
	v_cvt_f32_f16_e32 v7, v1
	v_lshlrev_b32_e32 v5, 6, v149
	v_cvt_f32_f16_e32 v0, v0
	v_cvt_f32_f16_e32 v4, v4
	v_add_nc_u32_e32 v2, 0x400, v14
	v_cvt_f32_f16_e32 v8, v6
	s_delay_alu instid0(VALU_DEP_4) | instskip(NEXT) | instid1(VALU_DEP_4)
	v_add_f32_e32 v0, 0, v0
	v_add_f32_e32 v1, 0, v4
	ds_load_2addr_b32 v[2:3], v2 offset0:16 offset1:48
	v_add_f32_e32 v4, 0, v7
	v_add_lshl_u32 v12, v38, v5, 3
	s_wait_dscnt 0x0
	v_cvt_f32_f16_e32 v9, v2
	v_add_nc_u32_e32 v5, 0x800, v14
	v_lshrrev_b32_e32 v2, 16, v2
	v_lshrrev_b32_e32 v10, 16, v3
	v_cvt_f32_f16_e32 v3, v3
	v_and_b32_e32 v15, 15, v149
	s_delay_alu instid0(VALU_DEP_4)
	v_cvt_f32_f16_e32 v13, v2
	v_add_f32_e32 v2, 0, v9
	ds_load_2addr_b32 v[6:7], v5 offset0:32 offset1:64
	v_add_f32_e32 v5, 0, v8
	scratch_load_b32 v8, off, off offset:280 th:TH_LOAD_LU ; 4-byte Folded Reload
	v_cvt_f32_f16_e32 v9, v10
	s_delay_alu instid0(VALU_DEP_1)
	v_dual_add_f32 v9, 0, v9 :: v_dual_add_nc_u32 v10, 0xc00, v14
	ds_load_2addr_b32 v[10:11], v10 offset0:48 offset1:80
	s_wait_dscnt 0x0
	v_cvt_f32_f16_e32 v19, v11
	s_wait_loadcnt 0x0
	v_lshlrev_b32_e32 v8, 6, v8
	s_delay_alu instid0(VALU_DEP_1)
	v_add_lshl_u32 v16, v38, v8, 3
	v_add_f32_e32 v8, 0, v3
	s_clause 0x2
	global_store_b64 v12, v[0:1], s[0:1]
	global_store_b64 v12, v[4:5], s[0:1] offset:256
	global_store_b64 v16, v[8:9], s[0:1] offset:256
	scratch_load_b32 v1, off, off offset:308 th:TH_LOAD_LU ; 4-byte Folded Reload
	v_and_or_b32 v17, 0x7f0, v250, v15
	v_lshrrev_b32_e32 v0, 16, v6
	v_cvt_f32_f16_e32 v5, v6
	s_delay_alu instid0(VALU_DEP_2)
	v_cvt_f32_f16_e32 v6, v0
	s_wait_loadcnt 0x0
	v_lshlrev_b32_e32 v8, 6, v1
	v_lshrrev_b32_e32 v1, 16, v7
	v_cvt_f32_f16_e32 v7, v7
	v_add_f32_e32 v3, 0, v13
	v_mul_u32_u24_e32 v13, 0x110, v17
	s_delay_alu instid0(VALU_DEP_4) | instskip(NEXT) | instid1(VALU_DEP_2)
	v_cvt_f32_f16_e32 v9, v1
	v_add3_u32 v4, 0, v13, v150
	v_add_nc_u32_e32 v13, 0x1400, v14
	ds_load_2addr_b32 v[0:1], v4 offset1:32
	v_dual_add_f32 v4, 0, v5 :: v_dual_add_f32 v5, 0, v6
	v_add_lshl_u32 v17, v38, v8, 3
	v_add_f32_e32 v6, 0, v7
	v_lshrrev_b32_e32 v8, 16, v10
	v_cvt_f32_f16_e32 v10, v10
	v_add_f32_e32 v7, 0, v9
	scratch_load_b32 v9, off, off offset:776 th:TH_LOAD_LU ; 4-byte Folded Reload
	v_cvt_f32_f16_e32 v18, v8
	v_add_f32_e32 v10, 0, v10
	s_wait_loadcnt 0x0
	v_lshlrev_b32_e32 v12, 6, v9
	v_lshrrev_b32_e32 v9, 16, v11
	v_add_f32_e32 v11, 0, v18
	s_delay_alu instid0(VALU_DEP_3) | instskip(NEXT) | instid1(VALU_DEP_3)
	v_add_lshl_u32 v18, v38, v12, 3
	v_cvt_f32_f16_e32 v20, v9
	ds_load_2addr_b32 v[8:9], v13 offset0:80 offset1:112
	v_add_f32_e32 v12, 0, v19
	s_wait_dscnt 0x1
	v_cvt_f32_f16_e32 v19, v0
	v_lshrrev_b32_e32 v0, 16, v0
	v_add_f32_e32 v13, 0, v20
	s_clause 0x3
	global_store_b64 v16, v[2:3], s[0:1]
	global_store_b64 v17, v[4:5], s[0:1]
	global_store_b64 v17, v[6:7], s[0:1] offset:256
	global_store_b64 v18, v[12:13], s[0:1] offset:256
	v_dual_add_f32 v2, 0, v19 :: v_dual_add_nc_u32 v5, 0x1800, v14
	v_cvt_f32_f16_e32 v0, v0
	v_lshlrev_b32_e32 v4, 6, v250
	v_lshrrev_b32_e32 v6, 16, v1
	v_cvt_f32_f16_e32 v7, v1
	v_and_or_b32 v20, 0x7f0, v147, v15
	v_add_f32_e32 v3, 0, v0
	ds_load_2addr_b32 v[0:1], v5 offset0:96 offset1:128
	v_cvt_f32_f16_e32 v6, v6
	v_add_lshl_u32 v16, v38, v4, 3
	v_add_f32_e32 v4, 0, v7
	v_mul_u32_u24_e32 v20, 0x110, v20
	s_wait_dscnt 0x1
	v_lshrrev_b32_e32 v5, 16, v8
	v_cvt_f32_f16_e32 v7, v8
	v_lshrrev_b32_e32 v13, 16, v9
	v_and_or_b32 v15, 0x7f0, v104, v15
	s_delay_alu instid0(VALU_DEP_4) | instskip(NEXT) | instid1(VALU_DEP_4)
	v_cvt_f32_f16_e32 v8, v5
	v_dual_add_f32 v5, 0, v6 :: v_dual_add_f32 v6, 0, v7
	s_delay_alu instid0(VALU_DEP_4) | instskip(SKIP_1) | instid1(VALU_DEP_4)
	v_cvt_f32_f16_e32 v17, v13
	v_lshlrev_b32_e32 v12, 6, v248
	v_add_f32_e32 v7, 0, v8
	v_cvt_f32_f16_e32 v8, v9
	v_add_nc_u32_e32 v9, 0x1c00, v14
	s_delay_alu instid0(VALU_DEP_4) | instskip(NEXT) | instid1(VALU_DEP_3)
	v_add_lshl_u32 v19, v38, v12, 3
	v_add_f32_e32 v8, 0, v8
	ds_load_2addr_b32 v[12:13], v9 offset0:112 offset1:144
	v_add_f32_e32 v9, 0, v17
	s_wait_dscnt 0x1
	v_lshrrev_b32_e32 v17, 16, v0
	s_clause 0x3
	global_store_b64 v18, v[10:11], s[0:1]
	global_store_b64 v16, v[2:3], s[0:1]
	global_store_b64 v16, v[4:5], s[0:1] offset:256
	global_store_b64 v19, v[8:9], s[0:1] offset:256
	v_add3_u32 v2, 0, v20, v150
	v_lshrrev_b32_e32 v8, 16, v1
	v_cvt_f32_f16_e32 v9, v1
	v_cvt_f32_f16_e32 v5, v17
	v_lshlrev_b32_e32 v4, 6, v246
	ds_load_2addr_b32 v[2:3], v2 offset1:32
	v_add_nc_u32_e32 v17, 0x2400, v14
	v_cvt_f32_f16_e32 v0, v0
	v_add_f32_e32 v1, 0, v5
	v_cvt_f32_f16_e32 v5, v8
	v_add_lshl_u32 v16, v38, v4, 3
	v_add_f32_e32 v4, 0, v9
	s_delay_alu instid0(VALU_DEP_3)
	v_dual_add_f32 v0, 0, v0 :: v_dual_add_f32 v5, 0, v5
	s_wait_dscnt 0x1
	v_lshrrev_b32_e32 v8, 16, v12
	v_lshrrev_b32_e32 v11, 16, v13
	v_cvt_f32_f16_e32 v9, v12
	v_cvt_f32_f16_e32 v13, v13
	s_delay_alu instid0(VALU_DEP_4) | instskip(NEXT) | instid1(VALU_DEP_4)
	v_cvt_f32_f16_e32 v12, v8
	v_cvt_f32_f16_e32 v18, v11
	v_lshlrev_b32_e32 v10, 6, v232
	s_delay_alu instid0(VALU_DEP_3) | instskip(NEXT) | instid1(VALU_DEP_3)
	v_dual_add_f32 v8, 0, v9 :: v_dual_add_f32 v9, 0, v12
	v_dual_add_f32 v12, 0, v13 :: v_dual_add_f32 v13, 0, v18
	s_delay_alu instid0(VALU_DEP_3)
	v_add_lshl_u32 v20, v38, v10, 3
	ds_load_2addr_b32 v[10:11], v17 offset0:144 offset1:176
	s_wait_dscnt 0x1
	v_lshrrev_b32_e32 v17, 16, v2
	s_clause 0x3
	global_store_b64 v19, v[6:7], s[0:1]
	global_store_b64 v16, v[0:1], s[0:1]
	global_store_b64 v16, v[4:5], s[0:1] offset:256
	global_store_b64 v20, v[12:13], s[0:1] offset:256
	v_add_nc_u32_e32 v1, 0x2800, v14
	v_lshrrev_b32_e32 v6, 16, v3
	v_cvt_f32_f16_e32 v0, v2
	v_cvt_f32_f16_e32 v5, v17
	v_lshlrev_b32_e32 v4, 6, v147
	v_cvt_f32_f16_e32 v7, v3
	ds_load_2addr_b32 v[2:3], v1 offset0:160 offset1:192
	v_dual_add_f32 v1, 0, v5 :: v_dual_add_nc_u32 v18, 0x2c00, v14
	v_cvt_f32_f16_e32 v5, v6
	v_add_lshl_u32 v16, v38, v4, 3
	s_delay_alu instid0(VALU_DEP_2) | instskip(SKIP_2) | instid1(VALU_DEP_1)
	v_dual_add_f32 v0, 0, v0 :: v_dual_add_f32 v5, 0, v5
	s_wait_dscnt 0x1
	v_lshrrev_b32_e32 v6, 16, v10
	v_cvt_f32_f16_e32 v13, v6
	v_add_f32_e32 v4, 0, v7
	v_cvt_f32_f16_e32 v7, v10
	v_lshrrev_b32_e32 v10, 16, v11
	v_cvt_f32_f16_e32 v11, v11
	s_delay_alu instid0(VALU_DEP_3) | instskip(NEXT) | instid1(VALU_DEP_3)
	v_add_f32_e32 v6, 0, v7
	v_cvt_f32_f16_e32 v17, v10
	v_dual_add_f32 v7, 0, v13 :: v_dual_lshlrev_b32 v12, 6, v146
	s_delay_alu instid0(VALU_DEP_2) | instskip(NEXT) | instid1(VALU_DEP_2)
	v_dual_add_f32 v10, 0, v11 :: v_dual_add_f32 v11, 0, v17
	v_add_lshl_u32 v19, v38, v12, 3
	ds_load_2addr_b32 v[12:13], v18 offset0:176 offset1:208
	s_wait_dscnt 0x1
	v_lshrrev_b32_e32 v17, 16, v2
	s_clause 0x3
	global_store_b64 v20, v[8:9], s[0:1]
	global_store_b64 v16, v[0:1], s[0:1]
	global_store_b64 v16, v[4:5], s[0:1] offset:256
	global_store_b64 v19, v[10:11], s[0:1] offset:256
	v_mul_u32_u24_e32 v1, 0x110, v15
	v_lshrrev_b32_e32 v5, 16, v3
	v_cvt_f32_f16_e32 v0, v2
	v_cvt_f32_f16_e32 v4, v17
	;; [unrolled: 1-line block ×3, first 2 shown]
	v_add3_u32 v8, 0, v1, v150
	v_cvt_f32_f16_e32 v9, v5
	v_lshlrev_b32_e32 v10, 6, v144
	v_add_f32_e32 v1, 0, v4
	ds_load_2addr_b32 v[4:5], v8 offset1:32
	v_add_lshl_u32 v17, v38, v10, 3
	s_wait_dscnt 0x1
	v_lshrrev_b32_e32 v8, 16, v12
	v_cvt_f32_f16_e32 v11, v12
	v_cvt_f32_f16_e32 v12, v13
	s_delay_alu instid0(VALU_DEP_3) | instskip(SKIP_1) | instid1(VALU_DEP_3)
	v_cvt_f32_f16_e32 v16, v8
	v_lshlrev_b32_e32 v2, 6, v145
	v_add_f32_e32 v10, 0, v12
	v_add_f32_e32 v8, 0, v11
	s_delay_alu instid0(VALU_DEP_3) | instskip(SKIP_3) | instid1(VALU_DEP_2)
	v_add_lshl_u32 v15, v38, v2, 3
	v_dual_add_f32 v2, 0, v3 :: v_dual_add_f32 v3, 0, v9
	v_lshrrev_b32_e32 v9, 16, v13
	v_add_nc_u32_e32 v13, 0x3400, v14
	v_cvt_f32_f16_e32 v9, v9
	ds_load_2addr_b32 v[12:13], v13 offset0:208 offset1:240
	v_dual_add_f32 v0, 0, v0 :: v_dual_add_f32 v11, 0, v9
	s_clause 0x3
	global_store_b64 v19, v[6:7], s[0:1]
	global_store_b64 v15, v[0:1], s[0:1]
	global_store_b64 v15, v[2:3], s[0:1] offset:256
	global_store_b64 v17, v[10:11], s[0:1] offset:256
	s_wait_dscnt 0x1
	v_lshrrev_b32_e32 v0, 16, v4
	v_lshrrev_b32_e32 v1, 16, v5
	v_lshlrev_b32_e32 v6, 6, v104
	v_add_nc_u32_e32 v2, 0x3a00, v14
	v_cvt_f32_f16_e32 v3, v4
	v_cvt_f32_f16_e32 v4, v0
	v_cvt_f32_f16_e32 v5, v5
	v_cvt_f32_f16_e32 v7, v1
	ds_load_2addr_b32 v[0:1], v2 offset0:96 offset1:128
	v_dual_add_f32 v2, 0, v3 :: v_dual_add_f32 v3, 0, v4
	v_add_lshl_u32 v15, v38, v6, 3
	v_dual_add_f32 v4, 0, v5 :: v_dual_add_f32 v5, 0, v7
	s_wait_dscnt 0x1
	v_lshrrev_b32_e32 v6, 16, v12
	v_lshrrev_b32_e32 v7, 16, v13
	v_add_nc_u32_e32 v10, 0x3e00, v14
	v_cvt_f32_f16_e32 v11, v12
	v_add_f32_e32 v9, 0, v16
	v_cvt_f32_f16_e32 v12, v6
	v_cvt_f32_f16_e32 v14, v7
	ds_load_2addr_b32 v[6:7], v10 offset0:112 offset1:144
	v_lshlrev_b32_e32 v16, 6, v103
	v_cvt_f32_f16_e32 v13, v13
	v_dual_add_f32 v10, 0, v11 :: v_dual_add_f32 v11, 0, v12
	s_delay_alu instid0(VALU_DEP_3) | instskip(NEXT) | instid1(VALU_DEP_3)
	v_add_lshl_u32 v16, v38, v16, 3
	v_dual_add_f32 v12, 0, v13 :: v_dual_add_f32 v13, 0, v14
	s_wait_dscnt 0x1
	v_cvt_f32_f16_e32 v14, v0
	v_lshrrev_b32_e32 v0, 16, v0
	s_clause 0x3
	global_store_b64 v17, v[8:9], s[0:1]
	global_store_b64 v15, v[2:3], s[0:1]
	global_store_b64 v15, v[4:5], s[0:1] offset:256
	global_store_b64 v16, v[12:13], s[0:1] offset:256
	v_lshrrev_b32_e32 v2, 16, v1
	v_lshlrev_b32_e32 v4, 6, v102
	v_cvt_f32_f16_e32 v5, v1
	v_cvt_f32_f16_e32 v3, v0
	v_lshlrev_b32_e32 v12, 6, v101
	v_cvt_f32_f16_e32 v8, v2
	v_add_lshl_u32 v9, v38, v4, 3
	v_add_f32_e32 v2, 0, v5
	s_wait_dscnt 0x0
	v_lshrrev_b32_e32 v4, 16, v6
	v_lshrrev_b32_e32 v5, 16, v7
	v_add_f32_e32 v1, 0, v3
	v_add_f32_e32 v3, 0, v8
	v_cvt_f32_f16_e32 v6, v6
	v_cvt_f32_f16_e32 v8, v4
	v_cvt_f32_f16_e32 v7, v7
	v_cvt_f32_f16_e32 v13, v5
	v_add_f32_e32 v0, 0, v14
	s_delay_alu instid0(VALU_DEP_4) | instskip(SKIP_1) | instid1(VALU_DEP_4)
	v_dual_add_f32 v4, 0, v6 :: v_dual_add_f32 v5, 0, v8
	v_add_lshl_u32 v8, v38, v12, 3
	v_dual_add_f32 v6, 0, v7 :: v_dual_add_f32 v7, 0, v13
	s_clause 0x4
	global_store_b64 v16, v[10:11], s[0:1]
	global_store_b64 v9, v[2:3], s[0:1] offset:256
	global_store_b64 v8, v[4:5], s[0:1]
	global_store_b64 v9, v[0:1], s[0:1]
	global_store_b64 v8, v[6:7], s[0:1] offset:256
.LBB24_436:
	s_nop 0
	s_sendmsg sendmsg(MSG_DEALLOC_VGPRS)
	s_endpgm
	.section	.rodata,"a",@progbits
	.p2align	6, 0x0
	.amdhsa_kernel _ZL18flash_attn_ext_f16ILi128ELi128ELi32ELi2ELb0ELb0EEvPKcS1_S1_S1_S1_PKiPfP15HIP_vector_typeIfLj2EEffffjfiS5_IjLj3EEiiiiiiiiiiiliiliiiiil
		.amdhsa_group_segment_fixed_size 0
		.amdhsa_private_segment_fixed_size 884
		.amdhsa_kernarg_size 464
		.amdhsa_user_sgpr_count 2
		.amdhsa_user_sgpr_dispatch_ptr 0
		.amdhsa_user_sgpr_queue_ptr 0
		.amdhsa_user_sgpr_kernarg_segment_ptr 1
		.amdhsa_user_sgpr_dispatch_id 0
		.amdhsa_user_sgpr_private_segment_size 0
		.amdhsa_wavefront_size32 1
		.amdhsa_uses_dynamic_stack 0
		.amdhsa_enable_private_segment 1
		.amdhsa_system_sgpr_workgroup_id_x 1
		.amdhsa_system_sgpr_workgroup_id_y 0
		.amdhsa_system_sgpr_workgroup_id_z 0
		.amdhsa_system_sgpr_workgroup_info 0
		.amdhsa_system_vgpr_workitem_id 1
		.amdhsa_next_free_vgpr 256
		.amdhsa_next_free_sgpr 105
		.amdhsa_reserve_vcc 1
		.amdhsa_float_round_mode_32 0
		.amdhsa_float_round_mode_16_64 0
		.amdhsa_float_denorm_mode_32 3
		.amdhsa_float_denorm_mode_16_64 3
		.amdhsa_fp16_overflow 0
		.amdhsa_workgroup_processor_mode 1
		.amdhsa_memory_ordered 1
		.amdhsa_forward_progress 1
		.amdhsa_inst_pref_size 255
		.amdhsa_round_robin_scheduling 0
		.amdhsa_exception_fp_ieee_invalid_op 0
		.amdhsa_exception_fp_denorm_src 0
		.amdhsa_exception_fp_ieee_div_zero 0
		.amdhsa_exception_fp_ieee_overflow 0
		.amdhsa_exception_fp_ieee_underflow 0
		.amdhsa_exception_fp_ieee_inexact 0
		.amdhsa_exception_int_div_zero 0
	.end_amdhsa_kernel
	.section	.text._ZL18flash_attn_ext_f16ILi128ELi128ELi32ELi2ELb0ELb0EEvPKcS1_S1_S1_S1_PKiPfP15HIP_vector_typeIfLj2EEffffjfiS5_IjLj3EEiiiiiiiiiiiliiliiiiil,"axG",@progbits,_ZL18flash_attn_ext_f16ILi128ELi128ELi32ELi2ELb0ELb0EEvPKcS1_S1_S1_S1_PKiPfP15HIP_vector_typeIfLj2EEffffjfiS5_IjLj3EEiiiiiiiiiiiliiliiiiil,comdat
.Lfunc_end24:
	.size	_ZL18flash_attn_ext_f16ILi128ELi128ELi32ELi2ELb0ELb0EEvPKcS1_S1_S1_S1_PKiPfP15HIP_vector_typeIfLj2EEffffjfiS5_IjLj3EEiiiiiiiiiiiliiliiiiil, .Lfunc_end24-_ZL18flash_attn_ext_f16ILi128ELi128ELi32ELi2ELb0ELb0EEvPKcS1_S1_S1_S1_PKiPfP15HIP_vector_typeIfLj2EEffffjfiS5_IjLj3EEiiiiiiiiiiiliiliiiiil
                                        ; -- End function
	.set _ZL18flash_attn_ext_f16ILi128ELi128ELi32ELi2ELb0ELb0EEvPKcS1_S1_S1_S1_PKiPfP15HIP_vector_typeIfLj2EEffffjfiS5_IjLj3EEiiiiiiiiiiiliiliiiiil.num_vgpr, 256
	.set _ZL18flash_attn_ext_f16ILi128ELi128ELi32ELi2ELb0ELb0EEvPKcS1_S1_S1_S1_PKiPfP15HIP_vector_typeIfLj2EEffffjfiS5_IjLj3EEiiiiiiiiiiiliiliiiiil.num_agpr, 0
	.set _ZL18flash_attn_ext_f16ILi128ELi128ELi32ELi2ELb0ELb0EEvPKcS1_S1_S1_S1_PKiPfP15HIP_vector_typeIfLj2EEffffjfiS5_IjLj3EEiiiiiiiiiiiliiliiiiil.numbered_sgpr, 105
	.set _ZL18flash_attn_ext_f16ILi128ELi128ELi32ELi2ELb0ELb0EEvPKcS1_S1_S1_S1_PKiPfP15HIP_vector_typeIfLj2EEffffjfiS5_IjLj3EEiiiiiiiiiiiliiliiiiil.num_named_barrier, 0
	.set _ZL18flash_attn_ext_f16ILi128ELi128ELi32ELi2ELb0ELb0EEvPKcS1_S1_S1_S1_PKiPfP15HIP_vector_typeIfLj2EEffffjfiS5_IjLj3EEiiiiiiiiiiiliiliiiiil.private_seg_size, 884
	.set _ZL18flash_attn_ext_f16ILi128ELi128ELi32ELi2ELb0ELb0EEvPKcS1_S1_S1_S1_PKiPfP15HIP_vector_typeIfLj2EEffffjfiS5_IjLj3EEiiiiiiiiiiiliiliiiiil.uses_vcc, 1
	.set _ZL18flash_attn_ext_f16ILi128ELi128ELi32ELi2ELb0ELb0EEvPKcS1_S1_S1_S1_PKiPfP15HIP_vector_typeIfLj2EEffffjfiS5_IjLj3EEiiiiiiiiiiiliiliiiiil.uses_flat_scratch, 1
	.set _ZL18flash_attn_ext_f16ILi128ELi128ELi32ELi2ELb0ELb0EEvPKcS1_S1_S1_S1_PKiPfP15HIP_vector_typeIfLj2EEffffjfiS5_IjLj3EEiiiiiiiiiiiliiliiiiil.has_dyn_sized_stack, 0
	.set _ZL18flash_attn_ext_f16ILi128ELi128ELi32ELi2ELb0ELb0EEvPKcS1_S1_S1_S1_PKiPfP15HIP_vector_typeIfLj2EEffffjfiS5_IjLj3EEiiiiiiiiiiiliiliiiiil.has_recursion, 0
	.set _ZL18flash_attn_ext_f16ILi128ELi128ELi32ELi2ELb0ELb0EEvPKcS1_S1_S1_S1_PKiPfP15HIP_vector_typeIfLj2EEffffjfiS5_IjLj3EEiiiiiiiiiiiliiliiiiil.has_indirect_call, 0
	.section	.AMDGPU.csdata,"",@progbits
; Kernel info:
; codeLenInByte = 113628
; TotalNumSgprs: 107
; NumVgprs: 256
; ScratchSize: 884
; MemoryBound: 0
; FloatMode: 240
; IeeeMode: 1
; LDSByteSize: 0 bytes/workgroup (compile time only)
; SGPRBlocks: 0
; VGPRBlocks: 31
; NumSGPRsForWavesPerEU: 107
; NumVGPRsForWavesPerEU: 256
; Occupancy: 5
; WaveLimiterHint : 1
; COMPUTE_PGM_RSRC2:SCRATCH_EN: 1
; COMPUTE_PGM_RSRC2:USER_SGPR: 2
; COMPUTE_PGM_RSRC2:TRAP_HANDLER: 0
; COMPUTE_PGM_RSRC2:TGID_X_EN: 1
; COMPUTE_PGM_RSRC2:TGID_Y_EN: 0
; COMPUTE_PGM_RSRC2:TGID_Z_EN: 0
; COMPUTE_PGM_RSRC2:TIDIG_COMP_CNT: 1
	.section	.text._ZL18flash_attn_ext_f16ILi128ELi128ELi32ELi2ELb1ELb0EEvPKcS1_S1_S1_S1_PKiPfP15HIP_vector_typeIfLj2EEffffjfiS5_IjLj3EEiiiiiiiiiiiliiliiiiil,"axG",@progbits,_ZL18flash_attn_ext_f16ILi128ELi128ELi32ELi2ELb1ELb0EEvPKcS1_S1_S1_S1_PKiPfP15HIP_vector_typeIfLj2EEffffjfiS5_IjLj3EEiiiiiiiiiiiliiliiiiil,comdat
	.globl	_ZL18flash_attn_ext_f16ILi128ELi128ELi32ELi2ELb1ELb0EEvPKcS1_S1_S1_S1_PKiPfP15HIP_vector_typeIfLj2EEffffjfiS5_IjLj3EEiiiiiiiiiiiliiliiiiil ; -- Begin function _ZL18flash_attn_ext_f16ILi128ELi128ELi32ELi2ELb1ELb0EEvPKcS1_S1_S1_S1_PKiPfP15HIP_vector_typeIfLj2EEffffjfiS5_IjLj3EEiiiiiiiiiiiliiliiiiil
	.p2align	8
	.type	_ZL18flash_attn_ext_f16ILi128ELi128ELi32ELi2ELb1ELb0EEvPKcS1_S1_S1_S1_PKiPfP15HIP_vector_typeIfLj2EEffffjfiS5_IjLj3EEiiiiiiiiiiiliiliiiiil,@function
_ZL18flash_attn_ext_f16ILi128ELi128ELi32ELi2ELb1ELb0EEvPKcS1_S1_S1_S1_PKiPfP15HIP_vector_typeIfLj2EEffffjfiS5_IjLj3EEiiiiiiiiiiiliiliiiiil: ; @_ZL18flash_attn_ext_f16ILi128ELi128ELi32ELi2ELb1ELb0EEvPKcS1_S1_S1_S1_PKiPfP15HIP_vector_typeIfLj2EEffffjfiS5_IjLj3EEiiiiiiiiiiiliiliiiiil
; %bb.0:
	s_mov_b64 s[10:11], s[0:1]
	s_clause 0x1
	s_load_b64 s[0:1], s[0:1], 0x80
	s_load_b128 s[24:27], s[10:11], 0x64
	s_mov_b32 s22, ttmp9
	s_mov_b32 s23, 0
                                        ; implicit-def: $vgpr255 : SGPR spill to VGPR lane
	s_mov_b64 s[60:61], s[10:11]
	s_wait_kmcnt 0x0
	s_abs_i32 s2, s1
	s_abs_i32 s5, s25
	s_cvt_f32_u32 s3, s2
	s_sub_co_i32 s4, 0, s2
	s_delay_alu instid0(SALU_CYCLE_2) | instskip(NEXT) | instid1(TRANS32_DEP_1)
	v_rcp_iflag_f32_e32 v1, s3
	v_readfirstlane_b32 s3, v1
	s_mul_f32 s3, s3, 0x4f7ffffe
	s_wait_alu 0xfffe
	s_delay_alu instid0(SALU_CYCLE_2) | instskip(SKIP_1) | instid1(SALU_CYCLE_2)
	s_cvt_u32_f32 s3, s3
	s_wait_alu 0xfffe
	s_mul_i32 s4, s4, s3
	s_delay_alu instid0(SALU_CYCLE_1) | instskip(NEXT) | instid1(SALU_CYCLE_1)
	s_mul_hi_u32 s4, s3, s4
	s_add_co_i32 s3, s3, s4
	s_xor_b32 s4, s25, s1
	s_wait_alu 0xfffe
	s_mul_hi_u32 s3, s5, s3
	s_ashr_i32 s4, s4, 31
	s_wait_alu 0xfffe
	s_mul_i32 s6, s3, s2
	s_delay_alu instid0(SALU_CYCLE_1)
	s_sub_co_i32 s5, s5, s6
	s_add_co_i32 s6, s3, 1
	s_sub_co_i32 s7, s5, s2
	s_cmp_ge_u32 s5, s2
	s_cselect_b32 s3, s6, s3
	s_cselect_b32 s5, s7, s5
	s_wait_alu 0xfffe
	s_add_co_i32 s6, s3, 1
	s_cmp_ge_u32 s5, s2
	s_cselect_b32 s2, s6, s3
	s_add_co_i32 s0, s0, 63
	s_wait_alu 0xfffe
	s_xor_b32 s2, s2, s4
	s_add_co_i32 s3, s24, 31
	s_ashr_i32 s5, s0, 31
	s_wait_alu 0xfffe
	s_sub_co_i32 s94, s2, s4
	s_lshr_b32 s6, s3, 5
	s_lshr_b32 s2, s5, 26
	s_add_co_i32 s3, s94, 1
	s_wait_alu 0xfffe
	s_add_co_i32 s0, s0, s2
	s_lshr_b32 s2, s3, 31
	s_ashr_i32 s99, s0, 6
	s_wait_alu 0xfffe
	s_add_co_i32 s3, s3, s2
	s_mul_i32 s96, s6, s99
	s_wait_alu 0xfffe
	s_ashr_i32 s0, s3, 1
	v_writelane_b32 v255, s6, 0
	s_mul_i32 s97, s96, s0
	s_mov_b32 s0, s23
	s_mul_i32 s98, s97, s1
	s_delay_alu instid0(SALU_CYCLE_1)
	s_mul_i32 s2, s98, s26
	s_wait_alu 0xfffe
	s_ashr_i32 s3, s2, 31
	s_wait_alu 0xfffe
	s_mul_u64 s[8:9], s[2:3], s[22:23]
	s_load_b32 s22, s[10:11], 0xd0
	s_mov_b32 s1, s9
	s_delay_alu instid0(SALU_CYCLE_1)
	s_cmp_lg_u64 s[0:1], 0
	s_wait_kmcnt 0x0
	s_add_nc_u64 s[4:5], s[22:23], 0
	s_cbranch_scc0 .LBB25_938
; %bb.1:
	s_xor_b64 s[10:11], s[4:5], 0
	s_mov_b32 s13, s23
	s_cvt_f32_u32 s0, s10
	s_cvt_f32_u32 s1, s11
	s_sub_nc_u64 s[6:7], 0, s[10:11]
	s_mov_b32 s17, s23
	s_delay_alu instid0(SALU_CYCLE_1) | instskip(NEXT) | instid1(SALU_CYCLE_3)
	s_fmamk_f32 s0, s1, 0x4f800000, s0
	v_s_rcp_f32 s0, s0
	s_delay_alu instid0(TRANS32_DEP_1) | instskip(SKIP_1) | instid1(SALU_CYCLE_2)
	s_mul_f32 s0, s0, 0x5f7ffffc
	s_wait_alu 0xfffe
	s_mul_f32 s1, s0, 0x2f800000
	s_wait_alu 0xfffe
	s_delay_alu instid0(SALU_CYCLE_2) | instskip(SKIP_1) | instid1(SALU_CYCLE_2)
	s_trunc_f32 s1, s1
	s_wait_alu 0xfffe
	s_fmamk_f32 s0, s1, 0xcf800000, s0
	s_cvt_u32_f32 s1, s1
	s_wait_alu 0xfffe
	s_delay_alu instid0(SALU_CYCLE_1) | instskip(SKIP_1) | instid1(SALU_CYCLE_2)
	s_cvt_u32_f32 s0, s0
	s_wait_alu 0xfffe
	s_mul_u64 s[14:15], s[6:7], s[0:1]
	s_delay_alu instid0(SALU_CYCLE_1)
	s_mul_hi_u32 s19, s0, s15
	s_mul_i32 s18, s0, s15
	s_mul_hi_u32 s12, s0, s14
	s_mul_i32 s20, s1, s14
	s_add_nc_u64 s[12:13], s[12:13], s[18:19]
	s_mul_hi_u32 s16, s1, s14
	s_mul_hi_u32 s21, s1, s15
	s_add_co_u32 s12, s12, s20
	s_add_co_ci_u32 s16, s13, s16
	s_mul_i32 s14, s1, s15
	s_add_co_ci_u32 s15, s21, 0
	s_delay_alu instid0(SALU_CYCLE_1) | instskip(SKIP_3) | instid1(SALU_CYCLE_1)
	s_add_nc_u64 s[12:13], s[16:17], s[14:15]
	s_mov_b32 s15, s23
	s_add_co_u32 s0, s0, s12
	s_cselect_b32 s12, -1, 0
	s_cmp_lg_u32 s12, 0
	s_add_co_ci_u32 s1, s1, s13
	s_mov_b32 s13, s23
	s_wait_alu 0xfffe
	s_mul_u64 s[6:7], s[6:7], s[0:1]
	s_wait_alu 0xfffe
	s_mul_hi_u32 s17, s0, s7
	s_mul_i32 s16, s0, s7
	s_mul_hi_u32 s12, s0, s6
	s_mul_i32 s18, s1, s6
	s_add_nc_u64 s[12:13], s[12:13], s[16:17]
	s_mul_hi_u32 s14, s1, s6
	s_mul_hi_u32 s19, s1, s7
	s_mul_i32 s6, s1, s7
	s_add_co_u32 s7, s12, s18
	s_add_co_ci_u32 s14, s13, s14
	s_add_co_ci_u32 s7, s19, 0
	s_mov_b32 s13, s23
	s_wait_alu 0xfffe
	s_add_nc_u64 s[6:7], s[14:15], s[6:7]
	s_wait_alu 0xfffe
	s_add_co_u32 s14, s0, s6
	s_cselect_b32 s0, -1, 0
	s_wait_alu 0xfffe
	s_cmp_lg_u32 s0, 0
	s_add_co_ci_u32 s18, s1, s7
	s_ashr_i32 s0, s9, 31
	s_wait_alu 0xfffe
	s_mov_b32 s1, s0
	s_wait_alu 0xfffe
	s_add_nc_u64 s[6:7], s[8:9], s[0:1]
	s_wait_alu 0xfffe
	s_xor_b64 s[6:7], s[6:7], s[0:1]
	s_wait_alu 0xfffe
	s_mul_hi_u32 s17, s6, s18
	s_mul_i32 s16, s6, s18
	s_mul_hi_u32 s12, s6, s14
	s_mul_hi_u32 s19, s7, s14
	s_mul_i32 s14, s7, s14
	s_add_nc_u64 s[12:13], s[12:13], s[16:17]
	s_mul_hi_u32 s9, s7, s18
	s_add_co_u32 s12, s12, s14
	s_add_co_ci_u32 s14, s13, s19
	s_mul_i32 s16, s7, s18
	s_add_co_ci_u32 s17, s9, 0
	s_delay_alu instid0(SALU_CYCLE_1) | instskip(NEXT) | instid1(SALU_CYCLE_1)
	s_add_nc_u64 s[12:13], s[14:15], s[16:17]
	s_mul_u64 s[14:15], s[10:11], s[12:13]
	s_delay_alu instid0(SALU_CYCLE_1)
	s_sub_co_u32 s6, s6, s14
	s_cselect_b32 s9, -1, 0
	s_sub_co_i32 s14, s7, s15
	s_cmp_lg_u32 s9, 0
	s_sub_co_ci_u32 s14, s14, s11
	s_wait_alu 0xfffe
	s_sub_co_u32 s16, s6, s10
	s_cselect_b32 s17, -1, 0
	s_delay_alu instid0(SALU_CYCLE_1) | instskip(SKIP_1) | instid1(SALU_CYCLE_1)
	s_cmp_lg_u32 s17, 0
	s_sub_co_ci_u32 s14, s14, 0
	s_cmp_ge_u32 s14, s11
	s_cselect_b32 s18, -1, 0
	s_cmp_ge_u32 s16, s10
	s_add_nc_u64 s[16:17], s[12:13], 1
	s_cselect_b32 s19, -1, 0
	s_cmp_eq_u32 s14, s11
	s_cselect_b32 s14, s19, s18
	s_add_nc_u64 s[18:19], s[12:13], 2
	s_cmp_lg_u32 s14, 0
	s_cselect_b32 s14, s18, s16
	s_cselect_b32 s16, s19, s17
	s_cmp_lg_u32 s9, 0
	s_sub_co_ci_u32 s7, s7, s15
	s_wait_alu 0xfffe
	s_cmp_ge_u32 s7, s11
	s_cselect_b32 s9, -1, 0
	s_cmp_ge_u32 s6, s10
	s_cselect_b32 s6, -1, 0
	s_cmp_eq_u32 s7, s11
	s_wait_alu 0xfffe
	s_cselect_b32 s6, s6, s9
	s_wait_alu 0xfffe
	s_cmp_lg_u32 s6, 0
	s_cselect_b32 s7, s16, s13
	s_cselect_b32 s6, s14, s12
	s_xor_b64 s[0:1], s[0:1], 0
	s_wait_alu 0xfffe
	s_xor_b64 s[6:7], s[6:7], s[0:1]
	s_wait_alu 0xfffe
	s_sub_nc_u64 s[48:49], s[6:7], s[0:1]
	s_load_b64 s[46:47], s[60:61], 0x74
	v_cvt_f32_u32_e32 v1, s22
	s_and_not1_b32 vcc_lo, exec_lo, s23
	s_cbranch_vccnz .LBB25_3
.LBB25_2:
	s_delay_alu instid0(VALU_DEP_1) | instskip(SKIP_1) | instid1(TRANS32_DEP_1)
	v_rcp_iflag_f32_e32 v2, v1
	s_sub_co_i32 s1, 0, s22
	v_mul_f32_e32 v2, 0x4f7ffffe, v2
	s_delay_alu instid0(VALU_DEP_1) | instskip(NEXT) | instid1(VALU_DEP_1)
	v_cvt_u32_f32_e32 v2, v2
	v_readfirstlane_b32 s0, v2
	s_wait_alu 0xfffe
	s_mul_i32 s1, s1, s0
	s_wait_alu 0xfffe
	s_mul_hi_u32 s1, s0, s1
	s_wait_alu 0xfffe
	s_add_co_i32 s0, s0, s1
	s_wait_alu 0xfffe
	s_mul_hi_u32 s0, s8, s0
	s_wait_alu 0xfffe
	s_mul_i32 s1, s0, s22
	s_add_co_i32 s6, s0, 1
	s_wait_alu 0xfffe
	s_sub_co_i32 s1, s8, s1
	s_wait_alu 0xfffe
	s_sub_co_i32 s7, s1, s22
	s_cmp_ge_u32 s1, s22
	s_cselect_b32 s0, s6, s0
	s_wait_alu 0xfffe
	s_cselect_b32 s1, s7, s1
	s_add_co_i32 s6, s0, 1
	s_wait_alu 0xfffe
	s_cmp_ge_u32 s1, s22
	s_cselect_b32 s48, s6, s0
.LBB25_3:
	s_add_co_i32 s8, ttmp9, 1
	s_mov_b32 s9, 0
	s_delay_alu instid0(SALU_CYCLE_1)
	s_mul_u64 s[2:3], s[2:3], s[8:9]
	s_mov_b32 s0, s9
	s_wait_alu 0xfffe
	s_mov_b32 s1, s3
	s_wait_alu 0xfffe
	s_cmp_lg_u64 s[0:1], 0
	s_cbranch_scc0 .LBB25_939
; %bb.4:
	s_xor_b64 s[4:5], s[4:5], 0
	s_delay_alu instid0(SALU_CYCLE_1) | instskip(SKIP_3) | instid1(SALU_CYCLE_1)
	s_cvt_f32_u32 s0, s4
	s_cvt_f32_u32 s1, s5
	s_sub_nc_u64 s[6:7], 0, s[4:5]
	s_wait_alu 0xfffe
	s_fmamk_f32 s0, s1, 0x4f800000, s0
	s_wait_alu 0xfffe
	s_delay_alu instid0(SALU_CYCLE_2) | instskip(NEXT) | instid1(TRANS32_DEP_1)
	v_s_rcp_f32 s0, s0
	s_mul_f32 s0, s0, 0x5f7ffffc
	s_wait_alu 0xfffe
	s_delay_alu instid0(SALU_CYCLE_2) | instskip(SKIP_1) | instid1(SALU_CYCLE_2)
	s_mul_f32 s1, s0, 0x2f800000
	s_wait_alu 0xfffe
	s_trunc_f32 s1, s1
	s_wait_alu 0xfffe
	s_delay_alu instid0(SALU_CYCLE_2) | instskip(SKIP_2) | instid1(SALU_CYCLE_1)
	s_fmamk_f32 s0, s1, 0xcf800000, s0
	s_cvt_u32_f32 s1, s1
	s_wait_alu 0xfffe
	s_cvt_u32_f32 s0, s0
	s_wait_alu 0xfffe
	s_delay_alu instid0(SALU_CYCLE_2) | instskip(NEXT) | instid1(SALU_CYCLE_1)
	s_mul_u64 s[10:11], s[6:7], s[0:1]
	s_mul_hi_u32 s13, s0, s11
	s_mul_i32 s12, s0, s11
	s_mul_hi_u32 s8, s0, s10
	s_mul_i32 s15, s1, s10
	s_add_nc_u64 s[12:13], s[8:9], s[12:13]
	s_mul_hi_u32 s14, s1, s10
	s_mul_hi_u32 s16, s1, s11
	s_add_co_u32 s8, s12, s15
	s_add_co_ci_u32 s8, s13, s14
	s_mul_i32 s10, s1, s11
	s_add_co_ci_u32 s11, s16, 0
	s_delay_alu instid0(SALU_CYCLE_1) | instskip(NEXT) | instid1(SALU_CYCLE_1)
	s_add_nc_u64 s[10:11], s[8:9], s[10:11]
	s_add_co_u32 s0, s0, s10
	s_cselect_b32 s8, -1, 0
	s_delay_alu instid0(SALU_CYCLE_1)
	s_cmp_lg_u32 s8, 0
	s_add_co_ci_u32 s1, s1, s11
	s_wait_alu 0xfffe
	s_mul_u64 s[6:7], s[6:7], s[0:1]
	s_wait_alu 0xfffe
	s_mul_hi_u32 s11, s0, s7
	s_mul_i32 s10, s0, s7
	s_mul_hi_u32 s8, s0, s6
	s_mul_i32 s13, s1, s6
	s_add_nc_u64 s[10:11], s[8:9], s[10:11]
	s_mul_hi_u32 s12, s1, s6
	s_mul_hi_u32 s14, s1, s7
	s_mul_i32 s6, s1, s7
	s_add_co_u32 s7, s10, s13
	s_add_co_ci_u32 s8, s11, s12
	s_add_co_ci_u32 s7, s14, 0
	s_wait_alu 0xfffe
	s_add_nc_u64 s[6:7], s[8:9], s[6:7]
	s_wait_alu 0xfffe
	s_add_co_u32 s12, s0, s6
	s_cselect_b32 s0, -1, 0
	s_wait_alu 0xfffe
	s_cmp_lg_u32 s0, 0
	s_add_co_ci_u32 s13, s1, s7
	s_ashr_i32 s0, s3, 31
	s_wait_alu 0xfffe
	s_mov_b32 s1, s0
	s_wait_alu 0xfffe
	s_add_nc_u64 s[6:7], s[2:3], s[0:1]
	s_wait_alu 0xfffe
	s_xor_b64 s[6:7], s[6:7], s[0:1]
	s_wait_alu 0xfffe
	s_mul_hi_u32 s11, s6, s13
	s_mul_i32 s10, s6, s13
	s_mul_hi_u32 s8, s6, s12
	s_mul_i32 s15, s7, s12
	s_add_nc_u64 s[10:11], s[8:9], s[10:11]
	s_mul_hi_u32 s14, s7, s12
	s_mul_hi_u32 s3, s7, s13
	s_add_co_u32 s8, s10, s15
	s_add_co_ci_u32 s8, s11, s14
	s_mul_i32 s12, s7, s13
	s_wait_alu 0xfffe
	s_add_co_ci_u32 s13, s3, 0
	s_delay_alu instid0(SALU_CYCLE_1) | instskip(NEXT) | instid1(SALU_CYCLE_1)
	s_add_nc_u64 s[10:11], s[8:9], s[12:13]
	s_mul_u64 s[12:13], s[4:5], s[10:11]
	s_delay_alu instid0(SALU_CYCLE_1)
	s_sub_co_u32 s3, s6, s12
	s_cselect_b32 s6, -1, 0
	s_sub_co_i32 s8, s7, s13
	s_wait_alu 0xfffe
	s_cmp_lg_u32 s6, 0
	s_sub_co_ci_u32 s8, s8, s5
	s_sub_co_u32 s12, s3, s4
	s_cselect_b32 s14, -1, 0
	s_delay_alu instid0(SALU_CYCLE_1) | instskip(SKIP_2) | instid1(SALU_CYCLE_1)
	s_cmp_lg_u32 s14, 0
	s_add_nc_u64 s[14:15], s[10:11], 1
	s_sub_co_ci_u32 s8, s8, 0
	s_cmp_ge_u32 s8, s5
	s_cselect_b32 s16, -1, 0
	s_cmp_ge_u32 s12, s4
	s_cselect_b32 s12, -1, 0
	s_cmp_eq_u32 s8, s5
	s_cselect_b32 s8, s12, s16
	s_add_nc_u64 s[16:17], s[10:11], 2
	s_cmp_lg_u32 s8, 0
	s_cselect_b32 s8, s16, s14
	s_cselect_b32 s12, s17, s15
	s_cmp_lg_u32 s6, 0
	s_sub_co_ci_u32 s6, s7, s13
	s_wait_alu 0xfffe
	s_cmp_ge_u32 s6, s5
	s_cselect_b32 s7, -1, 0
	s_cmp_ge_u32 s3, s4
	s_cselect_b32 s3, -1, 0
	s_cmp_eq_u32 s6, s5
	s_wait_alu 0xfffe
	s_cselect_b32 s3, s3, s7
	s_wait_alu 0xfffe
	s_cmp_lg_u32 s3, 0
	s_cselect_b32 s5, s12, s11
	s_cselect_b32 s4, s8, s10
	s_xor_b64 s[0:1], s[0:1], 0
	s_wait_alu 0xfffe
	s_xor_b64 s[4:5], s[4:5], s[0:1]
	s_delay_alu instid0(SALU_CYCLE_1)
	s_sub_nc_u64 s[54:55], s[4:5], s[0:1]
	s_load_b64 s[36:37], s[60:61], 0x5c
	s_and_not1_b32 vcc_lo, exec_lo, s9
	s_cbranch_vccnz .LBB25_6
.LBB25_5:
	v_rcp_iflag_f32_e32 v1, v1
	s_sub_co_i32 s1, 0, s22
	s_delay_alu instid0(TRANS32_DEP_1) | instskip(NEXT) | instid1(VALU_DEP_1)
	v_mul_f32_e32 v1, 0x4f7ffffe, v1
	v_cvt_u32_f32_e32 v1, v1
	s_delay_alu instid0(VALU_DEP_1)
	v_readfirstlane_b32 s0, v1
	s_wait_alu 0xfffe
	s_mul_i32 s1, s1, s0
	s_wait_alu 0xfffe
	s_mul_hi_u32 s1, s0, s1
	s_wait_alu 0xfffe
	s_add_co_i32 s0, s0, s1
	s_wait_alu 0xfffe
	s_mul_hi_u32 s0, s2, s0
	s_wait_alu 0xfffe
	s_mul_i32 s1, s0, s22
	s_wait_alu 0xfffe
	s_sub_co_i32 s1, s2, s1
	s_add_co_i32 s2, s0, 1
	s_wait_alu 0xfffe
	s_sub_co_i32 s3, s1, s22
	s_cmp_ge_u32 s1, s22
	s_cselect_b32 s0, s2, s0
	s_wait_alu 0xfffe
	s_cselect_b32 s1, s3, s1
	s_add_co_i32 s2, s0, 1
	s_wait_alu 0xfffe
	s_cmp_ge_u32 s1, s22
	s_cselect_b32 s54, s2, s0
.LBB25_6:
	s_clause 0x4
	s_load_b32 s1, s[60:61], 0x40
	s_load_b32 s7, s[60:61], 0x54
	s_load_b64 s[34:35], s[60:61], 0x8c
	s_load_b128 s[28:31], s[60:61], 0x98
	s_load_b64 s[2:3], s[60:61], 0xa8
	v_writelane_b32 v255, s22, 1
	s_abs_i32 s55, s99
	s_ashr_i32 s33, s27, 3
	s_cvt_f32_u32 s0, s55
	s_sub_co_i32 s4, 0, s55
	v_writelane_b32 v255, s23, 2
	s_wait_kmcnt 0x0
	s_ashr_i32 s58, s46, 3
	s_wait_alu 0xfffe
	v_rcp_iflag_f32_e32 v1, s0
	s_ashr_i32 s0, s48, 31
	s_load_b512 s[8:23], s[60:61], 0x0
	v_bfe_u32 v53, v0, 10, 10
	v_and_b32_e32 v40, 0x3ff, v0
	v_bfe_u32 v57, v0, 10, 1
	v_lshrrev_b32_e32 v58, 10, v0
	s_mov_b32 s57, 0
	v_add_nc_u32_e32 v55, 4, v53
	v_add_nc_u32_e32 v54, 8, v53
	s_mov_b32 s5, s35
	s_ashr_i32 s34, s34, 2
	v_writelane_b32 v255, s2, 3
	s_ashr_i32 s26, s30, 2
	v_add_nc_u32_e32 v52, 12, v53
	v_add_nc_u32_e32 v51, 16, v53
	v_add_nc_u32_e32 v50, 20, v53
	v_writelane_b32 v255, s3, 4
	s_clause 0x1
	s_load_b64 s[40:41], s[60:61], 0xb8
	s_load_b64 s[2:3], s[60:61], 0xc8
	v_add_nc_u32_e32 v49, 24, v53
	v_add_nc_u32_e32 v48, 28, v53
	v_lshlrev_b32_e32 v56, 4, v53
	v_add_nc_u32_e32 v47, 32, v53
	v_add_nc_u32_e32 v46, 36, v53
	;; [unrolled: 1-line block ×8, first 2 shown]
	s_mov_b32 s53, s57
	s_wait_kmcnt 0x0
	s_ashr_i32 s38, s41, 1
	v_writelane_b32 v255, s2, 5
	v_writelane_b32 v255, s3, 6
	v_readfirstlane_b32 s2, v1
	s_ashr_i32 s3, s99, 31
	v_mul_u32_u24_e32 v1, 0x110, v53
	s_wait_alu 0xfffe
	v_writelane_b32 v255, s3, 7
	s_mul_f32 s2, s2, 0x4f7ffffe
	s_abs_i32 s3, s48
	scratch_store_b32 off, v1, off offset:208 ; 4-byte Folded Spill
	v_mov_b32_e32 v1, v40
	s_wait_alu 0xfffe
	s_cvt_u32_f32 s2, s2
	s_clause 0xa
	scratch_store_b64 off, v[1:2], off offset:96
	scratch_store_b32 off, v53, off offset:80
	scratch_store_b32 off, v48, off offset:612
	;; [unrolled: 1-line block ×10, first 2 shown]
	s_wait_alu 0xfffe
	s_mul_i32 s4, s4, s2
	s_delay_alu instid0(SALU_CYCLE_1) | instskip(NEXT) | instid1(SALU_CYCLE_1)
	s_mul_hi_u32 s4, s2, s4
	s_add_co_i32 s52, s2, s4
	v_writelane_b32 v255, s4, 8
	s_mul_hi_u32 s2, s3, s52
	s_wait_alu 0xfffe
	s_mul_i32 s2, s2, s55
	s_wait_alu 0xfffe
	s_sub_co_i32 s2, s3, s2
	v_writelane_b32 v255, s5, 9
	s_wait_alu 0xfffe
	s_sub_co_i32 s3, s2, s55
	s_cmp_ge_u32 s2, s55
	s_cvt_f16_f32 s4, s1
	s_wait_alu 0xfffe
	s_cselect_b32 s2, s3, s2
	v_writelane_b32 v255, s58, 10
	s_wait_alu 0xfffe
	s_sub_co_i32 s3, s2, s55
	s_cmp_ge_u32 s2, s55
	s_wait_alu 0xfffe
	s_cselect_b32 s2, s3, s2
	s_sub_co_i32 s3, s54, s48
	s_wait_alu 0xfffe
	s_xor_b32 s2, s2, s0
	v_writelane_b32 v255, s40, 11
	s_wait_alu 0xfffe
	s_sub_co_i32 s51, s2, s0
	s_delay_alu instid0(SALU_CYCLE_1)
	s_add_co_i32 s3, s3, s51
	s_wait_alu 0xfffe
	s_min_i32 s44, s99, s3
	s_cmp_gt_i32 s54, s48
	v_writelane_b32 v255, s41, 12
	s_cselect_b32 s0, -1, 0
	s_cmp_le_i32 s54, s48
	s_cselect_b32 s2, -1, 0
	s_cmp_gt_i32 s99, s3
	v_writelane_b32 v255, s4, 13
	s_cselect_b32 s3, -1, 0
	s_wait_alu 0xfffe
	s_or_b32 s2, s3, s2
	s_wait_alu 0xfffe
	s_and_b32 vcc_lo, exec_lo, s2
	s_cbranch_vccnz .LBB25_868
; %bb.7:
	v_bfe_u32 v1, v0, 4, 6
	s_cmp_eq_u64 s[16:17], 0
	v_and_or_b32 v6, v0, 14, v56
	s_cselect_b32 s1, -1, 0
	s_cmp_lg_u64 s[18:19], 0
	v_lshl_add_u32 v4, v53, 1, v1
	s_cselect_b32 s2, -1, 0
	s_and_b32 s101, 0xffff, s4
	s_lshl_b32 s4, s26, 3
	v_and_b32_e32 v33, 15, v0
	v_mul_lo_u32 v9, s26, v4
	v_bfe_u32 v24, v0, 1, 9
	v_lshrrev_b32_e32 v16, 1, v6
	v_and_b32_e32 v2, 0x70, v0
	v_lshlrev_b32_e32 v1, 1, v40
	v_mul_u32_u24_e32 v8, 0x110, v33
	v_and_b32_e32 v35, 56, v24
	v_mad_u32_u24 v16, 0x90, v16, 0
	s_wait_alu 0xfffe
	v_add_nc_u32_e32 v15, s4, v9
	v_writelane_b32 v255, s1, 14
	v_and_b32_e32 v30, 0x1fe, v24
	v_mul_u32_u24_e32 v37, 0x110, v35
	v_lshl_add_u32 v202, v35, 1, v16
	v_add_nc_u32_e32 v21, s4, v15
	v_lshl_add_u32 v35, v35, 2, 0
	v_writelane_b32 v255, s2, 15
	s_lshl_b32 s2, s34, 3
	v_lshlrev_b32_e32 v200, 2, v40
	v_add_nc_u32_e32 v23, s4, v21
	v_or_b32_e32 v32, 6, v30
	v_or_b32_e32 v36, 7, v30
	v_mul_u32_u24_e32 v10, 0x110, v4
	v_lshlrev_b32_e32 v38, 2, v33
	v_add_nc_u32_e32 v25, s4, v23
	v_mul_u32_u24_e32 v39, 0x110, v32
	v_mul_u32_u24_e32 v36, 0x110, v36
	s_lshl_b32 s56, ttmp9, 6
	v_add3_u32 v238, 0, v37, v38
	v_add_nc_u32_e32 v27, s4, v25
	v_add3_u32 v239, 0, v39, v38
	v_add3_u32 v241, 0, v36, v38
	v_add_nc_u32_e32 v38, v56, v40
	v_or_b32_e32 v37, v56, v40
	v_ashrrev_i32_e32 v28, 31, v27
	v_add_nc_u32_e32 v29, s4, v27
	v_and_b32_e32 v36, 1, v0
	v_mul_u32_u24_e32 v38, 0x110, v38
	s_abs_i32 s104, s98
	v_lshlrev_b64_e32 v[235:236], 2, v[27:28]
	v_mov_b32_e32 v27, v57
	v_add3_u32 v253, 0, v8, v2
	v_mov_b32_e32 v28, v58
	s_clause 0x1
	scratch_store_b32 off, v1, off offset:84
	scratch_store_b32 off, v35, off offset:120
	v_mul_u32_u24_e32 v1, 0x90, v53
	v_mad_u32_u24 v2, 0x1100, v53, v253
	v_ashrrev_i32_e32 v30, 31, v29
	v_add_nc_u32_e32 v31, s4, v29
	s_lshl_b64 s[4:5], s[56:57], 3
	scratch_store_b32 off, v1, off          ; 4-byte Folded Spill
	v_mul_lo_u32 v1, s34, v4
	v_lshlrev_b64_e32 v[244:245], 2, v[29:30]
	v_dual_mov_b32 v29, 0 :: v_dual_and_b32 v34, 60, v200
	s_wait_alu 0xfffe
	s_add_nc_u64 s[4:5], s[22:23], s[4:5]
	s_abs_i32 vcc_hi, s97
	s_abs_i32 s30, s96
	s_abs_i32 s50, s40
	v_add_nc_u32_e32 v3, s2, v1
	v_lshlrev_b32_e32 v12, 2, v34
	s_movk_i32 s6, 0x440
	s_movk_i32 s3, 0x880
	v_bfe_u32 v0, v0, 10, 4
	v_add_nc_u32_e32 v5, s2, v3
	v_add3_u32 v201, 0, v10, v12
	v_or_b32_e32 v10, 12, v40
	s_movk_i32 s40, 0xcc0
	s_movk_i32 s0, 0x1100
	v_add_nc_u32_e32 v7, s2, v5
	s_movk_i32 s41, 0x1540
	v_and_b32_e32 v10, 0x7c, v10
	s_movk_i32 s1, 0x1980
	v_ashrrev_i32_e32 v22, 31, v21
	v_add_nc_u32_e32 v11, s2, v7
	v_ashrrev_i32_e32 v24, 31, v23
	v_add_nc_u32_e32 v194, v16, v10
	v_ashrrev_i32_e32 v10, 31, v9
	v_ashrrev_i32_e32 v16, 31, v15
	v_add_nc_u32_e32 v13, s2, v11
	v_ashrrev_i32_e32 v12, 31, v11
	v_lshlrev_b64_e32 v[229:230], 2, v[21:22]
	v_lshlrev_b64_e32 v[208:209], 2, v[9:10]
	;; [unrolled: 1-line block ×3, first 2 shown]
	v_add_nc_u32_e32 v17, s2, v13
	v_ashrrev_i32_e32 v14, 31, v13
	v_lshlrev_b64_e32 v[9:10], 2, v[11:12]
	v_lshlrev_b64_e32 v[231:232], 2, v[23:24]
	v_ashrrev_i32_e32 v26, 31, v25
	v_ashrrev_i32_e32 v18, 31, v17
	v_add_nc_u32_e32 v19, s2, v17
	v_lshlrev_b64_e32 v[11:12], 2, v[13:14]
	v_ashrrev_i32_e32 v32, 31, v31
	v_lshlrev_b64_e32 v[233:234], 2, v[25:26]
	v_lshlrev_b64_e32 v[13:14], 2, v[17:18]
	v_add_nc_u32_e32 v17, 0, v38
	scratch_store_b32 off, v36, off offset:200 ; 4-byte Folded Spill
	v_lshlrev_b32_e32 v36, 3, v37
	s_wait_alu 0xfffe
	v_mad_u32_u24 v18, 0x110, v53, s6
	v_ashrrev_i32_e32 v20, 31, v19
	scratch_store_b32 off, v17, off offset:464 ; 4-byte Folded Spill
	v_lshlrev_b64_e32 v[247:248], 2, v[31:32]
	v_add_co_u32 v36, s4, s4, v36
	s_wait_alu 0xf1ff
	v_add_co_ci_u32_e64 v37, null, s5, 0, s4
	s_cvt_f32_u32 s4, s104
	s_cvt_f32_u32 s5, vcc_hi
	v_lshlrev_b64_e32 v[15:16], 2, v[19:20]
	scratch_store_b64 off, v[36:37], off offset:384 ; 8-byte Folded Spill
	s_wait_alu 0xfffe
	v_rcp_iflag_f32_e32 v35, s4
	v_rcp_iflag_f32_e32 v37, s5
	v_or_b32_e32 v36, v56, v33
	s_cvt_f32_u32 s4, s30
	s_cvt_f32_u32 s5, s50
	v_ashrrev_i32_e32 v4, 31, v3
	v_ashrrev_i32_e32 v6, 31, v5
	v_mul_u32_u24_e32 v207, 0x110, v36
	s_wait_alu 0xfffe
	v_rcp_iflag_f32_e32 v36, s4
	v_ashrrev_i32_e32 v8, 31, v7
	v_readfirstlane_b32 s4, v35
	v_rcp_iflag_f32_e32 v35, s5
	v_readfirstlane_b32 s5, v37
	v_mad_u32_u24 v37, 0x110, v53, 0
	v_lshlrev_b64_e32 v[3:4], 2, v[3:4]
	v_lshlrev_b64_e32 v[5:6], 2, v[5:6]
	;; [unrolled: 1-line block ×3, first 2 shown]
	s_mul_f32 s4, s4, 0x4f7ffffe
	v_add_nc_u32_e32 v17, 0x440, v37
	v_add_nc_u32_e32 v19, 0xcc0, v37
	v_readfirstlane_b32 s42, v36
	v_and_or_b32 v36, 0xf0, v51, v0
	v_readfirstlane_b32 s43, v35
	scratch_store_b32 off, v17, off offset:608 ; 4-byte Folded Spill
	v_add_nc_u32_e32 v17, v17, v200
	v_and_or_b32 v35, 0xf0, v47, v0
	v_mad_u32_u24 v36, 0x110, v36, 0
	v_and_or_b32 v0, 0xf0, v43, v0
	v_add_nc_u32_e32 v20, 0x3fc0, v37
	scratch_store_b32 off, v17, off offset:192 ; 4-byte Folded Spill
	v_lshrrev_b32_e32 v17, 1, v54
	s_clause 0x1
	scratch_store_b32 off, v2, off offset:112
	scratch_store_b32 off, v18, off offset:256
	v_add_nc_u32_e32 v18, 0x880, v37
	v_mad_u32_u24 v35, 0x110, v35, 0
	scratch_store_b32 off, v17, off offset:124 ; 4-byte Folded Spill
	v_mad_u32_u24 v17, 0x110, v53, s3
	s_clause 0x1
	scratch_store_b32 off, v17, off offset:260
	scratch_store_b32 off, v18, off offset:640
	v_add_nc_u32_e32 v17, v18, v200
	v_lshrrev_b32_e32 v18, 1, v52
	s_clause 0x1
	scratch_store_b32 off, v17, off offset:204
	scratch_store_b32 off, v19, off offset:648
	v_add_nc_u32_e32 v17, v19, v200
	scratch_store_b32 off, v18, off offset:128 ; 4-byte Folded Spill
	v_mad_u32_u24 v18, 0x110, v53, s40
	v_add_nc_u32_e32 v19, v36, v200
	v_mad_u32_u24 v0, 0x110, v0, 0
	scratch_store_b32 off, v17, off offset:212 ; 4-byte Folded Spill
	v_ashrrev_i32_e32 v2, 31, v1
	scratch_store_b32 off, v18, off offset:264 ; 4-byte Folded Spill
	v_lshrrev_b32_e32 v18, 1, v51
	scratch_store_b32 off, v19, off offset:644 ; 4-byte Folded Spill
	v_add_nc_u32_e32 v19, 0x1dc0, v37
	v_lshlrev_b64_e32 v[1:2], 2, v[1:2]
	s_wait_alu 0xfffe
	s_cvt_u32_f32 s4, s4
	scratch_store_b32 off, v18, off offset:132 ; 4-byte Folded Spill
	v_mad_u32_u24 v18, 0x110, v53, s0
	s_sub_co_i32 s49, 0, s104
	s_ashr_i32 s56, s98, 31
	s_wait_alu 0xfffe
	s_mul_i32 s49, s49, s4
	v_writelane_b32 v255, s56, 16
	scratch_store_b32 off, v18, off offset:268 ; 4-byte Folded Spill
	v_add_nc_u32_e32 v18, 0x440, v17
	scratch_store_b32 off, v19, off offset:680 ; 4-byte Folded Spill
	v_add_nc_u32_e32 v19, v19, v200
	s_mul_hi_u32 s49, s4, s49
	s_mov_b32 s63, s57
	scratch_store_b32 off, v18, off offset:272 ; 4-byte Folded Spill
	v_lshrrev_b32_e32 v18, 1, v50
	s_add_co_i32 s62, s4, s49
	s_mul_f32 s5, s5, 0x4f7ffffe
	v_writelane_b32 v255, s62, 17
	s_sub_co_i32 s4, 0, vcc_hi
	scratch_store_b32 off, v18, off offset:136 ; 4-byte Folded Spill
	v_mad_u32_u24 v18, 0x110, v53, s41
	s_wait_alu 0xfffe
	s_cvt_u32_f32 s5, s5
	v_writelane_b32 v255, s63, 18
	s_ashr_i32 s49, s97, 31
	s_mul_f32 s42, s42, 0x4f7ffffe
	scratch_store_b32 off, v18, off offset:276 ; 4-byte Folded Spill
	v_add_nc_u32_e32 v18, 0x880, v17
	s_wait_alu 0xfffe
	s_mul_i32 s4, s4, s5
	v_writelane_b32 v255, s49, 19
	s_wait_alu 0xfffe
	s_mul_hi_u32 s4, s5, s4
	s_movk_i32 s45, 0x1dc0
	scratch_store_b32 off, v18, off offset:280 ; 4-byte Folded Spill
	v_lshrrev_b32_e32 v18, 1, v49
	s_wait_alu 0xfffe
	s_add_co_i32 s4, s5, s4
	s_mov_b32 s5, s57
	s_wait_alu 0xfffe
	v_writelane_b32 v255, s4, 20
	v_add_nc_u32_e32 v188, 0x880, v201
	scratch_store_b32 off, v18, off offset:140 ; 4-byte Folded Spill
	v_mad_u32_u24 v18, 0x110, v53, s1
	v_add_nc_u32_e32 v189, 0x1100, v201
	v_writelane_b32 v255, s5, 21
	s_mul_f32 s4, s43, 0x4f7ffffe
	s_cvt_u32_f32 s5, s42
	scratch_store_b32 off, v18, off offset:284 ; 4-byte Folded Spill
	v_add_nc_u32_e32 v18, 0xcc0, v17
	s_ashr_i32 s42, s96, 31
	s_wait_alu 0xfffe
	s_cvt_u32_f32 s4, s4
	v_writelane_b32 v255, s42, 22
	s_sub_co_i32 s42, 0, s30
	scratch_store_b32 off, v18, off offset:288 ; 4-byte Folded Spill
	v_lshrrev_b32_e32 v18, 1, v48
	s_wait_alu 0xfffe
	s_mul_i32 s42, s42, s5
	s_sub_co_i32 s43, 0, s50
	s_wait_alu 0xfffe
	s_mul_hi_u32 s42, s5, s42
	s_mul_i32 s43, s43, s4
	scratch_store_b32 off, v18, off offset:144 ; 4-byte Folded Spill
	v_add_nc_u32_e32 v18, 0x1100, v17
	v_add_nc_u32_e32 v191, 0x1980, v201
	;; [unrolled: 1-line block ×5, first 2 shown]
	scratch_store_b32 off, v18, off offset:292 ; 4-byte Folded Spill
	v_lshrrev_b32_e32 v18, 1, v47
	v_add_nc_u32_e32 v195, 0x3b80, v201
	v_add_nc_u32_e32 v197, 32, v202
	;; [unrolled: 1-line block ×4, first 2 shown]
	scratch_store_b32 off, v18, off offset:152 ; 4-byte Folded Spill
	v_add_nc_u32_e32 v18, 0x1540, v17
	v_add_nc_u32_e32 v198, 0x48, v202
	;; [unrolled: 1-line block ×4, first 2 shown]
	v_cmp_gt_u32_e64 s2, 16, v40
	scratch_store_b32 off, v18, off offset:296 ; 4-byte Folded Spill
	v_lshrrev_b32_e32 v18, 1, v46
	v_lshlrev_b32_e32 v240, 2, v34
	v_bfe_u32 v237, v58, 1, 9
	v_add_nc_u32_e32 v249, v37, v200
	v_lshrrev_b32_e32 v251, 1, v55
	scratch_store_b32 off, v18, off offset:156 ; 4-byte Folded Spill
	v_add_nc_u32_e32 v18, 0x1980, v17
	v_mad_u32_u24 v30, 0x110, v53, s45
	v_mbcnt_lo_u32_b32 v31, -1, 0
	s_ashr_i32 s39, s38, 31
	s_ashr_i32 s35, s34, 31
	scratch_store_b32 off, v18, off offset:300 ; 4-byte Folded Spill
	v_lshrrev_b32_e32 v18, 1, v45
	s_ashr_i32 s27, s26, 31
	s_wait_alu 0xfffe
	s_add_co_i32 s62, s5, s42
	s_mul_hi_u32 s5, s4, s43
	s_mul_i32 s101, s101, 0x10001
	scratch_store_b32 off, v18, off offset:160 ; 4-byte Folded Spill
	v_add_nc_u32_e32 v18, 0x1dc0, v17
	s_mov_b32 s63, s57
	s_wait_alu 0xfffe
	s_add_co_i32 s64, s4, s5
	s_mov_b32 s65, s57
	s_lshl_b64 s[66:67], s[38:39], 1
	scratch_store_b32 off, v18, off offset:304 ; 4-byte Folded Spill
	v_lshrrev_b32_e32 v18, 1, v44
	s_lshl_b64 s[68:69], s[26:27], 8
	s_lshl_b64 s[70:71], s[34:35], 8
	s_mov_b32 s39, 0xbbbac73d
	scratch_store_b32 off, v18, off offset:164 ; 4-byte Folded Spill
	v_add_nc_u32_e32 v18, 0x2200, v17
	scratch_store_b32 off, v18, off offset:308 ; 4-byte Folded Spill
	v_lshrrev_b32_e32 v18, 1, v43
	scratch_store_b32 off, v18, off offset:168 ; 4-byte Folded Spill
	v_add_nc_u32_e32 v18, 0x2640, v17
	scratch_store_b32 off, v18, off offset:312 ; 4-byte Folded Spill
	v_lshrrev_b32_e32 v18, 1, v42
	;; [unrolled: 4-line block ×3, first 2 shown]
	scratch_store_b32 off, v18, off offset:176 ; 4-byte Folded Spill
	v_add_nc_u32_e32 v18, 0x2ec0, v17
	v_add_nc_u32_e32 v17, 0x3300, v17
	scratch_store_b32 off, v18, off offset:320 ; 4-byte Folded Spill
	v_lshrrev_b32_e32 v18, 1, v59
	scratch_store_b32 off, v18, off offset:180 ; 4-byte Folded Spill
	v_add_nc_u32_e32 v18, 0x1540, v37
	s_clause 0x1
	scratch_store_b32 off, v36, off offset:656
	scratch_store_b32 off, v18, off offset:664
	v_add_nc_u32_e32 v18, v18, v200
	scratch_store_b32 off, v17, off offset:324 ; 4-byte Folded Spill
	v_add_nc_u32_e32 v17, 0x1980, v37
	scratch_store_b32 off, v17, off offset:672 ; 4-byte Folded Spill
	;; [unrolled: 2-line block ×3, first 2 shown]
	v_add_nc_u32_e32 v18, 0x2640, v37
	s_clause 0x2
	scratch_store_b32 off, v17, off offset:660
	scratch_store_b32 off, v19, off offset:668
	;; [unrolled: 1-line block ×3, first 2 shown]
	v_add_nc_u32_e32 v19, v35, v200
	v_add_nc_u32_e32 v17, 0x2a80, v37
	s_clause 0x1
	scratch_store_b32 off, v19, off offset:676
	scratch_store_b32 off, v18, off offset:696
	v_add_nc_u32_e32 v18, v18, v200
	scratch_store_b32 off, v17, off offset:704 ; 4-byte Folded Spill
	v_add_nc_u32_e32 v17, v17, v200
	scratch_store_b32 off, v37, off offset:396 ; 4-byte Folded Spill
	;; [unrolled: 2-line block ×5, first 2 shown]
	v_add_nc_u32_e32 v18, v18, v200
	s_clause 0x1
	scratch_store_b32 off, v18, off offset:700
	scratch_store_b32 off, v0, off offset:720
	v_add_nc_u32_e32 v0, v0, v200
	s_clause 0x1
	scratch_store_b32 off, v0, off offset:708
	scratch_store_b32 off, v17, off offset:728
	;; [unrolled: 4-line block ×4, first 2 shown]
	v_add_nc_u32_e32 v0, v20, v200
	scratch_store_b32 off, v0, off offset:732 ; 4-byte Folded Spill
	v_add_nc_u32_e32 v0, 32, v40
	scratch_store_b32 off, v0, off offset:736 ; 4-byte Folded Spill
	v_add_co_u32 v0, vcc_lo, s12, v208
	scratch_store_b32 off, v0, off offset:480 ; 4-byte Folded Spill
	v_add_co_ci_u32_e64 v0, null, s13, v209, vcc_lo
	scratch_store_b32 off, v0, off offset:484 ; 4-byte Folded Spill
	v_add_co_u32 v0, vcc_lo, s12, v210
	scratch_store_b32 off, v0, off offset:488 ; 4-byte Folded Spill
	s_wait_alu 0xfffd
	v_add_co_ci_u32_e64 v0, null, s13, v211, vcc_lo
	scratch_store_b32 off, v0, off offset:492 ; 4-byte Folded Spill
	v_add_co_u32 v0, vcc_lo, s12, v229
	scratch_store_b32 off, v0, off offset:496 ; 4-byte Folded Spill
	s_wait_alu 0xfffd
	;; [unrolled: 5-line block ×7, first 2 shown]
	v_add_co_ci_u32_e64 v0, null, s13, v248, vcc_lo
	scratch_store_b32 off, v0, off offset:540 ; 4-byte Folded Spill
	v_add_co_u32 v0, vcc_lo, s10, v1
	s_clause 0x1
	scratch_store_b32 off, v0, off offset:544
	scratch_store_b64 off, v[1:2], off offset:4
	s_wait_alu 0xfffd
	v_add_co_ci_u32_e64 v0, null, s11, v2, vcc_lo
	scratch_store_b32 off, v0, off offset:548 ; 4-byte Folded Spill
	v_add_co_u32 v0, vcc_lo, s10, v3
	s_clause 0x1
	scratch_store_b32 off, v0, off offset:552
	scratch_store_b64 off, v[3:4], off offset:12
	s_wait_alu 0xfffd
	;; [unrolled: 7-line block ×8, first 2 shown]
	v_add_co_ci_u32_e64 v0, null, s11, v16, vcc_lo
	scratch_store_b32 off, v0, off offset:604 ; 4-byte Folded Spill
	v_dual_mov_b32 v0, v57 :: v_dual_lshlrev_b32 v243, 4, v33
	v_mad_co_u64_u32 v[32:33], null, v57, s58, v[40:41]
	s_clause 0x2
	scratch_store_b64 off, v[0:1], off offset:104
	scratch_store_b32 off, v28, off offset:116
	scratch_store_b32 off, v30, off offset:148
	v_mov_b32_e32 v0, v32
	s_clause 0xf
	scratch_store_b64 off, v[0:1], off offset:184
	scratch_store_b32 off, v202, off offset:68
	scratch_store_b32 off, v203, off offset:72
	scratch_store_b32 off, v204, off offset:76
	scratch_store_b32 off, v207, off offset:392
	scratch_store_b64 off, v[208:209], off offset:400
	scratch_store_b64 off, v[210:211], off offset:408
	;; [unrolled: 1-line block ×8, first 2 shown]
	scratch_store_b32 off, v237, off offset:468
	scratch_store_b32 off, v249, off offset:472
	;; [unrolled: 1-line block ×3, first 2 shown]
	s_branch .LBB25_9
.LBB25_8:                               ;   in Loop: Header=BB25_9 Depth=1
	s_wait_alu 0xfffe
	s_or_b32 exec_lo, exec_lo, s0
	s_add_co_i32 s3, s48, s99
	s_mov_b32 s51, 0
	s_wait_alu 0xfffe
	s_abs_i32 s56, s3
	s_wait_alu 0xfffe
	s_mul_u64 s[0:1], s[56:57], s[52:53]
	s_wait_alu 0xfffe
	s_mul_i32 s0, s1, s55
	s_ashr_i32 s1, s3, 31
	s_wait_alu 0xfffe
	s_sub_co_i32 s0, s56, s0
	s_wait_alu 0xfffe
	s_sub_co_i32 s4, s0, s55
	s_cmp_ge_u32 s0, s55
	s_wait_alu 0xfffe
	s_cselect_b32 s0, s4, s0
	s_wait_alu 0xfffe
	s_sub_co_i32 s4, s0, s55
	s_cmp_ge_u32 s0, s55
	s_wait_alu 0xfffe
	s_cselect_b32 s0, s4, s0
	s_wait_alu 0xfffe
	s_xor_b32 s0, s0, s1
	s_wait_alu 0xfffe
	s_sub_co_i32 s0, s1, s0
	s_wait_alu 0xfffe
	s_add_co_i32 s48, s3, s0
	s_wait_alu 0xfffe
	s_sub_co_i32 s1, s54, s48
	s_wait_alu 0xfffe
	s_min_i32 s44, s99, s1
	s_cmp_gt_i32 s54, s48
	s_cselect_b32 s0, -1, 0
	s_cmp_le_i32 s99, s1
	s_cselect_b32 s1, -1, 0
	s_wait_alu 0xfffe
	s_and_b32 s1, s1, s0
	s_wait_alu 0xfffe
	s_and_b32 vcc_lo, exec_lo, s1
	s_wait_alu 0xfffe
	s_cbranch_vccz .LBB25_869
.LBB25_9:                               ; =>This Loop Header: Depth=1
                                        ;     Child Loop BB25_80 Depth 2
                                        ;     Child Loop BB25_506 Depth 2
	v_readlane_b32 s0, v255, 17
	v_readlane_b32 s1, v255, 18
	s_abs_i32 s56, s48
	v_readlane_b32 s4, v255, 16
	v_readlane_b32 s6, v255, 19
	s_wait_alu 0xfffe
	s_mul_u64 s[0:1], s[56:57], s[0:1]
	s_ashr_i32 s0, s48, 31
	s_wait_alu 0xfffe
	s_mul_i32 s3, s1, s104
	s_xor_b32 s0, s0, s4
	s_wait_alu 0xfffe
	s_sub_co_i32 s3, s56, s3
	s_add_co_i32 s4, s1, 1
	s_wait_alu 0xfffe
	s_sub_co_i32 s5, s3, s104
	s_cmp_ge_u32 s3, s104
	s_cselect_b32 s1, s4, s1
	s_wait_alu 0xfffe
	s_cselect_b32 s3, s5, s3
	s_add_co_i32 s4, s1, 1
	s_wait_alu 0xfffe
	s_cmp_ge_u32 s3, s104
	s_cselect_b32 s1, s4, s1
	s_wait_alu 0xfffe
	s_xor_b32 s1, s1, s0
	s_wait_alu 0xfffe
	s_sub_co_i32 s4, s1, s0
	s_wait_alu 0xfffe
	s_mul_i32 s0, s4, s98
	s_wait_alu 0xfffe
	s_sub_co_i32 s3, s48, s0
	v_readlane_b32 s0, v255, 20
	v_readlane_b32 s1, v255, 21
	s_wait_alu 0xfffe
	s_abs_i32 s56, s3
	s_wait_alu 0xfffe
	s_mul_u64 s[0:1], s[56:57], s[0:1]
	s_ashr_i32 s0, s3, 31
	s_wait_alu 0xfffe
	s_mul_i32 s5, s1, vcc_hi
	s_xor_b32 s0, s0, s6
	s_wait_alu 0xfffe
	s_sub_co_i32 s5, s56, s5
	s_add_co_i32 s6, s1, 1
	s_wait_alu 0xfffe
	s_sub_co_i32 s40, s5, vcc_hi
	s_cmp_ge_u32 s5, vcc_hi
	s_cselect_b32 s1, s6, s1
	s_wait_alu 0xfffe
	s_cselect_b32 s5, s40, s5
	s_add_co_i32 s6, s1, 1
	s_wait_alu 0xfffe
	s_cmp_ge_u32 s5, vcc_hi
	s_cselect_b32 s1, s6, s1
	v_readlane_b32 s6, v255, 22
	s_wait_alu 0xfffe
	s_xor_b32 s1, s1, s0
	s_wait_alu 0xfffe
	s_sub_co_i32 s0, s1, s0
	s_wait_alu 0xfffe
	s_mul_i32 s1, s0, s97
	s_wait_alu 0xfffe
	s_sub_co_i32 s3, s3, s1
	s_wait_alu 0xfffe
	s_abs_i32 s56, s3
	s_ashr_i32 s1, s3, 31
	s_wait_alu 0xfffe
	s_mul_u64 s[40:41], s[56:57], s[62:63]
	s_xor_b32 s1, s1, s6
	s_wait_alu 0xfffe
	s_mul_i32 s5, s41, s30
	s_add_co_i32 s6, s41, 1
	s_wait_alu 0xfffe
	s_sub_co_i32 s5, s56, s5
	s_wait_alu 0xfffe
	s_sub_co_i32 s40, s5, s30
	s_cmp_ge_u32 s5, s30
	s_cselect_b32 s6, s6, s41
	s_wait_alu 0xfffe
	s_cselect_b32 s5, s40, s5
	s_add_co_i32 s40, s6, 1
	s_wait_alu 0xfffe
	s_cmp_ge_u32 s5, s30
	s_cselect_b32 s5, s40, s6
	v_readlane_b32 s6, v255, 7
	s_wait_alu 0xfffe
	s_xor_b32 s5, s5, s1
	s_wait_alu 0xfffe
	s_sub_co_i32 s1, s5, s1
	s_wait_alu 0xfffe
	s_mul_i32 s5, s1, s96
	s_wait_alu 0xfffe
	s_sub_co_i32 s3, s3, s5
	s_wait_alu 0xfffe
	s_abs_i32 s56, s3
	s_ashr_i32 s3, s3, 31
	s_wait_alu 0xfffe
	s_mul_u64 s[40:41], s[56:57], s[52:53]
	s_xor_b32 s3, s3, s6
	s_wait_alu 0xfffe
	s_mul_i32 s5, s41, s55
	s_add_co_i32 s6, s41, 1
	s_wait_alu 0xfffe
	s_sub_co_i32 s5, s56, s5
	s_wait_alu 0xfffe
	s_sub_co_i32 s40, s5, s55
	s_cmp_ge_u32 s5, s55
	s_cselect_b32 s6, s6, s41
	s_wait_alu 0xfffe
	s_cselect_b32 s5, s40, s5
	s_add_co_i32 s40, s6, 1
	s_wait_alu 0xfffe
	s_cmp_ge_u32 s5, s55
	s_cselect_b32 s5, s40, s6
	v_readlane_b32 s6, v255, 15
	s_wait_alu 0xfffe
	s_xor_b32 s5, s5, s3
	s_wait_alu 0xfffe
	s_sub_co_i32 s67, s5, s3
	s_and_not1_b32 vcc_lo, exec_lo, s6
	s_wait_alu 0xfffe
	s_cbranch_vccnz .LBB25_11
; %bb.10:                               ;   in Loop: Header=BB25_9 Depth=1
	v_readlane_b32 s3, v255, 0
	s_mul_i32 s3, s4, s3
	s_wait_alu 0xfffe
	s_add_co_i32 s40, s67, s3
	s_wait_alu 0xfffe
	s_ashr_i32 s41, s40, 31
	s_wait_alu 0xfffe
	s_lshl_b64 s[40:41], s[40:41], 2
	s_wait_alu 0xfffe
	s_add_nc_u64 s[40:41], s[18:19], s[40:41]
	global_load_b32 v0, v29, s[40:41]
	s_wait_loadcnt 0x0
	v_readfirstlane_b32 s3, v0
	s_ashr_i32 s5, s3, 31
	s_wait_alu 0xfffe
	s_lshr_b32 s5, s5, 26
	s_wait_alu 0xfffe
	s_add_co_i32 s3, s3, s5
	s_wait_alu 0xfffe
	s_ashr_i32 s3, s3, 6
	s_wait_alu 0xfffe
	s_min_i32 s44, s44, s3
.LBB25_11:                              ;   in Loop: Header=BB25_9 Depth=1
	s_abs_i32 s56, s4
	s_lshl_b32 s6, s1, 1
	s_wait_alu 0xfffe
	s_mul_u64 s[58:59], s[56:57], s[64:65]
	s_mul_i32 s3, s0, s94
	s_wait_alu 0xfffe
	s_mul_i32 s1, s59, s50
	s_load_b64 s[58:59], s[60:61], 0x8c
	s_add_co_i32 s40, s6, s3
	s_mul_i32 s42, s4, s47
	s_wait_alu 0xfffe
	s_mul_i32 s72, s40, s46
	s_sub_co_i32 s1, s56, s1
	s_ashr_i32 s43, s42, 31
	s_wait_alu 0xfffe
	s_ashr_i32 s73, s72, 31
	s_ashr_i32 s5, s4, 31
	s_sub_co_i32 s3, s1, s50
	s_add_nc_u64 s[42:43], s[8:9], s[42:43]
	s_wait_alu 0xfffe
	s_mul_u64 s[84:85], s[28:29], s[4:5]
	s_add_nc_u64 s[90:91], s[42:43], s[72:73]
	s_add_nc_u64 s[42:43], s[10:11], s[84:85]
	s_mul_i32 s88, s0, s31
	v_or_b32_e32 v177, s6, v27
	s_wait_kmcnt 0x0
	s_mul_i32 s82, s0, s59
	s_load_b64 s[58:59], s[60:61], 0xc8
	s_ashr_i32 s83, s82, 31
	s_cmp_ge_u32 s1, s50
	s_add_nc_u64 s[78:79], s[42:43], s[82:83]
	s_cselect_b32 s1, s3, s1
	s_wait_alu 0xfffe
	s_sub_co_i32 s3, s1, s50
	s_cmp_ge_u32 s1, s50
	s_wait_alu 0xfffe
	s_cselect_b32 s1, s3, s1
	s_mul_i32 s3, s24, s25
	s_wait_alu 0xfffe
	s_xor_b32 s1, s1, s5
	s_mul_i32 s3, s3, s4
	s_wait_alu 0xfffe
	s_sub_co_i32 s42, s1, s5
	s_add_co_i32 s1, s40, s3
	s_wait_alu 0xfffe
	s_ashr_i32 s43, s42, 31
	s_ashr_i32 s41, s40, 31
	v_readlane_b32 s3, v255, 14
	s_lshl_b32 s56, s1, 6
	s_wait_alu 0xfffe
	s_lshl_b64 s[0:1], s[40:41], 2
	s_wait_kmcnt 0x0
	s_mul_u64 s[42:43], s[58:59], s[42:43]
	s_load_b64 s[58:59], s[60:61], 0xa8
	s_add_nc_u64 s[80:81], s[14:15], s[42:43]
	s_lshl_b64 s[42:43], s[56:57], 3
	s_ashr_i32 s89, s88, 31
	s_add_nc_u64 s[0:1], s[16:17], s[0:1]
	s_and_b32 s3, s3, exec_lo
	s_wait_alu 0xfffe
	s_add_nc_u64 s[72:73], s[20:21], s[42:43]
	s_cselect_b32 s75, 0, s1
	s_cselect_b32 s74, 0, s0
	s_cmp_lg_u32 s51, 0
	s_wait_kmcnt 0x0
	s_mul_u64 s[86:87], s[58:59], s[4:5]
	s_wait_alu 0xfffe
	s_add_nc_u64 s[4:5], s[12:13], s[86:87]
	s_wait_alu 0xfffe
	s_add_nc_u64 s[76:77], s[4:5], s[88:89]
	s_cbranch_scc0 .LBB25_210
; %bb.12:                               ;   in Loop: Header=BB25_9 Depth=1
	s_lshl_b32 s0, s67, 5
	v_cmp_le_i32_e64 s4, s94, v177
	s_wait_alu 0xfffe
	v_add_nc_u32_e32 v246, s0, v237
	v_cmp_gt_i32_e32 vcc_lo, s94, v177
	s_delay_alu instid0(VALU_DEP_2)
	v_cmp_le_i32_e64 s3, s24, v246
	s_or_b32 s1, s3, s4
	s_wait_alu 0xfffe
	s_and_saveexec_b32 s3, s1
	s_wait_alu 0xfffe
	s_xor_b32 s1, exec_lo, s3
	s_cbranch_execz .LBB25_14
; %bb.13:                               ;   in Loop: Header=BB25_9 Depth=1
	scratch_load_b32 v0, off, off offset:208 ; 4-byte Folded Reload
	v_add_nc_u32_e32 v1, 0, v200
	s_wait_loadcnt 0x0
	s_delay_alu instid0(VALU_DEP_1)
	v_add_nc_u32_e32 v0, v1, v0
	ds_store_2addr_b32 v0, v29, v29 offset1:32
.LBB25_14:                              ;   in Loop: Header=BB25_9 Depth=1
	s_wait_alu 0xfffe
	s_and_not1_saveexec_b32 s1, s1
	s_cbranch_execz .LBB25_16
; %bb.15:                               ;   in Loop: Header=BB25_9 Depth=1
	s_wait_loadcnt 0x0
	v_mad_co_u64_u32 v[0:1], null, v246, s33, v[32:33]
	s_delay_alu instid0(VALU_DEP_1) | instskip(NEXT) | instid1(VALU_DEP_1)
	v_ashrrev_i32_e32 v1, 31, v0
	v_lshlrev_b64_e32 v[0:1], 3, v[0:1]
	s_delay_alu instid0(VALU_DEP_1) | instskip(SKIP_1) | instid1(VALU_DEP_2)
	v_add_co_u32 v0, s3, s90, v0
	s_wait_alu 0xf1ff
	v_add_co_ci_u32_e64 v1, null, s91, v1, s3
	s_clause 0x1
	global_load_b64 v[2:3], v[0:1], off
	global_load_b64 v[0:1], v[0:1], off offset:256
	s_wait_loadcnt 0x1
	v_cvt_f16_f32_e32 v2, v2
	v_cvt_f16_f32_e32 v3, v3
	s_wait_loadcnt 0x0
	v_cvt_f16_f32_e32 v0, v0
	v_cvt_f16_f32_e32 v1, v1
	s_delay_alu instid0(VALU_DEP_3) | instskip(NEXT) | instid1(VALU_DEP_2)
	v_pack_b32_f16 v2, v2, v3
	v_pack_b32_f16 v0, v0, v1
	s_delay_alu instid0(VALU_DEP_2) | instskip(NEXT) | instid1(VALU_DEP_2)
	v_pk_mul_f16 v1, v2, s101
	v_pk_mul_f16 v0, v0, s101
	ds_store_2addr_b32 v249, v1, v0 offset1:32
.LBB25_16:                              ;   in Loop: Header=BB25_9 Depth=1
	s_wait_alu 0xfffe
	s_or_b32 exec_lo, exec_lo, s1
	v_add_nc_u32_e32 v206, s0, v251
	s_xor_b32 s1, vcc_lo, -1
	s_delay_alu instid0(VALU_DEP_1)
	v_cmp_le_i32_e64 s3, s24, v206
	s_wait_alu 0xfffe
	s_or_b32 s3, s3, s1
	s_wait_alu 0xfffe
	s_and_saveexec_b32 s4, s3
	s_wait_alu 0xfffe
	s_xor_b32 s3, exec_lo, s4
	s_cbranch_execz .LBB25_18
; %bb.17:                               ;   in Loop: Header=BB25_9 Depth=1
	scratch_load_b32 v1, off, off offset:256 ; 4-byte Folded Reload
	v_add_nc_u32_e32 v0, 0, v200
	s_wait_loadcnt 0x0
	s_delay_alu instid0(VALU_DEP_1)
	v_add_nc_u32_e32 v0, v0, v1
	ds_store_2addr_b32 v0, v29, v29 offset1:32
.LBB25_18:                              ;   in Loop: Header=BB25_9 Depth=1
	s_wait_alu 0xfffe
	s_and_not1_saveexec_b32 s3, s3
	s_cbranch_execz .LBB25_20
; %bb.19:                               ;   in Loop: Header=BB25_9 Depth=1
	s_wait_loadcnt 0x0
	v_mad_co_u64_u32 v[0:1], null, v206, s33, v[32:33]
	s_delay_alu instid0(VALU_DEP_1) | instskip(NEXT) | instid1(VALU_DEP_1)
	v_ashrrev_i32_e32 v1, 31, v0
	v_lshlrev_b64_e32 v[0:1], 3, v[0:1]
	s_delay_alu instid0(VALU_DEP_1) | instskip(SKIP_1) | instid1(VALU_DEP_2)
	v_add_co_u32 v0, vcc_lo, s90, v0
	s_wait_alu 0xfffd
	v_add_co_ci_u32_e64 v1, null, s91, v1, vcc_lo
	s_clause 0x1
	global_load_b64 v[2:3], v[0:1], off
	global_load_b64 v[0:1], v[0:1], off offset:256
	s_wait_loadcnt 0x1
	v_cvt_f16_f32_e32 v2, v2
	v_cvt_f16_f32_e32 v3, v3
	s_wait_loadcnt 0x0
	v_cvt_f16_f32_e32 v0, v0
	v_cvt_f16_f32_e32 v1, v1
	s_delay_alu instid0(VALU_DEP_3) | instskip(NEXT) | instid1(VALU_DEP_2)
	v_pack_b32_f16 v2, v2, v3
	v_pack_b32_f16 v0, v0, v1
	s_delay_alu instid0(VALU_DEP_2)
	v_pk_mul_f16 v1, v2, s101
	scratch_load_b32 v2, off, off offset:192 ; 4-byte Folded Reload
	v_pk_mul_f16 v0, v0, s101
	s_wait_loadcnt 0x0
	ds_store_2addr_b32 v2, v1, v0 offset1:32
.LBB25_20:                              ;   in Loop: Header=BB25_9 Depth=1
	s_wait_alu 0xfffe
	s_or_b32 exec_lo, exec_lo, s3
	scratch_load_b32 v0, off, off offset:124 ; 4-byte Folded Reload
	s_wait_loadcnt 0x0
	v_add_nc_u32_e32 v39, s0, v0
	s_delay_alu instid0(VALU_DEP_1)
	v_cmp_le_i32_e32 vcc_lo, s24, v39
	s_or_b32 s3, vcc_lo, s1
	s_wait_alu 0xfffe
	s_and_saveexec_b32 s4, s3
	s_wait_alu 0xfffe
	s_xor_b32 s3, exec_lo, s4
	s_cbranch_execz .LBB25_22
; %bb.21:                               ;   in Loop: Header=BB25_9 Depth=1
	scratch_load_b32 v1, off, off offset:260 ; 4-byte Folded Reload
	v_add_nc_u32_e32 v0, 0, v200
	s_wait_loadcnt 0x0
	s_delay_alu instid0(VALU_DEP_1)
	v_add_nc_u32_e32 v0, v0, v1
	ds_store_2addr_b32 v0, v29, v29 offset1:32
.LBB25_22:                              ;   in Loop: Header=BB25_9 Depth=1
	s_wait_alu 0xfffe
	s_and_not1_saveexec_b32 s3, s3
	s_cbranch_execz .LBB25_24
; %bb.23:                               ;   in Loop: Header=BB25_9 Depth=1
	v_mad_co_u64_u32 v[0:1], null, v39, s33, v[32:33]
	s_delay_alu instid0(VALU_DEP_1) | instskip(NEXT) | instid1(VALU_DEP_1)
	v_ashrrev_i32_e32 v1, 31, v0
	v_lshlrev_b64_e32 v[0:1], 3, v[0:1]
	s_delay_alu instid0(VALU_DEP_1) | instskip(SKIP_1) | instid1(VALU_DEP_2)
	v_add_co_u32 v0, vcc_lo, s90, v0
	s_wait_alu 0xfffd
	v_add_co_ci_u32_e64 v1, null, s91, v1, vcc_lo
	s_clause 0x1
	global_load_b64 v[2:3], v[0:1], off
	global_load_b64 v[0:1], v[0:1], off offset:256
	s_wait_loadcnt 0x1
	v_cvt_f16_f32_e32 v2, v2
	v_cvt_f16_f32_e32 v3, v3
	s_wait_loadcnt 0x0
	v_cvt_f16_f32_e32 v0, v0
	v_cvt_f16_f32_e32 v1, v1
	s_delay_alu instid0(VALU_DEP_3) | instskip(NEXT) | instid1(VALU_DEP_2)
	v_pack_b32_f16 v2, v2, v3
	v_pack_b32_f16 v0, v0, v1
	s_delay_alu instid0(VALU_DEP_2)
	v_pk_mul_f16 v1, v2, s101
	scratch_load_b32 v2, off, off offset:204 ; 4-byte Folded Reload
	v_pk_mul_f16 v0, v0, s101
	s_wait_loadcnt 0x0
	ds_store_2addr_b32 v2, v1, v0 offset1:32
.LBB25_24:                              ;   in Loop: Header=BB25_9 Depth=1
	s_wait_alu 0xfffe
	s_or_b32 exec_lo, exec_lo, s3
	scratch_load_b32 v0, off, off offset:128 ; 4-byte Folded Reload
	s_wait_loadcnt 0x0
	v_add_nc_u32_e32 v254, s0, v0
	s_delay_alu instid0(VALU_DEP_1)
	v_cmp_le_i32_e32 vcc_lo, s24, v254
	s_or_b32 s3, vcc_lo, s1
	s_wait_alu 0xfffe
	s_and_saveexec_b32 s4, s3
	s_wait_alu 0xfffe
	s_xor_b32 s3, exec_lo, s4
	s_cbranch_execz .LBB25_26
; %bb.25:                               ;   in Loop: Header=BB25_9 Depth=1
	scratch_load_b32 v1, off, off offset:264 ; 4-byte Folded Reload
	v_add_nc_u32_e32 v0, 0, v200
	s_wait_loadcnt 0x0
	s_delay_alu instid0(VALU_DEP_1)
	v_add_nc_u32_e32 v0, v0, v1
	ds_store_2addr_b32 v0, v29, v29 offset1:32
.LBB25_26:                              ;   in Loop: Header=BB25_9 Depth=1
	s_wait_alu 0xfffe
	s_and_not1_saveexec_b32 s3, s3
	s_cbranch_execz .LBB25_28
; %bb.27:                               ;   in Loop: Header=BB25_9 Depth=1
	v_mad_co_u64_u32 v[0:1], null, v254, s33, v[32:33]
	s_delay_alu instid0(VALU_DEP_1) | instskip(NEXT) | instid1(VALU_DEP_1)
	v_ashrrev_i32_e32 v1, 31, v0
	v_lshlrev_b64_e32 v[0:1], 3, v[0:1]
	s_delay_alu instid0(VALU_DEP_1) | instskip(SKIP_1) | instid1(VALU_DEP_2)
	v_add_co_u32 v0, vcc_lo, s90, v0
	s_wait_alu 0xfffd
	v_add_co_ci_u32_e64 v1, null, s91, v1, vcc_lo
	s_clause 0x1
	global_load_b64 v[2:3], v[0:1], off
	global_load_b64 v[0:1], v[0:1], off offset:256
	s_wait_loadcnt 0x1
	v_cvt_f16_f32_e32 v2, v2
	v_cvt_f16_f32_e32 v3, v3
	s_wait_loadcnt 0x0
	v_cvt_f16_f32_e32 v0, v0
	v_cvt_f16_f32_e32 v1, v1
	s_delay_alu instid0(VALU_DEP_3) | instskip(NEXT) | instid1(VALU_DEP_2)
	v_pack_b32_f16 v2, v2, v3
	v_pack_b32_f16 v0, v0, v1
	s_delay_alu instid0(VALU_DEP_2)
	v_pk_mul_f16 v1, v2, s101
	scratch_load_b32 v2, off, off offset:212 ; 4-byte Folded Reload
	v_pk_mul_f16 v0, v0, s101
	s_wait_loadcnt 0x0
	ds_store_2addr_b32 v2, v1, v0 offset1:32
.LBB25_28:                              ;   in Loop: Header=BB25_9 Depth=1
	;; [unrolled: 52-line block ×5, first 2 shown]
	s_wait_alu 0xfffe
	s_or_b32 exec_lo, exec_lo, s3
	scratch_load_b32 v0, off, off offset:144 ; 4-byte Folded Reload
	s_wait_loadcnt 0x0
	v_add_nc_u32_e32 v35, s0, v0
	s_delay_alu instid0(VALU_DEP_1)
	v_cmp_le_i32_e32 vcc_lo, s24, v35
	s_or_b32 s3, vcc_lo, s1
	s_wait_alu 0xfffe
	s_and_saveexec_b32 s4, s3
	s_wait_alu 0xfffe
	s_xor_b32 s3, exec_lo, s4
; %bb.41:                               ;   in Loop: Header=BB25_9 Depth=1
	v_add_nc_u32_e32 v0, 0, v200
	s_delay_alu instid0(VALU_DEP_1)
	v_add_nc_u32_e32 v0, v0, v30
	ds_store_2addr_b32 v0, v29, v29 offset1:32
; %bb.42:                               ;   in Loop: Header=BB25_9 Depth=1
	s_wait_alu 0xfffe
	s_and_not1_saveexec_b32 s3, s3
	s_cbranch_execz .LBB25_44
; %bb.43:                               ;   in Loop: Header=BB25_9 Depth=1
	v_mad_co_u64_u32 v[0:1], null, v35, s33, v[32:33]
	s_delay_alu instid0(VALU_DEP_1) | instskip(NEXT) | instid1(VALU_DEP_1)
	v_ashrrev_i32_e32 v1, 31, v0
	v_lshlrev_b64_e32 v[0:1], 3, v[0:1]
	s_delay_alu instid0(VALU_DEP_1) | instskip(SKIP_1) | instid1(VALU_DEP_2)
	v_add_co_u32 v0, vcc_lo, s90, v0
	s_wait_alu 0xfffd
	v_add_co_ci_u32_e64 v1, null, s91, v1, vcc_lo
	s_clause 0x1
	global_load_b64 v[2:3], v[0:1], off
	global_load_b64 v[0:1], v[0:1], off offset:256
	s_wait_loadcnt 0x1
	v_cvt_f16_f32_e32 v2, v2
	v_cvt_f16_f32_e32 v3, v3
	s_wait_loadcnt 0x0
	v_cvt_f16_f32_e32 v0, v0
	v_cvt_f16_f32_e32 v1, v1
	s_delay_alu instid0(VALU_DEP_3) | instskip(NEXT) | instid1(VALU_DEP_2)
	v_pack_b32_f16 v2, v2, v3
	v_pack_b32_f16 v0, v0, v1
	s_delay_alu instid0(VALU_DEP_2)
	v_pk_mul_f16 v1, v2, s101
	scratch_load_b32 v2, off, off offset:292 ; 4-byte Folded Reload
	v_pk_mul_f16 v0, v0, s101
	s_wait_loadcnt 0x0
	ds_store_2addr_b32 v2, v1, v0 offset1:32
.LBB25_44:                              ;   in Loop: Header=BB25_9 Depth=1
	s_wait_alu 0xfffe
	s_or_b32 exec_lo, exec_lo, s3
	scratch_load_b32 v0, off, off offset:152 ; 4-byte Folded Reload
	s_wait_loadcnt 0x0
	v_add_nc_u32_e32 v34, s0, v0
	s_delay_alu instid0(VALU_DEP_1)
	v_cmp_le_i32_e32 vcc_lo, s24, v34
	s_or_b32 s3, vcc_lo, s1
	s_wait_alu 0xfffe
	s_and_saveexec_b32 s4, s3
	s_wait_alu 0xfffe
	s_xor_b32 s3, exec_lo, s4
	s_cbranch_execz .LBB25_46
; %bb.45:                               ;   in Loop: Header=BB25_9 Depth=1
	v_add_nc_u32_e32 v0, 0, v200
	s_delay_alu instid0(VALU_DEP_1) | instskip(NEXT) | instid1(VALU_DEP_1)
	v_add_nc_u32_e32 v0, v0, v30
	v_add_nc_u32_e32 v0, 0x400, v0
	ds_store_2addr_b32 v0, v29, v29 offset0:16 offset1:48
.LBB25_46:                              ;   in Loop: Header=BB25_9 Depth=1
	s_wait_alu 0xfffe
	s_and_not1_saveexec_b32 s3, s3
	s_cbranch_execz .LBB25_48
; %bb.47:                               ;   in Loop: Header=BB25_9 Depth=1
	v_mad_co_u64_u32 v[0:1], null, v34, s33, v[32:33]
	s_delay_alu instid0(VALU_DEP_1) | instskip(NEXT) | instid1(VALU_DEP_1)
	v_ashrrev_i32_e32 v1, 31, v0
	v_lshlrev_b64_e32 v[0:1], 3, v[0:1]
	s_delay_alu instid0(VALU_DEP_1) | instskip(SKIP_1) | instid1(VALU_DEP_2)
	v_add_co_u32 v0, vcc_lo, s90, v0
	s_wait_alu 0xfffd
	v_add_co_ci_u32_e64 v1, null, s91, v1, vcc_lo
	s_clause 0x1
	global_load_b64 v[2:3], v[0:1], off
	global_load_b64 v[0:1], v[0:1], off offset:256
	s_wait_loadcnt 0x1
	v_cvt_f16_f32_e32 v2, v2
	v_cvt_f16_f32_e32 v3, v3
	s_wait_loadcnt 0x0
	v_cvt_f16_f32_e32 v0, v0
	v_cvt_f16_f32_e32 v1, v1
	s_delay_alu instid0(VALU_DEP_3) | instskip(NEXT) | instid1(VALU_DEP_2)
	v_pack_b32_f16 v2, v2, v3
	v_pack_b32_f16 v0, v0, v1
	s_delay_alu instid0(VALU_DEP_2)
	v_pk_mul_f16 v1, v2, s101
	scratch_load_b32 v2, off, off offset:296 ; 4-byte Folded Reload
	v_pk_mul_f16 v0, v0, s101
	s_wait_loadcnt 0x0
	ds_store_2addr_b32 v2, v1, v0 offset1:32
.LBB25_48:                              ;   in Loop: Header=BB25_9 Depth=1
	s_wait_alu 0xfffe
	s_or_b32 exec_lo, exec_lo, s3
	scratch_load_b32 v0, off, off offset:156 ; 4-byte Folded Reload
	s_wait_loadcnt 0x0
	v_add_nc_u32_e32 v28, s0, v0
	s_delay_alu instid0(VALU_DEP_1)
	v_cmp_le_i32_e32 vcc_lo, s24, v28
	s_or_b32 s3, vcc_lo, s1
	s_wait_alu 0xfffe
	s_and_saveexec_b32 s4, s3
	s_wait_alu 0xfffe
	s_xor_b32 s3, exec_lo, s4
	s_cbranch_execz .LBB25_50
; %bb.49:                               ;   in Loop: Header=BB25_9 Depth=1
	v_add_nc_u32_e32 v0, 0, v200
	s_delay_alu instid0(VALU_DEP_1) | instskip(NEXT) | instid1(VALU_DEP_1)
	v_add_nc_u32_e32 v0, v0, v30
	v_add_nc_u32_e32 v0, 0x800, v0
	ds_store_2addr_b32 v0, v29, v29 offset0:32 offset1:64
.LBB25_50:                              ;   in Loop: Header=BB25_9 Depth=1
	s_wait_alu 0xfffe
	s_and_not1_saveexec_b32 s3, s3
	s_cbranch_execz .LBB25_52
; %bb.51:                               ;   in Loop: Header=BB25_9 Depth=1
	v_mad_co_u64_u32 v[0:1], null, v28, s33, v[32:33]
	s_delay_alu instid0(VALU_DEP_1) | instskip(NEXT) | instid1(VALU_DEP_1)
	v_ashrrev_i32_e32 v1, 31, v0
	v_lshlrev_b64_e32 v[0:1], 3, v[0:1]
	s_delay_alu instid0(VALU_DEP_1) | instskip(SKIP_1) | instid1(VALU_DEP_2)
	v_add_co_u32 v0, vcc_lo, s90, v0
	s_wait_alu 0xfffd
	v_add_co_ci_u32_e64 v1, null, s91, v1, vcc_lo
	s_clause 0x1
	global_load_b64 v[2:3], v[0:1], off
	global_load_b64 v[0:1], v[0:1], off offset:256
	s_wait_loadcnt 0x1
	v_cvt_f16_f32_e32 v2, v2
	v_cvt_f16_f32_e32 v3, v3
	s_wait_loadcnt 0x0
	v_cvt_f16_f32_e32 v0, v0
	v_cvt_f16_f32_e32 v1, v1
	s_delay_alu instid0(VALU_DEP_3) | instskip(NEXT) | instid1(VALU_DEP_2)
	v_pack_b32_f16 v2, v2, v3
	v_pack_b32_f16 v0, v0, v1
	s_delay_alu instid0(VALU_DEP_2)
	v_pk_mul_f16 v1, v2, s101
	scratch_load_b32 v2, off, off offset:300 ; 4-byte Folded Reload
	v_pk_mul_f16 v0, v0, s101
	s_wait_loadcnt 0x0
	ds_store_2addr_b32 v2, v1, v0 offset1:32
.LBB25_52:                              ;   in Loop: Header=BB25_9 Depth=1
	s_wait_alu 0xfffe
	s_or_b32 exec_lo, exec_lo, s3
	scratch_load_b32 v0, off, off offset:160 ; 4-byte Folded Reload
	s_wait_loadcnt 0x0
	v_add_nc_u32_e32 v205, s0, v0
	s_delay_alu instid0(VALU_DEP_1)
	v_cmp_le_i32_e32 vcc_lo, s24, v205
	s_or_b32 s3, vcc_lo, s1
	s_wait_alu 0xfffe
	s_and_saveexec_b32 s4, s3
	s_wait_alu 0xfffe
	s_xor_b32 s3, exec_lo, s4
	s_cbranch_execz .LBB25_54
; %bb.53:                               ;   in Loop: Header=BB25_9 Depth=1
	v_add_nc_u32_e32 v0, 0, v200
	s_delay_alu instid0(VALU_DEP_1) | instskip(NEXT) | instid1(VALU_DEP_1)
	v_add_nc_u32_e32 v0, v0, v30
	v_add_nc_u32_e32 v0, 0xc00, v0
	ds_store_2addr_b32 v0, v29, v29 offset0:48 offset1:80
.LBB25_54:                              ;   in Loop: Header=BB25_9 Depth=1
	s_wait_alu 0xfffe
	s_and_not1_saveexec_b32 s3, s3
	s_cbranch_execz .LBB25_56
; %bb.55:                               ;   in Loop: Header=BB25_9 Depth=1
	v_mad_co_u64_u32 v[0:1], null, v205, s33, v[32:33]
	s_delay_alu instid0(VALU_DEP_1) | instskip(NEXT) | instid1(VALU_DEP_1)
	v_ashrrev_i32_e32 v1, 31, v0
	v_lshlrev_b64_e32 v[0:1], 3, v[0:1]
	s_delay_alu instid0(VALU_DEP_1) | instskip(SKIP_1) | instid1(VALU_DEP_2)
	v_add_co_u32 v0, vcc_lo, s90, v0
	s_wait_alu 0xfffd
	v_add_co_ci_u32_e64 v1, null, s91, v1, vcc_lo
	s_clause 0x1
	global_load_b64 v[2:3], v[0:1], off
	global_load_b64 v[0:1], v[0:1], off offset:256
	s_wait_loadcnt 0x1
	v_cvt_f16_f32_e32 v2, v2
	v_cvt_f16_f32_e32 v3, v3
	s_wait_loadcnt 0x0
	v_cvt_f16_f32_e32 v0, v0
	v_cvt_f16_f32_e32 v1, v1
	s_delay_alu instid0(VALU_DEP_3) | instskip(NEXT) | instid1(VALU_DEP_2)
	v_pack_b32_f16 v2, v2, v3
	v_pack_b32_f16 v0, v0, v1
	s_delay_alu instid0(VALU_DEP_2)
	v_pk_mul_f16 v1, v2, s101
	scratch_load_b32 v2, off, off offset:304 ; 4-byte Folded Reload
	v_pk_mul_f16 v0, v0, s101
	s_wait_loadcnt 0x0
	ds_store_2addr_b32 v2, v1, v0 offset1:32
.LBB25_56:                              ;   in Loop: Header=BB25_9 Depth=1
	s_wait_alu 0xfffe
	s_or_b32 exec_lo, exec_lo, s3
	scratch_load_b32 v0, off, off offset:164 ; 4-byte Folded Reload
	s_wait_loadcnt 0x0
	v_add_nc_u32_e32 v27, s0, v0
	s_delay_alu instid0(VALU_DEP_1)
	v_cmp_le_i32_e32 vcc_lo, s24, v27
	s_or_b32 s3, vcc_lo, s1
	s_wait_alu 0xfffe
	s_and_saveexec_b32 s4, s3
	s_wait_alu 0xfffe
	s_xor_b32 s3, exec_lo, s4
	s_cbranch_execz .LBB25_58
; %bb.57:                               ;   in Loop: Header=BB25_9 Depth=1
	v_add_nc_u32_e32 v0, 0, v200
	s_delay_alu instid0(VALU_DEP_1) | instskip(NEXT) | instid1(VALU_DEP_1)
	v_add_nc_u32_e32 v0, v0, v30
	v_add_nc_u32_e32 v0, 0x1000, v0
	ds_store_2addr_b32 v0, v29, v29 offset0:64 offset1:96
.LBB25_58:                              ;   in Loop: Header=BB25_9 Depth=1
	s_wait_alu 0xfffe
	s_and_not1_saveexec_b32 s3, s3
	s_cbranch_execz .LBB25_60
; %bb.59:                               ;   in Loop: Header=BB25_9 Depth=1
	v_mad_co_u64_u32 v[0:1], null, v27, s33, v[32:33]
	s_delay_alu instid0(VALU_DEP_1) | instskip(NEXT) | instid1(VALU_DEP_1)
	v_ashrrev_i32_e32 v1, 31, v0
	v_lshlrev_b64_e32 v[0:1], 3, v[0:1]
	s_delay_alu instid0(VALU_DEP_1) | instskip(SKIP_1) | instid1(VALU_DEP_2)
	v_add_co_u32 v0, vcc_lo, s90, v0
	s_wait_alu 0xfffd
	v_add_co_ci_u32_e64 v1, null, s91, v1, vcc_lo
	s_clause 0x1
	global_load_b64 v[2:3], v[0:1], off
	global_load_b64 v[0:1], v[0:1], off offset:256
	s_wait_loadcnt 0x1
	v_cvt_f16_f32_e32 v2, v2
	v_cvt_f16_f32_e32 v3, v3
	s_wait_loadcnt 0x0
	v_cvt_f16_f32_e32 v0, v0
	v_cvt_f16_f32_e32 v1, v1
	s_delay_alu instid0(VALU_DEP_3) | instskip(NEXT) | instid1(VALU_DEP_2)
	v_pack_b32_f16 v2, v2, v3
	v_pack_b32_f16 v0, v0, v1
	s_delay_alu instid0(VALU_DEP_2)
	v_pk_mul_f16 v1, v2, s101
	scratch_load_b32 v2, off, off offset:308 ; 4-byte Folded Reload
	v_pk_mul_f16 v0, v0, s101
	s_wait_loadcnt 0x0
	ds_store_2addr_b32 v2, v1, v0 offset1:32
.LBB25_60:                              ;   in Loop: Header=BB25_9 Depth=1
	s_wait_alu 0xfffe
	s_or_b32 exec_lo, exec_lo, s3
	scratch_load_b32 v0, off, off offset:168 ; 4-byte Folded Reload
	s_wait_loadcnt 0x0
	v_add_nc_u32_e32 v26, s0, v0
	s_delay_alu instid0(VALU_DEP_1)
	v_cmp_le_i32_e32 vcc_lo, s24, v26
	s_or_b32 s3, vcc_lo, s1
	s_wait_alu 0xfffe
	s_and_saveexec_b32 s4, s3
	s_wait_alu 0xfffe
	s_xor_b32 s3, exec_lo, s4
	s_cbranch_execz .LBB25_62
; %bb.61:                               ;   in Loop: Header=BB25_9 Depth=1
	v_add_nc_u32_e32 v0, 0, v200
	s_delay_alu instid0(VALU_DEP_1) | instskip(NEXT) | instid1(VALU_DEP_1)
	v_add_nc_u32_e32 v0, v0, v30
	v_add_nc_u32_e32 v0, 0x1400, v0
	ds_store_2addr_b32 v0, v29, v29 offset0:80 offset1:112
.LBB25_62:                              ;   in Loop: Header=BB25_9 Depth=1
	s_wait_alu 0xfffe
	s_and_not1_saveexec_b32 s3, s3
	s_cbranch_execz .LBB25_64
; %bb.63:                               ;   in Loop: Header=BB25_9 Depth=1
	v_mad_co_u64_u32 v[0:1], null, v26, s33, v[32:33]
	s_delay_alu instid0(VALU_DEP_1) | instskip(NEXT) | instid1(VALU_DEP_1)
	v_ashrrev_i32_e32 v1, 31, v0
	v_lshlrev_b64_e32 v[0:1], 3, v[0:1]
	s_delay_alu instid0(VALU_DEP_1) | instskip(SKIP_1) | instid1(VALU_DEP_2)
	v_add_co_u32 v0, vcc_lo, s90, v0
	s_wait_alu 0xfffd
	v_add_co_ci_u32_e64 v1, null, s91, v1, vcc_lo
	s_clause 0x1
	global_load_b64 v[2:3], v[0:1], off
	global_load_b64 v[0:1], v[0:1], off offset:256
	s_wait_loadcnt 0x1
	v_cvt_f16_f32_e32 v2, v2
	v_cvt_f16_f32_e32 v3, v3
	s_wait_loadcnt 0x0
	v_cvt_f16_f32_e32 v0, v0
	v_cvt_f16_f32_e32 v1, v1
	s_delay_alu instid0(VALU_DEP_3) | instskip(NEXT) | instid1(VALU_DEP_2)
	v_pack_b32_f16 v2, v2, v3
	v_pack_b32_f16 v0, v0, v1
	s_delay_alu instid0(VALU_DEP_2)
	v_pk_mul_f16 v1, v2, s101
	scratch_load_b32 v2, off, off offset:312 ; 4-byte Folded Reload
	v_pk_mul_f16 v0, v0, s101
	s_wait_loadcnt 0x0
	ds_store_2addr_b32 v2, v1, v0 offset1:32
.LBB25_64:                              ;   in Loop: Header=BB25_9 Depth=1
	s_wait_alu 0xfffe
	s_or_b32 exec_lo, exec_lo, s3
	scratch_load_b32 v0, off, off offset:172 ; 4-byte Folded Reload
	s_wait_loadcnt 0x0
	v_add_nc_u32_e32 v25, s0, v0
	s_delay_alu instid0(VALU_DEP_1)
	v_cmp_le_i32_e32 vcc_lo, s24, v25
	s_or_b32 s3, vcc_lo, s1
	s_wait_alu 0xfffe
	s_and_saveexec_b32 s4, s3
	s_wait_alu 0xfffe
	s_xor_b32 s3, exec_lo, s4
	s_cbranch_execz .LBB25_66
; %bb.65:                               ;   in Loop: Header=BB25_9 Depth=1
	v_add_nc_u32_e32 v0, 0, v200
	s_delay_alu instid0(VALU_DEP_1) | instskip(NEXT) | instid1(VALU_DEP_1)
	v_add_nc_u32_e32 v0, v0, v30
	v_add_nc_u32_e32 v0, 0x1800, v0
	ds_store_2addr_b32 v0, v29, v29 offset0:96 offset1:128
.LBB25_66:                              ;   in Loop: Header=BB25_9 Depth=1
	s_wait_alu 0xfffe
	s_and_not1_saveexec_b32 s3, s3
	s_cbranch_execz .LBB25_68
; %bb.67:                               ;   in Loop: Header=BB25_9 Depth=1
	v_mad_co_u64_u32 v[0:1], null, v25, s33, v[32:33]
	s_delay_alu instid0(VALU_DEP_1) | instskip(NEXT) | instid1(VALU_DEP_1)
	v_ashrrev_i32_e32 v1, 31, v0
	v_lshlrev_b64_e32 v[0:1], 3, v[0:1]
	s_delay_alu instid0(VALU_DEP_1) | instskip(SKIP_1) | instid1(VALU_DEP_2)
	v_add_co_u32 v0, vcc_lo, s90, v0
	s_wait_alu 0xfffd
	v_add_co_ci_u32_e64 v1, null, s91, v1, vcc_lo
	s_clause 0x1
	global_load_b64 v[2:3], v[0:1], off
	global_load_b64 v[0:1], v[0:1], off offset:256
	s_wait_loadcnt 0x1
	v_cvt_f16_f32_e32 v2, v2
	v_cvt_f16_f32_e32 v3, v3
	s_wait_loadcnt 0x0
	v_cvt_f16_f32_e32 v0, v0
	v_cvt_f16_f32_e32 v1, v1
	s_delay_alu instid0(VALU_DEP_3) | instskip(NEXT) | instid1(VALU_DEP_2)
	v_pack_b32_f16 v2, v2, v3
	v_pack_b32_f16 v0, v0, v1
	s_delay_alu instid0(VALU_DEP_2)
	v_pk_mul_f16 v1, v2, s101
	scratch_load_b32 v2, off, off offset:316 ; 4-byte Folded Reload
	v_pk_mul_f16 v0, v0, s101
	s_wait_loadcnt 0x0
	ds_store_2addr_b32 v2, v1, v0 offset1:32
.LBB25_68:                              ;   in Loop: Header=BB25_9 Depth=1
	s_wait_alu 0xfffe
	s_or_b32 exec_lo, exec_lo, s3
	scratch_load_b32 v0, off, off offset:176 ; 4-byte Folded Reload
	s_wait_loadcnt 0x0
	v_add_nc_u32_e32 v24, s0, v0
	s_delay_alu instid0(VALU_DEP_1)
	v_cmp_le_i32_e32 vcc_lo, s24, v24
	s_or_b32 s3, vcc_lo, s1
	s_wait_alu 0xfffe
	s_and_saveexec_b32 s4, s3
	s_wait_alu 0xfffe
	s_xor_b32 s3, exec_lo, s4
	s_cbranch_execz .LBB25_70
; %bb.69:                               ;   in Loop: Header=BB25_9 Depth=1
	v_add_nc_u32_e32 v0, 0, v200
	s_delay_alu instid0(VALU_DEP_1) | instskip(NEXT) | instid1(VALU_DEP_1)
	v_add_nc_u32_e32 v0, v0, v30
	v_add_nc_u32_e32 v0, 0x1c00, v0
	ds_store_2addr_b32 v0, v29, v29 offset0:112 offset1:144
.LBB25_70:                              ;   in Loop: Header=BB25_9 Depth=1
	s_wait_alu 0xfffe
	s_and_not1_saveexec_b32 s3, s3
	s_cbranch_execz .LBB25_72
; %bb.71:                               ;   in Loop: Header=BB25_9 Depth=1
	v_mad_co_u64_u32 v[0:1], null, v24, s33, v[32:33]
	s_delay_alu instid0(VALU_DEP_1) | instskip(NEXT) | instid1(VALU_DEP_1)
	v_ashrrev_i32_e32 v1, 31, v0
	v_lshlrev_b64_e32 v[0:1], 3, v[0:1]
	s_delay_alu instid0(VALU_DEP_1) | instskip(SKIP_1) | instid1(VALU_DEP_2)
	v_add_co_u32 v0, vcc_lo, s90, v0
	s_wait_alu 0xfffd
	v_add_co_ci_u32_e64 v1, null, s91, v1, vcc_lo
	s_clause 0x1
	global_load_b64 v[2:3], v[0:1], off
	global_load_b64 v[0:1], v[0:1], off offset:256
	s_wait_loadcnt 0x1
	v_cvt_f16_f32_e32 v2, v2
	v_cvt_f16_f32_e32 v3, v3
	s_wait_loadcnt 0x0
	v_cvt_f16_f32_e32 v0, v0
	v_cvt_f16_f32_e32 v1, v1
	s_delay_alu instid0(VALU_DEP_3) | instskip(NEXT) | instid1(VALU_DEP_2)
	v_pack_b32_f16 v2, v2, v3
	v_pack_b32_f16 v0, v0, v1
	s_delay_alu instid0(VALU_DEP_2)
	v_pk_mul_f16 v1, v2, s101
	scratch_load_b32 v2, off, off offset:320 ; 4-byte Folded Reload
	v_pk_mul_f16 v0, v0, s101
	s_wait_loadcnt 0x0
	ds_store_2addr_b32 v2, v1, v0 offset1:32
.LBB25_72:                              ;   in Loop: Header=BB25_9 Depth=1
	s_wait_alu 0xfffe
	s_or_b32 exec_lo, exec_lo, s3
	scratch_load_b32 v0, off, off offset:180 ; 4-byte Folded Reload
	s_wait_loadcnt 0x0
	v_add_nc_u32_e32 v252, s0, v0
	s_delay_alu instid0(VALU_DEP_1)
	v_cmp_le_i32_e32 vcc_lo, s24, v252
	s_or_b32 s1, vcc_lo, s1
	s_wait_alu 0xfffe
	s_and_saveexec_b32 s3, s1
	s_wait_alu 0xfffe
	s_xor_b32 s1, exec_lo, s3
	s_cbranch_execz .LBB25_74
; %bb.73:                               ;   in Loop: Header=BB25_9 Depth=1
	v_add_nc_u32_e32 v0, 0, v200
	s_delay_alu instid0(VALU_DEP_1) | instskip(NEXT) | instid1(VALU_DEP_1)
	v_add_nc_u32_e32 v0, v0, v30
	v_add_nc_u32_e32 v0, 0x2000, v0
	ds_store_2addr_b32 v0, v29, v29 offset0:128 offset1:160
.LBB25_74:                              ;   in Loop: Header=BB25_9 Depth=1
	s_wait_alu 0xfffe
	s_and_not1_saveexec_b32 s1, s1
	s_cbranch_execz .LBB25_76
; %bb.75:                               ;   in Loop: Header=BB25_9 Depth=1
	v_mad_co_u64_u32 v[0:1], null, v252, s33, v[32:33]
	s_delay_alu instid0(VALU_DEP_1) | instskip(NEXT) | instid1(VALU_DEP_1)
	v_ashrrev_i32_e32 v1, 31, v0
	v_lshlrev_b64_e32 v[0:1], 3, v[0:1]
	s_delay_alu instid0(VALU_DEP_1) | instskip(SKIP_1) | instid1(VALU_DEP_2)
	v_add_co_u32 v0, vcc_lo, s90, v0
	s_wait_alu 0xfffd
	v_add_co_ci_u32_e64 v1, null, s91, v1, vcc_lo
	s_clause 0x1
	global_load_b64 v[2:3], v[0:1], off
	global_load_b64 v[0:1], v[0:1], off offset:256
	s_wait_loadcnt 0x1
	v_cvt_f16_f32_e32 v2, v2
	v_cvt_f16_f32_e32 v3, v3
	s_wait_loadcnt 0x0
	v_cvt_f16_f32_e32 v0, v0
	v_cvt_f16_f32_e32 v1, v1
	s_delay_alu instid0(VALU_DEP_3) | instskip(NEXT) | instid1(VALU_DEP_2)
	v_pack_b32_f16 v2, v2, v3
	v_pack_b32_f16 v0, v0, v1
	s_delay_alu instid0(VALU_DEP_2)
	v_pk_mul_f16 v1, v2, s101
	scratch_load_b32 v2, off, off offset:324 ; 4-byte Folded Reload
	v_pk_mul_f16 v0, v0, s101
	s_wait_loadcnt 0x0
	ds_store_2addr_b32 v2, v1, v0 offset1:32
.LBB25_76:                              ;   in Loop: Header=BB25_9 Depth=1
	s_wait_alu 0xfffe
	s_or_b32 exec_lo, exec_lo, s1
	s_wait_storecnt_dscnt 0x0
	s_barrier_signal -1
	s_barrier_wait -1
	global_inv scope:SCOPE_SE
	scratch_load_b32 v0, off, off offset:112 ; 4-byte Folded Reload
	s_mov_b32 s1, -1
                                        ; implicit-def: $vgpr215_vgpr216
                                        ; implicit-def: $vgpr213_vgpr214
                                        ; implicit-def: $vgpr217_vgpr218
                                        ; implicit-def: $vgpr221_vgpr222
                                        ; implicit-def: $vgpr225_vgpr226
                                        ; implicit-def: $vgpr227_vgpr228
                                        ; implicit-def: $vgpr223_vgpr224
                                        ; implicit-def: $vgpr219_vgpr220
	s_wait_loadcnt 0x0
	ds_load_b128 v[92:95], v0
	ds_load_b128 v[88:91], v0 offset:32
	ds_load_b128 v[84:87], v0 offset:64
	ds_load_b128 v[80:83], v0 offset:96
	ds_load_b128 v[76:79], v0 offset:128
	ds_load_b128 v[72:75], v0 offset:160
	ds_load_b128 v[68:71], v0 offset:192
	ds_load_b128 v[64:67], v0 offset:224
	s_clause 0x1
	scratch_load_b32 v0, off, off offset:92
	scratch_load_b32 v6, off, off offset:80
	s_wait_loadcnt 0x1
	v_add_nc_u32_e32 v9, s0, v0
	scratch_load_b32 v0, off, off offset:88 ; 4-byte Folded Reload
	s_wait_loadcnt 0x1
	v_add_nc_u32_e32 v8, s0, v6
	s_wait_loadcnt_dscnt 0x0
	s_barrier_signal -1
	v_mul_hi_u32 v14, s36, v9
	s_barrier_wait -1
	v_mul_hi_u32 v15, s36, v8
	global_inv scope:SCOPE_SE
	v_add_nc_u32_e32 v5, s0, v0
	v_add_nc_u32_e32 v0, 12, v6
	s_delay_alu instid0(VALU_DEP_2) | instskip(NEXT) | instid1(VALU_DEP_2)
	v_mul_hi_u32 v12, s36, v5
	v_add_nc_u32_e32 v4, s0, v0
	v_add_nc_u32_e32 v0, 16, v6
	s_delay_alu instid0(VALU_DEP_2) | instskip(NEXT) | instid1(VALU_DEP_2)
	v_mul_hi_u32 v13, s36, v4
	;; [unrolled: 4-line block ×5, first 2 shown]
	v_add_nc_u32_e32 v0, s0, v0
	s_add_co_i32 s0, s44, -1
	s_wait_alu 0xfffe
	s_cmp_lt_i32 s51, s0
	s_delay_alu instid0(VALU_DEP_1)
	v_mul_hi_u32 v6, s36, v0
	s_cbranch_scc1 .LBB25_78
; %bb.77:                               ;   in Loop: Header=BB25_9 Depth=1
	v_add_nc_u32_e32 v16, v8, v15
	v_add_nc_u32_e32 v17, v9, v14
	v_add_nc_u32_e32 v18, v5, v12
	v_add_nc_u32_e32 v19, v4, v13
	v_add_nc_u32_e32 v20, v3, v11
	v_lshrrev_b32_e32 v16, s37, v16
	v_lshrrev_b32_e32 v17, s37, v17
	;; [unrolled: 1-line block ×3, first 2 shown]
	v_add_nc_u32_e32 v21, v2, v10
	v_lshrrev_b32_e32 v19, s37, v19
	v_mul_lo_u32 v16, v16, s24
	v_mul_lo_u32 v17, v17, s24
	;; [unrolled: 1-line block ×3, first 2 shown]
	v_add_nc_u32_e32 v22, v1, v7
	v_add_nc_u32_e32 v23, v0, v6
	v_lshrrev_b32_e32 v20, s37, v20
	v_lshrrev_b32_e32 v21, s37, v21
	v_mul_lo_u32 v19, v19, s24
	v_sub_nc_u32_e32 v16, v8, v16
	v_sub_nc_u32_e32 v17, v9, v17
	s_mov_b32 s1, 0
	s_delay_alu instid0(VALU_DEP_2) | instskip(NEXT) | instid1(VALU_DEP_2)
	v_mad_co_i64_i32 v[215:216], null, v16, s38, 0
	v_mad_co_i64_i32 v[213:214], null, v17, s38, 0
	v_sub_nc_u32_e32 v16, v5, v18
	v_mul_lo_u32 v17, v20, s24
	v_mul_lo_u32 v18, v21, s24
	v_lshrrev_b32_e32 v20, s37, v22
	v_lshrrev_b32_e32 v21, s37, v23
	v_mad_co_i64_i32 v[217:218], null, v16, s38, 0
	v_sub_nc_u32_e32 v16, v4, v19
	s_delay_alu instid0(VALU_DEP_4) | instskip(NEXT) | instid1(VALU_DEP_4)
	v_mul_lo_u32 v19, v20, s24
	v_mul_lo_u32 v20, v21, s24
	v_sub_nc_u32_e32 v17, v3, v17
	s_delay_alu instid0(VALU_DEP_4) | instskip(SKIP_1) | instid1(VALU_DEP_3)
	v_mad_co_i64_i32 v[221:222], null, v16, s38, 0
	v_sub_nc_u32_e32 v16, v2, v18
	v_mad_co_i64_i32 v[225:226], null, v17, s38, 0
	v_sub_nc_u32_e32 v17, v1, v19
	v_sub_nc_u32_e32 v18, v0, v20
	s_delay_alu instid0(VALU_DEP_4) | instskip(NEXT) | instid1(VALU_DEP_3)
	v_mad_co_i64_i32 v[227:228], null, v16, s38, 0
	v_mad_co_i64_i32 v[223:224], null, v17, s38, 0
	s_delay_alu instid0(VALU_DEP_3)
	v_mad_co_i64_i32 v[219:220], null, v18, s38, 0
.LBB25_78:                              ;   in Loop: Header=BB25_9 Depth=1
	s_wait_alu 0xfffe
	s_and_not1_b32 vcc_lo, exec_lo, s1
	s_clause 0xa
	scratch_store_b32 off, v39, off offset:196
	scratch_store_b32 off, v38, off offset:216
	;; [unrolled: 1-line block ×11, first 2 shown]
	s_wait_alu 0xfffe
	s_cbranch_vccnz .LBB25_211
; %bb.79:                               ;   in Loop: Header=BB25_9 Depth=1
	scratch_load_b32 v16, off, off offset:84 ; 4-byte Folded Reload
	v_add_nc_u32_e32 v15, v8, v15
	v_dual_mov_b32 v178, 0 :: v_dual_add_nc_u32 v13, v4, v13
	v_add_nc_u32_e32 v12, v5, v12
	v_add_nc_u32_e32 v14, v9, v14
	s_delay_alu instid0(VALU_DEP_4) | instskip(NEXT) | instid1(VALU_DEP_4)
	v_lshrrev_b32_e32 v15, s37, v15
	v_lshrrev_b32_e32 v13, s37, v13
	v_mov_b32_e32 v35, v178
	v_lshrrev_b32_e32 v12, s37, v12
	v_mov_b32_e32 v33, v178
	v_mul_lo_u32 v15, v15, s24
	v_lshrrev_b32_e32 v14, s37, v14
	v_dual_mov_b32 v36, 0 :: v_dual_add_nc_u32 v11, v3, v11
	v_mul_lo_u32 v12, v12, s24
	v_add_nc_u32_e32 v10, v2, v10
	s_delay_alu instid0(VALU_DEP_4)
	v_mul_lo_u32 v14, v14, s24
	v_dual_mov_b32 v180, 0xfeffffff :: v_dual_add_nc_u32 v7, v1, v7
	v_sub_nc_u32_e32 v8, v8, v15
	v_dual_mov_b32 v41, v178 :: v_dual_add_nc_u32 v6, v0, v6
	v_sub_nc_u32_e32 v5, v5, v12
	v_mov_b32_e32 v39, v36
	s_delay_alu instid0(VALU_DEP_4)
	v_mad_co_i64_i32 v[215:216], null, v8, s38, 0
	v_mul_lo_u32 v8, v13, s24
	v_lshrrev_b32_e32 v10, s37, v10
	v_lshrrev_b32_e32 v11, s37, v11
	v_sub_nc_u32_e32 v9, v9, v14
	v_lshrrev_b32_e32 v7, s37, v7
	v_lshrrev_b32_e32 v6, s37, v6
	v_mad_co_i64_i32 v[217:218], null, v5, s38, 0
	v_sub_nc_u32_e32 v4, v4, v8
	v_mul_lo_u32 v5, v10, s24
	v_mad_co_i64_i32 v[213:214], null, v9, s38, 0
	v_mul_lo_u32 v9, v11, s24
	v_mul_lo_u32 v7, v7, s24
	v_mad_co_i64_i32 v[221:222], null, v4, s38, 0
	v_mul_lo_u32 v4, v6, s24
	v_xor_b32_e32 v6, 16, v31
	v_sub_nc_u32_e32 v2, v2, v5
	v_dual_mov_b32 v32, 0 :: v_dual_mov_b32 v45, v36
	v_sub_nc_u32_e32 v3, v3, v9
	s_delay_alu instid0(VALU_DEP_4)
	v_cmp_gt_i32_e32 vcc_lo, 32, v6
	v_sub_nc_u32_e32 v1, v1, v7
	v_sub_nc_u32_e32 v0, v0, v4
	v_mad_co_i64_i32 v[227:228], null, v2, s38, 0
	s_wait_alu 0xfffd
	v_cndmask_b32_e32 v2, v31, v6, vcc_lo
	v_mad_co_i64_i32 v[225:226], null, v3, s38, 0
	v_mad_co_i64_i32 v[223:224], null, v1, s38, 0
	;; [unrolled: 1-line block ×3, first 2 shown]
	s_delay_alu instid0(VALU_DEP_4)
	v_dual_mov_b32 v43, v178 :: v_dual_lshlrev_b32 v212, 2, v2
	v_dual_mov_b32 v34, v178 :: v_dual_mov_b32 v47, v36
	v_dual_mov_b32 v38, v36 :: v_dual_mov_b32 v49, v178
	;; [unrolled: 1-line block ×9, first 2 shown]
	v_mov_b32_e32 v58, v36
	v_mov_b32_e32 v52, 0
	;; [unrolled: 1-line block ×5, first 2 shown]
	s_lshl_b32 s92, s51, 6
	s_wait_loadcnt 0x0
	v_dual_mov_b32 v37, v36 :: v_dual_lshlrev_b32 v16, 1, v16
	s_delay_alu instid0(VALU_DEP_1)
	v_add_co_u32 v242, s1, s80, v16
	s_wait_alu 0xf1ff
	v_add_co_ci_u32_e64 v176, null, s81, 0, s1
.LBB25_80:                              ;   Parent Loop BB25_9 Depth=1
                                        ; =>  This Inner Loop Header: Depth=2
	s_ashr_i32 s93, s92, 31
	v_lshlrev_b64_e32 v[0:1], 1, v[215:216]
	s_lshl_b64 s[4:5], s[92:93], 1
	v_lshlrev_b64_e32 v[2:3], 1, v[213:214]
	s_wait_alu 0xfffe
	v_add_co_u32 v16, vcc_lo, v242, s4
	s_wait_alu 0xfffd
	v_add_co_ci_u32_e64 v17, null, s5, v176, vcc_lo
	v_lshlrev_b64_e32 v[4:5], 1, v[217:218]
	s_delay_alu instid0(VALU_DEP_3)
	v_add_co_u32 v0, vcc_lo, v16, v0
	v_lshlrev_b64_e32 v[6:7], 1, v[221:222]
	s_wait_alu 0xfffd
	v_add_co_ci_u32_e64 v1, null, v17, v1, vcc_lo
	v_add_co_u32 v2, vcc_lo, v16, v2
	v_lshlrev_b64_e32 v[8:9], 1, v[225:226]
	s_wait_alu 0xfffd
	v_add_co_ci_u32_e64 v3, null, v17, v3, vcc_lo
	;; [unrolled: 4-line block ×5, first 2 shown]
	v_add_co_u32 v10, vcc_lo, v16, v10
	s_wait_alu 0xfffd
	v_add_co_ci_u32_e64 v11, null, v17, v11, vcc_lo
	v_add_co_u32 v12, vcc_lo, v16, v12
	s_wait_alu 0xfffd
	v_add_co_ci_u32_e64 v13, null, v17, v13, vcc_lo
	;; [unrolled: 3-line block ×3, first 2 shown]
	s_clause 0x7
	global_load_b32 v0, v[0:1], off
	global_load_b32 v1, v[2:3], off
	;; [unrolled: 1-line block ×8, first 2 shown]
	scratch_load_b32 v8, off, off           ; 4-byte Folded Reload
	v_add_nc_u32_e32 v9, 0, v200
	s_mul_u64 s[4:5], s[92:93], s[34:35]
                                        ; implicit-def: $vgpr179
	s_wait_alu 0xfffe
	s_lshl_b64 s[4:5], s[4:5], 2
	s_wait_alu 0xfffe
	s_add_nc_u64 s[4:5], s[78:79], s[4:5]
	s_wait_loadcnt 0x0
	v_add_nc_u32_e32 v8, v9, v8
	s_delay_alu instid0(VALU_DEP_1)
	v_add_nc_u32_e32 v9, 0x4400, v8
	ds_store_2addr_b32 v9, v0, v1 offset1:144
	v_add_nc_u32_e32 v0, 0x4800, v8
	ds_store_2addr_b32 v0, v2, v3 offset0:32 offset1:176
	v_add_nc_u32_e32 v0, 0x4c00, v8
	scratch_load_b64 v[2:3], off, off offset:12 ; 8-byte Folded Reload
	ds_store_2addr_b32 v0, v4, v5 offset0:64 offset1:208
	v_add_nc_u32_e32 v0, 0x5000, v8
	ds_store_2addr_b32 v0, v6, v7 offset0:96 offset1:240
	scratch_load_b64 v[0:1], off, off offset:4 ; 8-byte Folded Reload
	s_wait_loadcnt 0x0
	s_wait_alu 0xfffe
	v_add_co_u32 v0, vcc_lo, s4, v0
	s_wait_alu 0xfffd
	v_add_co_ci_u32_e64 v1, null, s5, v1, vcc_lo
	s_delay_alu instid0(VALU_DEP_2) | instskip(SKIP_1) | instid1(VALU_DEP_2)
	v_add_co_u32 v0, vcc_lo, v0, v240
	s_wait_alu 0xfffd
	v_add_co_ci_u32_e64 v1, null, 0, v1, vcc_lo
	v_add_co_u32 v2, vcc_lo, s4, v2
	s_wait_alu 0xfffd
	v_add_co_ci_u32_e64 v3, null, s5, v3, vcc_lo
	s_delay_alu instid0(VALU_DEP_2) | instskip(SKIP_1) | instid1(VALU_DEP_2)
	v_add_co_u32 v4, vcc_lo, v2, v240
	s_wait_alu 0xfffd
	v_add_co_ci_u32_e64 v5, null, 0, v3, vcc_lo
	s_clause 0x1
	global_load_b128 v[0:3], v[0:1], off
	global_load_b128 v[4:7], v[4:5], off
	s_wait_loadcnt 0x1
	ds_store_b128 v201, v[0:3]
	s_wait_loadcnt 0x0
	ds_store_b128 v188, v[4:7]
	s_clause 0x1
	scratch_load_b64 v[0:1], off, off offset:20
	scratch_load_b64 v[2:3], off, off offset:28
	s_wait_loadcnt 0x1
	v_add_co_u32 v0, vcc_lo, s4, v0
	s_wait_alu 0xfffd
	v_add_co_ci_u32_e64 v1, null, s5, v1, vcc_lo
	s_delay_alu instid0(VALU_DEP_2) | instskip(SKIP_1) | instid1(VALU_DEP_2)
	v_add_co_u32 v0, vcc_lo, v0, v240
	s_wait_alu 0xfffd
	v_add_co_ci_u32_e64 v1, null, 0, v1, vcc_lo
	s_wait_loadcnt 0x0
	v_add_co_u32 v2, vcc_lo, s4, v2
	s_wait_alu 0xfffd
	v_add_co_ci_u32_e64 v3, null, s5, v3, vcc_lo
	s_delay_alu instid0(VALU_DEP_2) | instskip(SKIP_1) | instid1(VALU_DEP_2)
	v_add_co_u32 v4, vcc_lo, v2, v240
	s_wait_alu 0xfffd
	v_add_co_ci_u32_e64 v5, null, 0, v3, vcc_lo
	s_clause 0x1
	global_load_b128 v[0:3], v[0:1], off
	global_load_b128 v[4:7], v[4:5], off
	s_wait_loadcnt 0x1
	ds_store_b128 v189, v[0:3]
	s_wait_loadcnt 0x0
	ds_store_b128 v191, v[4:7]
	s_clause 0x1
	scratch_load_b64 v[0:1], off, off offset:36
	scratch_load_b64 v[2:3], off, off offset:44
	s_wait_loadcnt 0x1
	v_add_co_u32 v0, vcc_lo, s4, v0
	s_wait_alu 0xfffd
	v_add_co_ci_u32_e64 v1, null, s5, v1, vcc_lo
	s_delay_alu instid0(VALU_DEP_2) | instskip(SKIP_1) | instid1(VALU_DEP_2)
	v_add_co_u32 v0, vcc_lo, v0, v240
	s_wait_alu 0xfffd
	v_add_co_ci_u32_e64 v1, null, 0, v1, vcc_lo
	s_wait_loadcnt 0x0
	;; [unrolled: 26-line block ×3, first 2 shown]
	v_add_co_u32 v2, vcc_lo, s4, v2
	s_wait_alu 0xfffd
	v_add_co_ci_u32_e64 v3, null, s5, v3, vcc_lo
	s_delay_alu instid0(VALU_DEP_2) | instskip(SKIP_1) | instid1(VALU_DEP_2)
	v_add_co_u32 v4, vcc_lo, v2, v240
	s_wait_alu 0xfffd
	v_add_co_ci_u32_e64 v5, null, 0, v3, vcc_lo
	s_clause 0x1
	global_load_b128 v[0:3], v[0:1], off
	global_load_b128 v[4:7], v[4:5], off
	s_wait_loadcnt 0x1
	ds_store_b128 v192, v[0:3]
	s_wait_loadcnt 0x0
	ds_store_b128 v195, v[4:7]
	s_wait_storecnt_dscnt 0x0
	s_barrier_signal -1
	s_barrier_wait -1
	global_inv scope:SCOPE_SE
	ds_load_b128 v[8:11], v253
	ds_load_b128 v[12:15], v253 offset:32
	s_wait_dscnt 0x1
	v_wmma_f32_16x16x16_f16 v[0:7], v[8:11], v[92:95], 0
	s_wait_dscnt 0x0
	s_delay_alu instid0(VALU_DEP_1)
	v_wmma_f32_16x16x16_f16 v[0:7], v[12:15], v[88:91], v[0:7]
	ds_load_b128 v[8:11], v253 offset:64
	ds_load_b128 v[12:15], v253 offset:96
	s_wait_dscnt 0x1
	v_wmma_f32_16x16x16_f16 v[0:7], v[8:11], v[84:87], v[0:7]
	s_wait_dscnt 0x0
	s_delay_alu instid0(VALU_DEP_1)
	v_wmma_f32_16x16x16_f16 v[0:7], v[12:15], v[80:83], v[0:7]
	ds_load_b128 v[8:11], v253 offset:128
	;; [unrolled: 7-line block ×3, first 2 shown]
	ds_load_b128 v[12:15], v253 offset:224
	ds_load_b128 v[172:175], v253 offset:4352
	;; [unrolled: 1-line block ×25, first 2 shown]
	s_wait_loadcnt_dscnt 0x0
	s_barrier_signal -1
	s_barrier_wait -1
	global_inv scope:SCOPE_SE
	v_wmma_f32_16x16x16_f16 v[0:7], v[8:11], v[68:71], v[0:7]
	s_delay_alu instid0(VALU_DEP_1) | instskip(NEXT) | instid1(VALU_DEP_1)
	v_wmma_f32_16x16x16_f16 v[0:7], v[12:15], v[64:67], v[0:7]
	v_cmp_ngt_f32_e64 s1, 0x3f200000, |v0|
	s_and_saveexec_b32 s3, s1
	s_wait_alu 0xfffe
	s_xor_b32 s1, exec_lo, s3
	s_cbranch_execz .LBB25_82
; %bb.81:                               ;   in Loop: Header=BB25_80 Depth=2
	v_add_f32_e64 v8, |v0|, |v0|
	s_delay_alu instid0(VALU_DEP_1) | instskip(SKIP_1) | instid1(VALU_DEP_2)
	v_mul_f32_e32 v9, 0x3fb8aa3b, v8
	v_cmp_ngt_f32_e32 vcc_lo, 0xc2ce8ed0, v8
	v_rndne_f32_e32 v10, v9
	v_fma_f32 v11, 0x3fb8aa3b, v8, -v9
	s_delay_alu instid0(VALU_DEP_2) | instskip(NEXT) | instid1(VALU_DEP_2)
	v_sub_f32_e32 v9, v9, v10
	v_fmac_f32_e32 v11, 0x32a5705f, v8
	v_cvt_i32_f32_e32 v10, v10
	s_delay_alu instid0(VALU_DEP_2) | instskip(NEXT) | instid1(VALU_DEP_1)
	v_add_f32_e32 v9, v9, v11
	v_exp_f32_e32 v9, v9
	s_delay_alu instid0(TRANS32_DEP_1) | instskip(SKIP_1) | instid1(VALU_DEP_1)
	v_ldexp_f32 v9, v9, v10
	s_wait_alu 0xfffd
	v_cndmask_b32_e32 v9, 0, v9, vcc_lo
	v_cmp_nlt_f32_e32 vcc_lo, 0x42b17218, v8
	s_wait_alu 0xfffd
	s_delay_alu instid0(VALU_DEP_2) | instskip(NEXT) | instid1(VALU_DEP_1)
	v_cndmask_b32_e32 v8, 0x7f800000, v9, vcc_lo
	v_add_f32_e32 v8, 1.0, v8
	s_delay_alu instid0(VALU_DEP_1) | instskip(NEXT) | instid1(TRANS32_DEP_1)
	v_rcp_f32_e32 v8, v8
	v_fma_f32 v179, v8, -2.0, 1.0
.LBB25_82:                              ;   in Loop: Header=BB25_80 Depth=2
	s_wait_alu 0xfffe
	s_and_not1_saveexec_b32 s1, s1
	s_cbranch_execz .LBB25_84
; %bb.83:                               ;   in Loop: Header=BB25_80 Depth=2
	v_mul_f32_e32 v8, v0, v0
	s_delay_alu instid0(VALU_DEP_1) | instskip(NEXT) | instid1(VALU_DEP_1)
	v_fmaak_f32 v9, s39, v8, 0x3ca908c9
	v_fmaak_f32 v9, v8, v9, 0xbd5c1c4e
	s_delay_alu instid0(VALU_DEP_1) | instskip(NEXT) | instid1(VALU_DEP_1)
	v_fmaak_f32 v9, v8, v9, 0x3e088382
	v_fmaak_f32 v9, v8, v9, 0xbeaaaa99
	s_delay_alu instid0(VALU_DEP_1) | instskip(NEXT) | instid1(VALU_DEP_1)
	v_mul_f32_e64 v9, |v0|, v9
	v_fma_f32 v179, v8, v9, |v0|
.LBB25_84:                              ;   in Loop: Header=BB25_80 Depth=2
	s_wait_alu 0xfffe
	s_or_b32 exec_lo, exec_lo, s1
	v_cmp_ngt_f32_e64 s1, 0x3f200000, |v1|
                                        ; implicit-def: $vgpr181
	s_and_saveexec_b32 s3, s1
	s_wait_alu 0xfffe
	s_xor_b32 s1, exec_lo, s3
	s_cbranch_execz .LBB25_86
; %bb.85:                               ;   in Loop: Header=BB25_80 Depth=2
	v_add_f32_e64 v8, |v1|, |v1|
	s_delay_alu instid0(VALU_DEP_1) | instskip(SKIP_1) | instid1(VALU_DEP_2)
	v_mul_f32_e32 v9, 0x3fb8aa3b, v8
	v_cmp_ngt_f32_e32 vcc_lo, 0xc2ce8ed0, v8
	v_rndne_f32_e32 v10, v9
	v_fma_f32 v11, 0x3fb8aa3b, v8, -v9
	s_delay_alu instid0(VALU_DEP_2) | instskip(NEXT) | instid1(VALU_DEP_2)
	v_sub_f32_e32 v9, v9, v10
	v_fmac_f32_e32 v11, 0x32a5705f, v8
	v_cvt_i32_f32_e32 v10, v10
	s_delay_alu instid0(VALU_DEP_2) | instskip(NEXT) | instid1(VALU_DEP_1)
	v_add_f32_e32 v9, v9, v11
	v_exp_f32_e32 v9, v9
	s_delay_alu instid0(TRANS32_DEP_1) | instskip(SKIP_1) | instid1(VALU_DEP_1)
	v_ldexp_f32 v9, v9, v10
	s_wait_alu 0xfffd
	v_cndmask_b32_e32 v9, 0, v9, vcc_lo
	v_cmp_nlt_f32_e32 vcc_lo, 0x42b17218, v8
	s_wait_alu 0xfffd
	s_delay_alu instid0(VALU_DEP_2) | instskip(NEXT) | instid1(VALU_DEP_1)
	v_cndmask_b32_e32 v8, 0x7f800000, v9, vcc_lo
	v_add_f32_e32 v8, 1.0, v8
	s_delay_alu instid0(VALU_DEP_1) | instskip(NEXT) | instid1(TRANS32_DEP_1)
	v_rcp_f32_e32 v8, v8
	v_fma_f32 v181, v8, -2.0, 1.0
.LBB25_86:                              ;   in Loop: Header=BB25_80 Depth=2
	s_wait_alu 0xfffe
	s_and_not1_saveexec_b32 s1, s1
	s_cbranch_execz .LBB25_88
; %bb.87:                               ;   in Loop: Header=BB25_80 Depth=2
	v_mul_f32_e32 v8, v1, v1
	s_delay_alu instid0(VALU_DEP_1) | instskip(NEXT) | instid1(VALU_DEP_1)
	v_fmaak_f32 v9, s39, v8, 0x3ca908c9
	v_fmaak_f32 v9, v8, v9, 0xbd5c1c4e
	s_delay_alu instid0(VALU_DEP_1) | instskip(NEXT) | instid1(VALU_DEP_1)
	v_fmaak_f32 v9, v8, v9, 0x3e088382
	v_fmaak_f32 v9, v8, v9, 0xbeaaaa99
	s_delay_alu instid0(VALU_DEP_1) | instskip(NEXT) | instid1(VALU_DEP_1)
	v_mul_f32_e64 v9, |v1|, v9
	v_fma_f32 v181, v8, v9, |v1|
.LBB25_88:                              ;   in Loop: Header=BB25_80 Depth=2
	s_wait_alu 0xfffe
	s_or_b32 exec_lo, exec_lo, s1
	v_cmp_ngt_f32_e64 s1, 0x3f200000, |v2|
                                        ; implicit-def: $vgpr182
	s_and_saveexec_b32 s3, s1
	s_wait_alu 0xfffe
	s_xor_b32 s1, exec_lo, s3
	s_cbranch_execz .LBB25_90
; %bb.89:                               ;   in Loop: Header=BB25_80 Depth=2
	v_add_f32_e64 v8, |v2|, |v2|
	s_delay_alu instid0(VALU_DEP_1) | instskip(SKIP_1) | instid1(VALU_DEP_2)
	v_mul_f32_e32 v9, 0x3fb8aa3b, v8
	v_cmp_ngt_f32_e32 vcc_lo, 0xc2ce8ed0, v8
	v_rndne_f32_e32 v10, v9
	v_fma_f32 v11, 0x3fb8aa3b, v8, -v9
	s_delay_alu instid0(VALU_DEP_2) | instskip(NEXT) | instid1(VALU_DEP_2)
	v_sub_f32_e32 v9, v9, v10
	v_fmac_f32_e32 v11, 0x32a5705f, v8
	v_cvt_i32_f32_e32 v10, v10
	s_delay_alu instid0(VALU_DEP_2) | instskip(NEXT) | instid1(VALU_DEP_1)
	v_add_f32_e32 v9, v9, v11
	v_exp_f32_e32 v9, v9
	s_delay_alu instid0(TRANS32_DEP_1) | instskip(SKIP_1) | instid1(VALU_DEP_1)
	v_ldexp_f32 v9, v9, v10
	s_wait_alu 0xfffd
	v_cndmask_b32_e32 v9, 0, v9, vcc_lo
	v_cmp_nlt_f32_e32 vcc_lo, 0x42b17218, v8
	s_wait_alu 0xfffd
	s_delay_alu instid0(VALU_DEP_2) | instskip(NEXT) | instid1(VALU_DEP_1)
	v_cndmask_b32_e32 v8, 0x7f800000, v9, vcc_lo
	v_add_f32_e32 v8, 1.0, v8
	s_delay_alu instid0(VALU_DEP_1) | instskip(NEXT) | instid1(TRANS32_DEP_1)
	v_rcp_f32_e32 v8, v8
	v_fma_f32 v182, v8, -2.0, 1.0
.LBB25_90:                              ;   in Loop: Header=BB25_80 Depth=2
	s_wait_alu 0xfffe
	s_and_not1_saveexec_b32 s1, s1
	s_cbranch_execz .LBB25_92
; %bb.91:                               ;   in Loop: Header=BB25_80 Depth=2
	v_mul_f32_e32 v8, v2, v2
	s_delay_alu instid0(VALU_DEP_1) | instskip(NEXT) | instid1(VALU_DEP_1)
	v_fmaak_f32 v9, s39, v8, 0x3ca908c9
	v_fmaak_f32 v9, v8, v9, 0xbd5c1c4e
	s_delay_alu instid0(VALU_DEP_1) | instskip(NEXT) | instid1(VALU_DEP_1)
	v_fmaak_f32 v9, v8, v9, 0x3e088382
	v_fmaak_f32 v9, v8, v9, 0xbeaaaa99
	s_delay_alu instid0(VALU_DEP_1) | instskip(NEXT) | instid1(VALU_DEP_1)
	v_mul_f32_e64 v9, |v2|, v9
	v_fma_f32 v182, v8, v9, |v2|
.LBB25_92:                              ;   in Loop: Header=BB25_80 Depth=2
	s_wait_alu 0xfffe
	s_or_b32 exec_lo, exec_lo, s1
	v_cmp_ngt_f32_e64 s1, 0x3f200000, |v3|
                                        ; implicit-def: $vgpr183
	s_and_saveexec_b32 s3, s1
	s_wait_alu 0xfffe
	s_xor_b32 s1, exec_lo, s3
	s_cbranch_execz .LBB25_94
; %bb.93:                               ;   in Loop: Header=BB25_80 Depth=2
	v_add_f32_e64 v8, |v3|, |v3|
	s_delay_alu instid0(VALU_DEP_1) | instskip(SKIP_1) | instid1(VALU_DEP_2)
	v_mul_f32_e32 v9, 0x3fb8aa3b, v8
	v_cmp_ngt_f32_e32 vcc_lo, 0xc2ce8ed0, v8
	v_rndne_f32_e32 v10, v9
	v_fma_f32 v11, 0x3fb8aa3b, v8, -v9
	s_delay_alu instid0(VALU_DEP_2) | instskip(NEXT) | instid1(VALU_DEP_2)
	v_sub_f32_e32 v9, v9, v10
	v_fmac_f32_e32 v11, 0x32a5705f, v8
	v_cvt_i32_f32_e32 v10, v10
	s_delay_alu instid0(VALU_DEP_2) | instskip(NEXT) | instid1(VALU_DEP_1)
	v_add_f32_e32 v9, v9, v11
	v_exp_f32_e32 v9, v9
	s_delay_alu instid0(TRANS32_DEP_1) | instskip(SKIP_1) | instid1(VALU_DEP_1)
	v_ldexp_f32 v9, v9, v10
	s_wait_alu 0xfffd
	v_cndmask_b32_e32 v9, 0, v9, vcc_lo
	v_cmp_nlt_f32_e32 vcc_lo, 0x42b17218, v8
	s_wait_alu 0xfffd
	s_delay_alu instid0(VALU_DEP_2) | instskip(NEXT) | instid1(VALU_DEP_1)
	v_cndmask_b32_e32 v8, 0x7f800000, v9, vcc_lo
	v_add_f32_e32 v8, 1.0, v8
	s_delay_alu instid0(VALU_DEP_1) | instskip(NEXT) | instid1(TRANS32_DEP_1)
	v_rcp_f32_e32 v8, v8
	v_fma_f32 v183, v8, -2.0, 1.0
.LBB25_94:                              ;   in Loop: Header=BB25_80 Depth=2
	s_wait_alu 0xfffe
	s_and_not1_saveexec_b32 s1, s1
	s_cbranch_execz .LBB25_96
; %bb.95:                               ;   in Loop: Header=BB25_80 Depth=2
	v_mul_f32_e32 v8, v3, v3
	s_delay_alu instid0(VALU_DEP_1) | instskip(NEXT) | instid1(VALU_DEP_1)
	v_fmaak_f32 v9, s39, v8, 0x3ca908c9
	v_fmaak_f32 v9, v8, v9, 0xbd5c1c4e
	s_delay_alu instid0(VALU_DEP_1) | instskip(NEXT) | instid1(VALU_DEP_1)
	v_fmaak_f32 v9, v8, v9, 0x3e088382
	v_fmaak_f32 v9, v8, v9, 0xbeaaaa99
	s_delay_alu instid0(VALU_DEP_1) | instskip(NEXT) | instid1(VALU_DEP_1)
	v_mul_f32_e64 v9, |v3|, v9
	v_fma_f32 v183, v8, v9, |v3|
.LBB25_96:                              ;   in Loop: Header=BB25_80 Depth=2
	s_wait_alu 0xfffe
	s_or_b32 exec_lo, exec_lo, s1
	v_cmp_ngt_f32_e64 s1, 0x3f200000, |v4|
                                        ; implicit-def: $vgpr184
	s_and_saveexec_b32 s3, s1
	s_wait_alu 0xfffe
	s_xor_b32 s1, exec_lo, s3
	s_cbranch_execz .LBB25_98
; %bb.97:                               ;   in Loop: Header=BB25_80 Depth=2
	v_add_f32_e64 v8, |v4|, |v4|
	s_delay_alu instid0(VALU_DEP_1) | instskip(SKIP_1) | instid1(VALU_DEP_2)
	v_mul_f32_e32 v9, 0x3fb8aa3b, v8
	v_cmp_ngt_f32_e32 vcc_lo, 0xc2ce8ed0, v8
	v_rndne_f32_e32 v10, v9
	v_fma_f32 v11, 0x3fb8aa3b, v8, -v9
	s_delay_alu instid0(VALU_DEP_2) | instskip(NEXT) | instid1(VALU_DEP_2)
	v_sub_f32_e32 v9, v9, v10
	v_fmac_f32_e32 v11, 0x32a5705f, v8
	v_cvt_i32_f32_e32 v10, v10
	s_delay_alu instid0(VALU_DEP_2) | instskip(NEXT) | instid1(VALU_DEP_1)
	v_add_f32_e32 v9, v9, v11
	v_exp_f32_e32 v9, v9
	s_delay_alu instid0(TRANS32_DEP_1) | instskip(SKIP_1) | instid1(VALU_DEP_1)
	v_ldexp_f32 v9, v9, v10
	s_wait_alu 0xfffd
	v_cndmask_b32_e32 v9, 0, v9, vcc_lo
	v_cmp_nlt_f32_e32 vcc_lo, 0x42b17218, v8
	s_wait_alu 0xfffd
	s_delay_alu instid0(VALU_DEP_2) | instskip(NEXT) | instid1(VALU_DEP_1)
	v_cndmask_b32_e32 v8, 0x7f800000, v9, vcc_lo
	v_add_f32_e32 v8, 1.0, v8
	s_delay_alu instid0(VALU_DEP_1) | instskip(NEXT) | instid1(TRANS32_DEP_1)
	v_rcp_f32_e32 v8, v8
	v_fma_f32 v184, v8, -2.0, 1.0
.LBB25_98:                              ;   in Loop: Header=BB25_80 Depth=2
	s_wait_alu 0xfffe
	s_and_not1_saveexec_b32 s1, s1
	s_cbranch_execz .LBB25_100
; %bb.99:                               ;   in Loop: Header=BB25_80 Depth=2
	v_mul_f32_e32 v8, v4, v4
	s_delay_alu instid0(VALU_DEP_1) | instskip(NEXT) | instid1(VALU_DEP_1)
	v_fmaak_f32 v9, s39, v8, 0x3ca908c9
	v_fmaak_f32 v9, v8, v9, 0xbd5c1c4e
	s_delay_alu instid0(VALU_DEP_1) | instskip(NEXT) | instid1(VALU_DEP_1)
	v_fmaak_f32 v9, v8, v9, 0x3e088382
	v_fmaak_f32 v9, v8, v9, 0xbeaaaa99
	s_delay_alu instid0(VALU_DEP_1) | instskip(NEXT) | instid1(VALU_DEP_1)
	v_mul_f32_e64 v9, |v4|, v9
	v_fma_f32 v184, v8, v9, |v4|
.LBB25_100:                             ;   in Loop: Header=BB25_80 Depth=2
	s_wait_alu 0xfffe
	s_or_b32 exec_lo, exec_lo, s1
	v_cmp_ngt_f32_e64 s1, 0x3f200000, |v5|
                                        ; implicit-def: $vgpr185
	s_and_saveexec_b32 s3, s1
	s_wait_alu 0xfffe
	s_xor_b32 s1, exec_lo, s3
	s_cbranch_execz .LBB25_102
; %bb.101:                              ;   in Loop: Header=BB25_80 Depth=2
	v_add_f32_e64 v8, |v5|, |v5|
	s_delay_alu instid0(VALU_DEP_1) | instskip(SKIP_1) | instid1(VALU_DEP_2)
	v_mul_f32_e32 v9, 0x3fb8aa3b, v8
	v_cmp_ngt_f32_e32 vcc_lo, 0xc2ce8ed0, v8
	v_rndne_f32_e32 v10, v9
	v_fma_f32 v11, 0x3fb8aa3b, v8, -v9
	s_delay_alu instid0(VALU_DEP_2) | instskip(NEXT) | instid1(VALU_DEP_2)
	v_sub_f32_e32 v9, v9, v10
	v_fmac_f32_e32 v11, 0x32a5705f, v8
	v_cvt_i32_f32_e32 v10, v10
	s_delay_alu instid0(VALU_DEP_2) | instskip(NEXT) | instid1(VALU_DEP_1)
	v_add_f32_e32 v9, v9, v11
	v_exp_f32_e32 v9, v9
	s_delay_alu instid0(TRANS32_DEP_1) | instskip(SKIP_1) | instid1(VALU_DEP_1)
	v_ldexp_f32 v9, v9, v10
	s_wait_alu 0xfffd
	v_cndmask_b32_e32 v9, 0, v9, vcc_lo
	v_cmp_nlt_f32_e32 vcc_lo, 0x42b17218, v8
	s_wait_alu 0xfffd
	s_delay_alu instid0(VALU_DEP_2) | instskip(NEXT) | instid1(VALU_DEP_1)
	v_cndmask_b32_e32 v8, 0x7f800000, v9, vcc_lo
	v_add_f32_e32 v8, 1.0, v8
	s_delay_alu instid0(VALU_DEP_1) | instskip(NEXT) | instid1(TRANS32_DEP_1)
	v_rcp_f32_e32 v8, v8
	v_fma_f32 v185, v8, -2.0, 1.0
.LBB25_102:                             ;   in Loop: Header=BB25_80 Depth=2
	s_wait_alu 0xfffe
	s_and_not1_saveexec_b32 s1, s1
	s_cbranch_execz .LBB25_104
; %bb.103:                              ;   in Loop: Header=BB25_80 Depth=2
	v_mul_f32_e32 v8, v5, v5
	s_delay_alu instid0(VALU_DEP_1) | instskip(NEXT) | instid1(VALU_DEP_1)
	v_fmaak_f32 v9, s39, v8, 0x3ca908c9
	v_fmaak_f32 v9, v8, v9, 0xbd5c1c4e
	s_delay_alu instid0(VALU_DEP_1) | instskip(NEXT) | instid1(VALU_DEP_1)
	v_fmaak_f32 v9, v8, v9, 0x3e088382
	v_fmaak_f32 v9, v8, v9, 0xbeaaaa99
	s_delay_alu instid0(VALU_DEP_1) | instskip(NEXT) | instid1(VALU_DEP_1)
	v_mul_f32_e64 v9, |v5|, v9
	v_fma_f32 v185, v8, v9, |v5|
.LBB25_104:                             ;   in Loop: Header=BB25_80 Depth=2
	s_wait_alu 0xfffe
	s_or_b32 exec_lo, exec_lo, s1
	v_cmp_ngt_f32_e64 s1, 0x3f200000, |v6|
                                        ; implicit-def: $vgpr186
	s_and_saveexec_b32 s3, s1
	s_wait_alu 0xfffe
	s_xor_b32 s1, exec_lo, s3
	s_cbranch_execz .LBB25_106
; %bb.105:                              ;   in Loop: Header=BB25_80 Depth=2
	v_add_f32_e64 v8, |v6|, |v6|
	s_delay_alu instid0(VALU_DEP_1) | instskip(SKIP_1) | instid1(VALU_DEP_2)
	v_mul_f32_e32 v9, 0x3fb8aa3b, v8
	v_cmp_ngt_f32_e32 vcc_lo, 0xc2ce8ed0, v8
	v_rndne_f32_e32 v10, v9
	v_fma_f32 v11, 0x3fb8aa3b, v8, -v9
	s_delay_alu instid0(VALU_DEP_2) | instskip(NEXT) | instid1(VALU_DEP_2)
	v_sub_f32_e32 v9, v9, v10
	v_fmac_f32_e32 v11, 0x32a5705f, v8
	v_cvt_i32_f32_e32 v10, v10
	s_delay_alu instid0(VALU_DEP_2) | instskip(NEXT) | instid1(VALU_DEP_1)
	v_add_f32_e32 v9, v9, v11
	v_exp_f32_e32 v9, v9
	s_delay_alu instid0(TRANS32_DEP_1) | instskip(SKIP_1) | instid1(VALU_DEP_1)
	v_ldexp_f32 v9, v9, v10
	s_wait_alu 0xfffd
	v_cndmask_b32_e32 v9, 0, v9, vcc_lo
	v_cmp_nlt_f32_e32 vcc_lo, 0x42b17218, v8
	s_wait_alu 0xfffd
	s_delay_alu instid0(VALU_DEP_2) | instskip(NEXT) | instid1(VALU_DEP_1)
	v_cndmask_b32_e32 v8, 0x7f800000, v9, vcc_lo
	v_add_f32_e32 v8, 1.0, v8
	s_delay_alu instid0(VALU_DEP_1) | instskip(NEXT) | instid1(TRANS32_DEP_1)
	v_rcp_f32_e32 v8, v8
	v_fma_f32 v186, v8, -2.0, 1.0
.LBB25_106:                             ;   in Loop: Header=BB25_80 Depth=2
	s_wait_alu 0xfffe
	s_and_not1_saveexec_b32 s1, s1
	s_cbranch_execz .LBB25_108
; %bb.107:                              ;   in Loop: Header=BB25_80 Depth=2
	v_mul_f32_e32 v8, v6, v6
	s_delay_alu instid0(VALU_DEP_1) | instskip(NEXT) | instid1(VALU_DEP_1)
	v_fmaak_f32 v9, s39, v8, 0x3ca908c9
	v_fmaak_f32 v9, v8, v9, 0xbd5c1c4e
	s_delay_alu instid0(VALU_DEP_1) | instskip(NEXT) | instid1(VALU_DEP_1)
	v_fmaak_f32 v9, v8, v9, 0x3e088382
	v_fmaak_f32 v9, v8, v9, 0xbeaaaa99
	s_delay_alu instid0(VALU_DEP_1) | instskip(NEXT) | instid1(VALU_DEP_1)
	v_mul_f32_e64 v9, |v6|, v9
	v_fma_f32 v186, v8, v9, |v6|
.LBB25_108:                             ;   in Loop: Header=BB25_80 Depth=2
	s_wait_alu 0xfffe
	s_or_b32 exec_lo, exec_lo, s1
	v_cmp_ngt_f32_e64 s1, 0x3f200000, |v7|
                                        ; implicit-def: $vgpr187
	s_and_saveexec_b32 s3, s1
	s_wait_alu 0xfffe
	s_xor_b32 s1, exec_lo, s3
	s_cbranch_execz .LBB25_110
; %bb.109:                              ;   in Loop: Header=BB25_80 Depth=2
	v_add_f32_e64 v8, |v7|, |v7|
	s_delay_alu instid0(VALU_DEP_1) | instskip(SKIP_1) | instid1(VALU_DEP_2)
	v_mul_f32_e32 v9, 0x3fb8aa3b, v8
	v_cmp_ngt_f32_e32 vcc_lo, 0xc2ce8ed0, v8
	v_rndne_f32_e32 v10, v9
	v_fma_f32 v11, 0x3fb8aa3b, v8, -v9
	s_delay_alu instid0(VALU_DEP_2) | instskip(NEXT) | instid1(VALU_DEP_2)
	v_sub_f32_e32 v9, v9, v10
	v_fmac_f32_e32 v11, 0x32a5705f, v8
	v_cvt_i32_f32_e32 v10, v10
	s_delay_alu instid0(VALU_DEP_2) | instskip(NEXT) | instid1(VALU_DEP_1)
	v_add_f32_e32 v9, v9, v11
	v_exp_f32_e32 v9, v9
	s_delay_alu instid0(TRANS32_DEP_1) | instskip(SKIP_1) | instid1(VALU_DEP_1)
	v_ldexp_f32 v9, v9, v10
	s_wait_alu 0xfffd
	v_cndmask_b32_e32 v9, 0, v9, vcc_lo
	v_cmp_nlt_f32_e32 vcc_lo, 0x42b17218, v8
	s_wait_alu 0xfffd
	s_delay_alu instid0(VALU_DEP_2) | instskip(NEXT) | instid1(VALU_DEP_1)
	v_cndmask_b32_e32 v8, 0x7f800000, v9, vcc_lo
	v_add_f32_e32 v8, 1.0, v8
	s_delay_alu instid0(VALU_DEP_1) | instskip(NEXT) | instid1(TRANS32_DEP_1)
	v_rcp_f32_e32 v8, v8
	v_fma_f32 v187, v8, -2.0, 1.0
.LBB25_110:                             ;   in Loop: Header=BB25_80 Depth=2
	s_wait_alu 0xfffe
	s_and_not1_saveexec_b32 s1, s1
	s_cbranch_execz .LBB25_112
; %bb.111:                              ;   in Loop: Header=BB25_80 Depth=2
	v_mul_f32_e32 v8, v7, v7
	s_delay_alu instid0(VALU_DEP_1) | instskip(NEXT) | instid1(VALU_DEP_1)
	v_fmaak_f32 v9, s39, v8, 0x3ca908c9
	v_fmaak_f32 v9, v8, v9, 0xbd5c1c4e
	s_delay_alu instid0(VALU_DEP_1) | instskip(NEXT) | instid1(VALU_DEP_1)
	v_fmaak_f32 v9, v8, v9, 0x3e088382
	v_fmaak_f32 v9, v8, v9, 0xbeaaaa99
	s_delay_alu instid0(VALU_DEP_1) | instskip(NEXT) | instid1(VALU_DEP_1)
	v_mul_f32_e64 v9, |v7|, v9
	v_fma_f32 v187, v8, v9, |v7|
.LBB25_112:                             ;   in Loop: Header=BB25_80 Depth=2
	s_wait_alu 0xfffe
	s_or_b32 exec_lo, exec_lo, s1
	v_wmma_f32_16x16x16_f16 v[8:15], v[172:175], v[92:95], 0
	s_delay_alu instid0(VALU_DEP_1) | instskip(NEXT) | instid1(VALU_DEP_1)
	v_wmma_f32_16x16x16_f16 v[8:15], v[168:171], v[88:91], v[8:15]
	v_wmma_f32_16x16x16_f16 v[8:15], v[164:167], v[84:87], v[8:15]
	s_delay_alu instid0(VALU_DEP_1) | instskip(NEXT) | instid1(VALU_DEP_1)
	v_wmma_f32_16x16x16_f16 v[8:15], v[160:163], v[80:83], v[8:15]
	;; [unrolled: 3-line block ×3, first 2 shown]
                                        ; implicit-def: $vgpr152
	v_wmma_f32_16x16x16_f16 v[8:15], v[20:23], v[68:71], v[8:15]
	s_delay_alu instid0(VALU_DEP_1) | instskip(NEXT) | instid1(VALU_DEP_1)
	v_wmma_f32_16x16x16_f16 v[8:15], v[16:19], v[64:67], v[8:15]
	v_cmp_ngt_f32_e64 s1, 0x3f200000, |v8|
	s_and_saveexec_b32 s3, s1
	s_wait_alu 0xfffe
	s_xor_b32 s1, exec_lo, s3
	s_cbranch_execz .LBB25_114
; %bb.113:                              ;   in Loop: Header=BB25_80 Depth=2
	v_add_f32_e64 v16, |v8|, |v8|
	s_delay_alu instid0(VALU_DEP_1) | instskip(SKIP_1) | instid1(VALU_DEP_2)
	v_mul_f32_e32 v17, 0x3fb8aa3b, v16
	v_cmp_ngt_f32_e32 vcc_lo, 0xc2ce8ed0, v16
	v_rndne_f32_e32 v18, v17
	v_fma_f32 v19, 0x3fb8aa3b, v16, -v17
	s_delay_alu instid0(VALU_DEP_2) | instskip(NEXT) | instid1(VALU_DEP_2)
	v_sub_f32_e32 v17, v17, v18
	v_fmac_f32_e32 v19, 0x32a5705f, v16
	v_cvt_i32_f32_e32 v18, v18
	s_delay_alu instid0(VALU_DEP_2) | instskip(NEXT) | instid1(VALU_DEP_1)
	v_add_f32_e32 v17, v17, v19
	v_exp_f32_e32 v17, v17
	s_delay_alu instid0(TRANS32_DEP_1) | instskip(SKIP_1) | instid1(VALU_DEP_1)
	v_ldexp_f32 v17, v17, v18
	s_wait_alu 0xfffd
	v_cndmask_b32_e32 v17, 0, v17, vcc_lo
	v_cmp_nlt_f32_e32 vcc_lo, 0x42b17218, v16
	s_wait_alu 0xfffd
	s_delay_alu instid0(VALU_DEP_2) | instskip(NEXT) | instid1(VALU_DEP_1)
	v_cndmask_b32_e32 v16, 0x7f800000, v17, vcc_lo
	v_add_f32_e32 v16, 1.0, v16
	s_delay_alu instid0(VALU_DEP_1) | instskip(NEXT) | instid1(TRANS32_DEP_1)
	v_rcp_f32_e32 v16, v16
	v_fma_f32 v152, v16, -2.0, 1.0
.LBB25_114:                             ;   in Loop: Header=BB25_80 Depth=2
	s_wait_alu 0xfffe
	s_and_not1_saveexec_b32 s1, s1
	s_cbranch_execz .LBB25_116
; %bb.115:                              ;   in Loop: Header=BB25_80 Depth=2
	v_mul_f32_e32 v16, v8, v8
	s_delay_alu instid0(VALU_DEP_1) | instskip(NEXT) | instid1(VALU_DEP_1)
	v_fmaak_f32 v17, s39, v16, 0x3ca908c9
	v_fmaak_f32 v17, v16, v17, 0xbd5c1c4e
	s_delay_alu instid0(VALU_DEP_1) | instskip(NEXT) | instid1(VALU_DEP_1)
	v_fmaak_f32 v17, v16, v17, 0x3e088382
	v_fmaak_f32 v17, v16, v17, 0xbeaaaa99
	s_delay_alu instid0(VALU_DEP_1) | instskip(NEXT) | instid1(VALU_DEP_1)
	v_mul_f32_e64 v17, |v8|, v17
	v_fma_f32 v152, v16, v17, |v8|
.LBB25_116:                             ;   in Loop: Header=BB25_80 Depth=2
	s_wait_alu 0xfffe
	s_or_b32 exec_lo, exec_lo, s1
	v_cmp_ngt_f32_e64 s1, 0x3f200000, |v9|
                                        ; implicit-def: $vgpr153
	s_and_saveexec_b32 s3, s1
	s_wait_alu 0xfffe
	s_xor_b32 s1, exec_lo, s3
	s_cbranch_execz .LBB25_118
; %bb.117:                              ;   in Loop: Header=BB25_80 Depth=2
	v_add_f32_e64 v16, |v9|, |v9|
	s_delay_alu instid0(VALU_DEP_1) | instskip(SKIP_1) | instid1(VALU_DEP_2)
	v_mul_f32_e32 v17, 0x3fb8aa3b, v16
	v_cmp_ngt_f32_e32 vcc_lo, 0xc2ce8ed0, v16
	v_rndne_f32_e32 v18, v17
	v_fma_f32 v19, 0x3fb8aa3b, v16, -v17
	s_delay_alu instid0(VALU_DEP_2) | instskip(NEXT) | instid1(VALU_DEP_2)
	v_sub_f32_e32 v17, v17, v18
	v_fmac_f32_e32 v19, 0x32a5705f, v16
	v_cvt_i32_f32_e32 v18, v18
	s_delay_alu instid0(VALU_DEP_2) | instskip(NEXT) | instid1(VALU_DEP_1)
	v_add_f32_e32 v17, v17, v19
	v_exp_f32_e32 v17, v17
	s_delay_alu instid0(TRANS32_DEP_1) | instskip(SKIP_1) | instid1(VALU_DEP_1)
	v_ldexp_f32 v17, v17, v18
	s_wait_alu 0xfffd
	v_cndmask_b32_e32 v17, 0, v17, vcc_lo
	v_cmp_nlt_f32_e32 vcc_lo, 0x42b17218, v16
	s_wait_alu 0xfffd
	s_delay_alu instid0(VALU_DEP_2) | instskip(NEXT) | instid1(VALU_DEP_1)
	v_cndmask_b32_e32 v16, 0x7f800000, v17, vcc_lo
	v_add_f32_e32 v16, 1.0, v16
	s_delay_alu instid0(VALU_DEP_1) | instskip(NEXT) | instid1(TRANS32_DEP_1)
	v_rcp_f32_e32 v16, v16
	v_fma_f32 v153, v16, -2.0, 1.0
.LBB25_118:                             ;   in Loop: Header=BB25_80 Depth=2
	s_wait_alu 0xfffe
	s_and_not1_saveexec_b32 s1, s1
	s_cbranch_execz .LBB25_120
; %bb.119:                              ;   in Loop: Header=BB25_80 Depth=2
	v_mul_f32_e32 v16, v9, v9
	s_delay_alu instid0(VALU_DEP_1) | instskip(NEXT) | instid1(VALU_DEP_1)
	v_fmaak_f32 v17, s39, v16, 0x3ca908c9
	v_fmaak_f32 v17, v16, v17, 0xbd5c1c4e
	s_delay_alu instid0(VALU_DEP_1) | instskip(NEXT) | instid1(VALU_DEP_1)
	v_fmaak_f32 v17, v16, v17, 0x3e088382
	v_fmaak_f32 v17, v16, v17, 0xbeaaaa99
	s_delay_alu instid0(VALU_DEP_1) | instskip(NEXT) | instid1(VALU_DEP_1)
	v_mul_f32_e64 v17, |v9|, v17
	v_fma_f32 v153, v16, v17, |v9|
.LBB25_120:                             ;   in Loop: Header=BB25_80 Depth=2
	s_wait_alu 0xfffe
	s_or_b32 exec_lo, exec_lo, s1
	v_cmp_ngt_f32_e64 s1, 0x3f200000, |v10|
                                        ; implicit-def: $vgpr154
	s_and_saveexec_b32 s3, s1
	s_wait_alu 0xfffe
	s_xor_b32 s1, exec_lo, s3
	s_cbranch_execz .LBB25_122
; %bb.121:                              ;   in Loop: Header=BB25_80 Depth=2
	v_add_f32_e64 v16, |v10|, |v10|
	s_delay_alu instid0(VALU_DEP_1) | instskip(SKIP_1) | instid1(VALU_DEP_2)
	v_mul_f32_e32 v17, 0x3fb8aa3b, v16
	v_cmp_ngt_f32_e32 vcc_lo, 0xc2ce8ed0, v16
	v_rndne_f32_e32 v18, v17
	v_fma_f32 v19, 0x3fb8aa3b, v16, -v17
	s_delay_alu instid0(VALU_DEP_2) | instskip(NEXT) | instid1(VALU_DEP_2)
	v_sub_f32_e32 v17, v17, v18
	v_fmac_f32_e32 v19, 0x32a5705f, v16
	v_cvt_i32_f32_e32 v18, v18
	s_delay_alu instid0(VALU_DEP_2) | instskip(NEXT) | instid1(VALU_DEP_1)
	v_add_f32_e32 v17, v17, v19
	v_exp_f32_e32 v17, v17
	s_delay_alu instid0(TRANS32_DEP_1) | instskip(SKIP_1) | instid1(VALU_DEP_1)
	v_ldexp_f32 v17, v17, v18
	s_wait_alu 0xfffd
	v_cndmask_b32_e32 v17, 0, v17, vcc_lo
	v_cmp_nlt_f32_e32 vcc_lo, 0x42b17218, v16
	s_wait_alu 0xfffd
	s_delay_alu instid0(VALU_DEP_2) | instskip(NEXT) | instid1(VALU_DEP_1)
	v_cndmask_b32_e32 v16, 0x7f800000, v17, vcc_lo
	v_add_f32_e32 v16, 1.0, v16
	s_delay_alu instid0(VALU_DEP_1) | instskip(NEXT) | instid1(TRANS32_DEP_1)
	v_rcp_f32_e32 v16, v16
	v_fma_f32 v154, v16, -2.0, 1.0
.LBB25_122:                             ;   in Loop: Header=BB25_80 Depth=2
	s_wait_alu 0xfffe
	s_and_not1_saveexec_b32 s1, s1
	s_cbranch_execz .LBB25_124
; %bb.123:                              ;   in Loop: Header=BB25_80 Depth=2
	v_mul_f32_e32 v16, v10, v10
	s_delay_alu instid0(VALU_DEP_1) | instskip(NEXT) | instid1(VALU_DEP_1)
	v_fmaak_f32 v17, s39, v16, 0x3ca908c9
	v_fmaak_f32 v17, v16, v17, 0xbd5c1c4e
	s_delay_alu instid0(VALU_DEP_1) | instskip(NEXT) | instid1(VALU_DEP_1)
	v_fmaak_f32 v17, v16, v17, 0x3e088382
	v_fmaak_f32 v17, v16, v17, 0xbeaaaa99
	s_delay_alu instid0(VALU_DEP_1) | instskip(NEXT) | instid1(VALU_DEP_1)
	v_mul_f32_e64 v17, |v10|, v17
	v_fma_f32 v154, v16, v17, |v10|
.LBB25_124:                             ;   in Loop: Header=BB25_80 Depth=2
	s_wait_alu 0xfffe
	s_or_b32 exec_lo, exec_lo, s1
	v_cmp_ngt_f32_e64 s1, 0x3f200000, |v11|
                                        ; implicit-def: $vgpr155
	s_and_saveexec_b32 s3, s1
	s_wait_alu 0xfffe
	s_xor_b32 s1, exec_lo, s3
	s_cbranch_execz .LBB25_126
; %bb.125:                              ;   in Loop: Header=BB25_80 Depth=2
	v_add_f32_e64 v16, |v11|, |v11|
	s_delay_alu instid0(VALU_DEP_1) | instskip(SKIP_1) | instid1(VALU_DEP_2)
	v_mul_f32_e32 v17, 0x3fb8aa3b, v16
	v_cmp_ngt_f32_e32 vcc_lo, 0xc2ce8ed0, v16
	v_rndne_f32_e32 v18, v17
	v_fma_f32 v19, 0x3fb8aa3b, v16, -v17
	s_delay_alu instid0(VALU_DEP_2) | instskip(NEXT) | instid1(VALU_DEP_2)
	v_sub_f32_e32 v17, v17, v18
	v_fmac_f32_e32 v19, 0x32a5705f, v16
	v_cvt_i32_f32_e32 v18, v18
	s_delay_alu instid0(VALU_DEP_2) | instskip(NEXT) | instid1(VALU_DEP_1)
	v_add_f32_e32 v17, v17, v19
	v_exp_f32_e32 v17, v17
	s_delay_alu instid0(TRANS32_DEP_1) | instskip(SKIP_1) | instid1(VALU_DEP_1)
	v_ldexp_f32 v17, v17, v18
	s_wait_alu 0xfffd
	v_cndmask_b32_e32 v17, 0, v17, vcc_lo
	v_cmp_nlt_f32_e32 vcc_lo, 0x42b17218, v16
	s_wait_alu 0xfffd
	s_delay_alu instid0(VALU_DEP_2) | instskip(NEXT) | instid1(VALU_DEP_1)
	v_cndmask_b32_e32 v16, 0x7f800000, v17, vcc_lo
	v_add_f32_e32 v16, 1.0, v16
	s_delay_alu instid0(VALU_DEP_1) | instskip(NEXT) | instid1(TRANS32_DEP_1)
	v_rcp_f32_e32 v16, v16
	v_fma_f32 v155, v16, -2.0, 1.0
.LBB25_126:                             ;   in Loop: Header=BB25_80 Depth=2
	s_wait_alu 0xfffe
	s_and_not1_saveexec_b32 s1, s1
	s_cbranch_execz .LBB25_128
; %bb.127:                              ;   in Loop: Header=BB25_80 Depth=2
	v_mul_f32_e32 v16, v11, v11
	s_delay_alu instid0(VALU_DEP_1) | instskip(NEXT) | instid1(VALU_DEP_1)
	v_fmaak_f32 v17, s39, v16, 0x3ca908c9
	v_fmaak_f32 v17, v16, v17, 0xbd5c1c4e
	s_delay_alu instid0(VALU_DEP_1) | instskip(NEXT) | instid1(VALU_DEP_1)
	v_fmaak_f32 v17, v16, v17, 0x3e088382
	v_fmaak_f32 v17, v16, v17, 0xbeaaaa99
	s_delay_alu instid0(VALU_DEP_1) | instskip(NEXT) | instid1(VALU_DEP_1)
	v_mul_f32_e64 v17, |v11|, v17
	v_fma_f32 v155, v16, v17, |v11|
.LBB25_128:                             ;   in Loop: Header=BB25_80 Depth=2
	s_wait_alu 0xfffe
	s_or_b32 exec_lo, exec_lo, s1
	v_cmp_ngt_f32_e64 s1, 0x3f200000, |v12|
                                        ; implicit-def: $vgpr156
	s_and_saveexec_b32 s3, s1
	s_wait_alu 0xfffe
	s_xor_b32 s1, exec_lo, s3
	s_cbranch_execz .LBB25_130
; %bb.129:                              ;   in Loop: Header=BB25_80 Depth=2
	v_add_f32_e64 v16, |v12|, |v12|
	s_delay_alu instid0(VALU_DEP_1) | instskip(SKIP_1) | instid1(VALU_DEP_2)
	v_mul_f32_e32 v17, 0x3fb8aa3b, v16
	v_cmp_ngt_f32_e32 vcc_lo, 0xc2ce8ed0, v16
	v_rndne_f32_e32 v18, v17
	v_fma_f32 v19, 0x3fb8aa3b, v16, -v17
	s_delay_alu instid0(VALU_DEP_2) | instskip(NEXT) | instid1(VALU_DEP_2)
	v_sub_f32_e32 v17, v17, v18
	v_fmac_f32_e32 v19, 0x32a5705f, v16
	v_cvt_i32_f32_e32 v18, v18
	s_delay_alu instid0(VALU_DEP_2) | instskip(NEXT) | instid1(VALU_DEP_1)
	v_add_f32_e32 v17, v17, v19
	v_exp_f32_e32 v17, v17
	s_delay_alu instid0(TRANS32_DEP_1) | instskip(SKIP_1) | instid1(VALU_DEP_1)
	v_ldexp_f32 v17, v17, v18
	s_wait_alu 0xfffd
	v_cndmask_b32_e32 v17, 0, v17, vcc_lo
	v_cmp_nlt_f32_e32 vcc_lo, 0x42b17218, v16
	s_wait_alu 0xfffd
	s_delay_alu instid0(VALU_DEP_2) | instskip(NEXT) | instid1(VALU_DEP_1)
	v_cndmask_b32_e32 v16, 0x7f800000, v17, vcc_lo
	v_add_f32_e32 v16, 1.0, v16
	s_delay_alu instid0(VALU_DEP_1) | instskip(NEXT) | instid1(TRANS32_DEP_1)
	v_rcp_f32_e32 v16, v16
	v_fma_f32 v156, v16, -2.0, 1.0
.LBB25_130:                             ;   in Loop: Header=BB25_80 Depth=2
	s_wait_alu 0xfffe
	s_and_not1_saveexec_b32 s1, s1
	s_cbranch_execz .LBB25_132
; %bb.131:                              ;   in Loop: Header=BB25_80 Depth=2
	v_mul_f32_e32 v16, v12, v12
	s_delay_alu instid0(VALU_DEP_1) | instskip(NEXT) | instid1(VALU_DEP_1)
	v_fmaak_f32 v17, s39, v16, 0x3ca908c9
	v_fmaak_f32 v17, v16, v17, 0xbd5c1c4e
	s_delay_alu instid0(VALU_DEP_1) | instskip(NEXT) | instid1(VALU_DEP_1)
	v_fmaak_f32 v17, v16, v17, 0x3e088382
	v_fmaak_f32 v17, v16, v17, 0xbeaaaa99
	s_delay_alu instid0(VALU_DEP_1) | instskip(NEXT) | instid1(VALU_DEP_1)
	v_mul_f32_e64 v17, |v12|, v17
	v_fma_f32 v156, v16, v17, |v12|
.LBB25_132:                             ;   in Loop: Header=BB25_80 Depth=2
	s_wait_alu 0xfffe
	s_or_b32 exec_lo, exec_lo, s1
	v_cmp_ngt_f32_e64 s1, 0x3f200000, |v13|
                                        ; implicit-def: $vgpr158
	s_and_saveexec_b32 s3, s1
	s_wait_alu 0xfffe
	s_xor_b32 s1, exec_lo, s3
	s_cbranch_execz .LBB25_134
; %bb.133:                              ;   in Loop: Header=BB25_80 Depth=2
	v_add_f32_e64 v16, |v13|, |v13|
	s_delay_alu instid0(VALU_DEP_1) | instskip(SKIP_1) | instid1(VALU_DEP_2)
	v_mul_f32_e32 v17, 0x3fb8aa3b, v16
	v_cmp_ngt_f32_e32 vcc_lo, 0xc2ce8ed0, v16
	v_rndne_f32_e32 v18, v17
	v_fma_f32 v19, 0x3fb8aa3b, v16, -v17
	s_delay_alu instid0(VALU_DEP_2) | instskip(NEXT) | instid1(VALU_DEP_2)
	v_sub_f32_e32 v17, v17, v18
	v_fmac_f32_e32 v19, 0x32a5705f, v16
	v_cvt_i32_f32_e32 v18, v18
	s_delay_alu instid0(VALU_DEP_2) | instskip(NEXT) | instid1(VALU_DEP_1)
	v_add_f32_e32 v17, v17, v19
	v_exp_f32_e32 v17, v17
	s_delay_alu instid0(TRANS32_DEP_1) | instskip(SKIP_1) | instid1(VALU_DEP_1)
	v_ldexp_f32 v17, v17, v18
	s_wait_alu 0xfffd
	v_cndmask_b32_e32 v17, 0, v17, vcc_lo
	v_cmp_nlt_f32_e32 vcc_lo, 0x42b17218, v16
	s_wait_alu 0xfffd
	s_delay_alu instid0(VALU_DEP_2) | instskip(NEXT) | instid1(VALU_DEP_1)
	v_cndmask_b32_e32 v16, 0x7f800000, v17, vcc_lo
	v_add_f32_e32 v16, 1.0, v16
	s_delay_alu instid0(VALU_DEP_1) | instskip(NEXT) | instid1(TRANS32_DEP_1)
	v_rcp_f32_e32 v16, v16
	v_fma_f32 v158, v16, -2.0, 1.0
.LBB25_134:                             ;   in Loop: Header=BB25_80 Depth=2
	s_wait_alu 0xfffe
	s_and_not1_saveexec_b32 s1, s1
	s_cbranch_execz .LBB25_136
; %bb.135:                              ;   in Loop: Header=BB25_80 Depth=2
	v_mul_f32_e32 v16, v13, v13
	s_delay_alu instid0(VALU_DEP_1) | instskip(NEXT) | instid1(VALU_DEP_1)
	v_fmaak_f32 v17, s39, v16, 0x3ca908c9
	v_fmaak_f32 v17, v16, v17, 0xbd5c1c4e
	s_delay_alu instid0(VALU_DEP_1) | instskip(NEXT) | instid1(VALU_DEP_1)
	v_fmaak_f32 v17, v16, v17, 0x3e088382
	v_fmaak_f32 v17, v16, v17, 0xbeaaaa99
	s_delay_alu instid0(VALU_DEP_1) | instskip(NEXT) | instid1(VALU_DEP_1)
	v_mul_f32_e64 v17, |v13|, v17
	v_fma_f32 v158, v16, v17, |v13|
.LBB25_136:                             ;   in Loop: Header=BB25_80 Depth=2
	s_wait_alu 0xfffe
	s_or_b32 exec_lo, exec_lo, s1
	v_cmp_ngt_f32_e64 s1, 0x3f200000, |v14|
                                        ; implicit-def: $vgpr157
	s_and_saveexec_b32 s3, s1
	s_wait_alu 0xfffe
	s_xor_b32 s1, exec_lo, s3
	s_cbranch_execz .LBB25_138
; %bb.137:                              ;   in Loop: Header=BB25_80 Depth=2
	v_add_f32_e64 v16, |v14|, |v14|
	s_delay_alu instid0(VALU_DEP_1) | instskip(SKIP_1) | instid1(VALU_DEP_2)
	v_mul_f32_e32 v17, 0x3fb8aa3b, v16
	v_cmp_ngt_f32_e32 vcc_lo, 0xc2ce8ed0, v16
	v_rndne_f32_e32 v18, v17
	v_fma_f32 v19, 0x3fb8aa3b, v16, -v17
	s_delay_alu instid0(VALU_DEP_2) | instskip(NEXT) | instid1(VALU_DEP_2)
	v_sub_f32_e32 v17, v17, v18
	v_fmac_f32_e32 v19, 0x32a5705f, v16
	v_cvt_i32_f32_e32 v18, v18
	s_delay_alu instid0(VALU_DEP_2) | instskip(NEXT) | instid1(VALU_DEP_1)
	v_add_f32_e32 v17, v17, v19
	v_exp_f32_e32 v17, v17
	s_delay_alu instid0(TRANS32_DEP_1) | instskip(SKIP_1) | instid1(VALU_DEP_1)
	v_ldexp_f32 v17, v17, v18
	s_wait_alu 0xfffd
	v_cndmask_b32_e32 v17, 0, v17, vcc_lo
	v_cmp_nlt_f32_e32 vcc_lo, 0x42b17218, v16
	s_wait_alu 0xfffd
	s_delay_alu instid0(VALU_DEP_2) | instskip(NEXT) | instid1(VALU_DEP_1)
	v_cndmask_b32_e32 v16, 0x7f800000, v17, vcc_lo
	v_add_f32_e32 v16, 1.0, v16
	s_delay_alu instid0(VALU_DEP_1) | instskip(NEXT) | instid1(TRANS32_DEP_1)
	v_rcp_f32_e32 v16, v16
	v_fma_f32 v157, v16, -2.0, 1.0
.LBB25_138:                             ;   in Loop: Header=BB25_80 Depth=2
	s_wait_alu 0xfffe
	s_and_not1_saveexec_b32 s1, s1
	s_cbranch_execz .LBB25_140
; %bb.139:                              ;   in Loop: Header=BB25_80 Depth=2
	v_mul_f32_e32 v16, v14, v14
	s_delay_alu instid0(VALU_DEP_1) | instskip(NEXT) | instid1(VALU_DEP_1)
	v_fmaak_f32 v17, s39, v16, 0x3ca908c9
	v_fmaak_f32 v17, v16, v17, 0xbd5c1c4e
	s_delay_alu instid0(VALU_DEP_1) | instskip(NEXT) | instid1(VALU_DEP_1)
	v_fmaak_f32 v17, v16, v17, 0x3e088382
	v_fmaak_f32 v17, v16, v17, 0xbeaaaa99
	s_delay_alu instid0(VALU_DEP_1) | instskip(NEXT) | instid1(VALU_DEP_1)
	v_mul_f32_e64 v17, |v14|, v17
	v_fma_f32 v157, v16, v17, |v14|
.LBB25_140:                             ;   in Loop: Header=BB25_80 Depth=2
	s_wait_alu 0xfffe
	s_or_b32 exec_lo, exec_lo, s1
	v_cmp_ngt_f32_e64 s1, 0x3f200000, |v15|
                                        ; implicit-def: $vgpr159
	s_and_saveexec_b32 s3, s1
	s_wait_alu 0xfffe
	s_xor_b32 s1, exec_lo, s3
	s_cbranch_execz .LBB25_142
; %bb.141:                              ;   in Loop: Header=BB25_80 Depth=2
	v_add_f32_e64 v16, |v15|, |v15|
	s_delay_alu instid0(VALU_DEP_1) | instskip(SKIP_1) | instid1(VALU_DEP_2)
	v_mul_f32_e32 v17, 0x3fb8aa3b, v16
	v_cmp_ngt_f32_e32 vcc_lo, 0xc2ce8ed0, v16
	v_rndne_f32_e32 v18, v17
	v_fma_f32 v19, 0x3fb8aa3b, v16, -v17
	s_delay_alu instid0(VALU_DEP_2) | instskip(NEXT) | instid1(VALU_DEP_2)
	v_sub_f32_e32 v17, v17, v18
	v_fmac_f32_e32 v19, 0x32a5705f, v16
	v_cvt_i32_f32_e32 v18, v18
	s_delay_alu instid0(VALU_DEP_2) | instskip(NEXT) | instid1(VALU_DEP_1)
	v_add_f32_e32 v17, v17, v19
	v_exp_f32_e32 v17, v17
	s_delay_alu instid0(TRANS32_DEP_1) | instskip(SKIP_1) | instid1(VALU_DEP_1)
	v_ldexp_f32 v17, v17, v18
	s_wait_alu 0xfffd
	v_cndmask_b32_e32 v17, 0, v17, vcc_lo
	v_cmp_nlt_f32_e32 vcc_lo, 0x42b17218, v16
	s_wait_alu 0xfffd
	s_delay_alu instid0(VALU_DEP_2) | instskip(NEXT) | instid1(VALU_DEP_1)
	v_cndmask_b32_e32 v16, 0x7f800000, v17, vcc_lo
	v_add_f32_e32 v16, 1.0, v16
	s_delay_alu instid0(VALU_DEP_1) | instskip(NEXT) | instid1(TRANS32_DEP_1)
	v_rcp_f32_e32 v16, v16
	v_fma_f32 v159, v16, -2.0, 1.0
.LBB25_142:                             ;   in Loop: Header=BB25_80 Depth=2
	s_wait_alu 0xfffe
	s_and_not1_saveexec_b32 s1, s1
	s_cbranch_execz .LBB25_144
; %bb.143:                              ;   in Loop: Header=BB25_80 Depth=2
	v_mul_f32_e32 v16, v15, v15
	s_delay_alu instid0(VALU_DEP_1) | instskip(NEXT) | instid1(VALU_DEP_1)
	v_fmaak_f32 v17, s39, v16, 0x3ca908c9
	v_fmaak_f32 v17, v16, v17, 0xbd5c1c4e
	s_delay_alu instid0(VALU_DEP_1) | instskip(NEXT) | instid1(VALU_DEP_1)
	v_fmaak_f32 v17, v16, v17, 0x3e088382
	v_fmaak_f32 v17, v16, v17, 0xbeaaaa99
	s_delay_alu instid0(VALU_DEP_1) | instskip(NEXT) | instid1(VALU_DEP_1)
	v_mul_f32_e64 v17, |v15|, v17
	v_fma_f32 v159, v16, v17, |v15|
.LBB25_144:                             ;   in Loop: Header=BB25_80 Depth=2
	s_wait_alu 0xfffe
	s_or_b32 exec_lo, exec_lo, s1
	v_wmma_f32_16x16x16_f16 v[16:23], v[148:151], v[92:95], 0
	s_delay_alu instid0(VALU_DEP_1) | instskip(NEXT) | instid1(VALU_DEP_1)
	v_wmma_f32_16x16x16_f16 v[16:23], v[144:147], v[88:91], v[16:23]
	v_wmma_f32_16x16x16_f16 v[16:23], v[140:143], v[84:87], v[16:23]
	s_delay_alu instid0(VALU_DEP_1) | instskip(NEXT) | instid1(VALU_DEP_1)
	v_wmma_f32_16x16x16_f16 v[16:23], v[136:139], v[80:83], v[16:23]
	;; [unrolled: 3-line block ×3, first 2 shown]
                                        ; implicit-def: $vgpr128
	v_wmma_f32_16x16x16_f16 v[16:23], v[28:31], v[68:71], v[16:23]
	s_delay_alu instid0(VALU_DEP_1) | instskip(NEXT) | instid1(VALU_DEP_1)
	v_wmma_f32_16x16x16_f16 v[16:23], v[24:27], v[64:67], v[16:23]
	v_cmp_ngt_f32_e64 s1, 0x3f200000, |v16|
	s_and_saveexec_b32 s3, s1
	s_wait_alu 0xfffe
	s_xor_b32 s1, exec_lo, s3
	s_cbranch_execz .LBB25_146
; %bb.145:                              ;   in Loop: Header=BB25_80 Depth=2
	v_add_f32_e64 v24, |v16|, |v16|
	s_delay_alu instid0(VALU_DEP_1) | instskip(SKIP_1) | instid1(VALU_DEP_2)
	v_mul_f32_e32 v25, 0x3fb8aa3b, v24
	v_cmp_ngt_f32_e32 vcc_lo, 0xc2ce8ed0, v24
	v_rndne_f32_e32 v26, v25
	v_fma_f32 v27, 0x3fb8aa3b, v24, -v25
	s_delay_alu instid0(VALU_DEP_2) | instskip(NEXT) | instid1(VALU_DEP_2)
	v_sub_f32_e32 v25, v25, v26
	v_fmac_f32_e32 v27, 0x32a5705f, v24
	v_cvt_i32_f32_e32 v26, v26
	s_delay_alu instid0(VALU_DEP_2) | instskip(NEXT) | instid1(VALU_DEP_1)
	v_add_f32_e32 v25, v25, v27
	v_exp_f32_e32 v25, v25
	s_delay_alu instid0(TRANS32_DEP_1) | instskip(SKIP_1) | instid1(VALU_DEP_1)
	v_ldexp_f32 v25, v25, v26
	s_wait_alu 0xfffd
	v_cndmask_b32_e32 v25, 0, v25, vcc_lo
	v_cmp_nlt_f32_e32 vcc_lo, 0x42b17218, v24
	s_wait_alu 0xfffd
	s_delay_alu instid0(VALU_DEP_2) | instskip(NEXT) | instid1(VALU_DEP_1)
	v_cndmask_b32_e32 v24, 0x7f800000, v25, vcc_lo
	v_add_f32_e32 v24, 1.0, v24
	s_delay_alu instid0(VALU_DEP_1) | instskip(NEXT) | instid1(TRANS32_DEP_1)
	v_rcp_f32_e32 v24, v24
	v_fma_f32 v128, v24, -2.0, 1.0
.LBB25_146:                             ;   in Loop: Header=BB25_80 Depth=2
	s_wait_alu 0xfffe
	s_and_not1_saveexec_b32 s1, s1
	s_cbranch_execz .LBB25_148
; %bb.147:                              ;   in Loop: Header=BB25_80 Depth=2
	v_mul_f32_e32 v24, v16, v16
	s_delay_alu instid0(VALU_DEP_1) | instskip(NEXT) | instid1(VALU_DEP_1)
	v_fmaak_f32 v25, s39, v24, 0x3ca908c9
	v_fmaak_f32 v25, v24, v25, 0xbd5c1c4e
	s_delay_alu instid0(VALU_DEP_1) | instskip(NEXT) | instid1(VALU_DEP_1)
	v_fmaak_f32 v25, v24, v25, 0x3e088382
	v_fmaak_f32 v25, v24, v25, 0xbeaaaa99
	s_delay_alu instid0(VALU_DEP_1) | instskip(NEXT) | instid1(VALU_DEP_1)
	v_mul_f32_e64 v25, |v16|, v25
	v_fma_f32 v128, v24, v25, |v16|
.LBB25_148:                             ;   in Loop: Header=BB25_80 Depth=2
	s_wait_alu 0xfffe
	s_or_b32 exec_lo, exec_lo, s1
	v_cmp_ngt_f32_e64 s1, 0x3f200000, |v17|
                                        ; implicit-def: $vgpr129
	s_and_saveexec_b32 s3, s1
	s_wait_alu 0xfffe
	s_xor_b32 s1, exec_lo, s3
	s_cbranch_execz .LBB25_150
; %bb.149:                              ;   in Loop: Header=BB25_80 Depth=2
	v_add_f32_e64 v24, |v17|, |v17|
	s_delay_alu instid0(VALU_DEP_1) | instskip(SKIP_1) | instid1(VALU_DEP_2)
	v_mul_f32_e32 v25, 0x3fb8aa3b, v24
	v_cmp_ngt_f32_e32 vcc_lo, 0xc2ce8ed0, v24
	v_rndne_f32_e32 v26, v25
	v_fma_f32 v27, 0x3fb8aa3b, v24, -v25
	s_delay_alu instid0(VALU_DEP_2) | instskip(NEXT) | instid1(VALU_DEP_2)
	v_sub_f32_e32 v25, v25, v26
	v_fmac_f32_e32 v27, 0x32a5705f, v24
	v_cvt_i32_f32_e32 v26, v26
	s_delay_alu instid0(VALU_DEP_2) | instskip(NEXT) | instid1(VALU_DEP_1)
	v_add_f32_e32 v25, v25, v27
	v_exp_f32_e32 v25, v25
	s_delay_alu instid0(TRANS32_DEP_1) | instskip(SKIP_1) | instid1(VALU_DEP_1)
	v_ldexp_f32 v25, v25, v26
	s_wait_alu 0xfffd
	v_cndmask_b32_e32 v25, 0, v25, vcc_lo
	v_cmp_nlt_f32_e32 vcc_lo, 0x42b17218, v24
	s_wait_alu 0xfffd
	s_delay_alu instid0(VALU_DEP_2) | instskip(NEXT) | instid1(VALU_DEP_1)
	v_cndmask_b32_e32 v24, 0x7f800000, v25, vcc_lo
	v_add_f32_e32 v24, 1.0, v24
	s_delay_alu instid0(VALU_DEP_1) | instskip(NEXT) | instid1(TRANS32_DEP_1)
	v_rcp_f32_e32 v24, v24
	v_fma_f32 v129, v24, -2.0, 1.0
.LBB25_150:                             ;   in Loop: Header=BB25_80 Depth=2
	s_wait_alu 0xfffe
	s_and_not1_saveexec_b32 s1, s1
	s_cbranch_execz .LBB25_152
; %bb.151:                              ;   in Loop: Header=BB25_80 Depth=2
	v_mul_f32_e32 v24, v17, v17
	s_delay_alu instid0(VALU_DEP_1) | instskip(NEXT) | instid1(VALU_DEP_1)
	v_fmaak_f32 v25, s39, v24, 0x3ca908c9
	v_fmaak_f32 v25, v24, v25, 0xbd5c1c4e
	s_delay_alu instid0(VALU_DEP_1) | instskip(NEXT) | instid1(VALU_DEP_1)
	v_fmaak_f32 v25, v24, v25, 0x3e088382
	v_fmaak_f32 v25, v24, v25, 0xbeaaaa99
	s_delay_alu instid0(VALU_DEP_1) | instskip(NEXT) | instid1(VALU_DEP_1)
	v_mul_f32_e64 v25, |v17|, v25
	v_fma_f32 v129, v24, v25, |v17|
.LBB25_152:                             ;   in Loop: Header=BB25_80 Depth=2
	s_wait_alu 0xfffe
	s_or_b32 exec_lo, exec_lo, s1
	v_cmp_ngt_f32_e64 s1, 0x3f200000, |v18|
                                        ; implicit-def: $vgpr130
	s_and_saveexec_b32 s3, s1
	s_wait_alu 0xfffe
	s_xor_b32 s1, exec_lo, s3
	s_cbranch_execz .LBB25_154
; %bb.153:                              ;   in Loop: Header=BB25_80 Depth=2
	v_add_f32_e64 v24, |v18|, |v18|
	s_delay_alu instid0(VALU_DEP_1) | instskip(SKIP_1) | instid1(VALU_DEP_2)
	v_mul_f32_e32 v25, 0x3fb8aa3b, v24
	v_cmp_ngt_f32_e32 vcc_lo, 0xc2ce8ed0, v24
	v_rndne_f32_e32 v26, v25
	v_fma_f32 v27, 0x3fb8aa3b, v24, -v25
	s_delay_alu instid0(VALU_DEP_2) | instskip(NEXT) | instid1(VALU_DEP_2)
	v_sub_f32_e32 v25, v25, v26
	v_fmac_f32_e32 v27, 0x32a5705f, v24
	v_cvt_i32_f32_e32 v26, v26
	s_delay_alu instid0(VALU_DEP_2) | instskip(NEXT) | instid1(VALU_DEP_1)
	v_add_f32_e32 v25, v25, v27
	v_exp_f32_e32 v25, v25
	s_delay_alu instid0(TRANS32_DEP_1) | instskip(SKIP_1) | instid1(VALU_DEP_1)
	v_ldexp_f32 v25, v25, v26
	s_wait_alu 0xfffd
	v_cndmask_b32_e32 v25, 0, v25, vcc_lo
	v_cmp_nlt_f32_e32 vcc_lo, 0x42b17218, v24
	s_wait_alu 0xfffd
	s_delay_alu instid0(VALU_DEP_2) | instskip(NEXT) | instid1(VALU_DEP_1)
	v_cndmask_b32_e32 v24, 0x7f800000, v25, vcc_lo
	v_add_f32_e32 v24, 1.0, v24
	s_delay_alu instid0(VALU_DEP_1) | instskip(NEXT) | instid1(TRANS32_DEP_1)
	v_rcp_f32_e32 v24, v24
	v_fma_f32 v130, v24, -2.0, 1.0
.LBB25_154:                             ;   in Loop: Header=BB25_80 Depth=2
	s_wait_alu 0xfffe
	s_and_not1_saveexec_b32 s1, s1
	s_cbranch_execz .LBB25_156
; %bb.155:                              ;   in Loop: Header=BB25_80 Depth=2
	v_mul_f32_e32 v24, v18, v18
	s_delay_alu instid0(VALU_DEP_1) | instskip(NEXT) | instid1(VALU_DEP_1)
	v_fmaak_f32 v25, s39, v24, 0x3ca908c9
	v_fmaak_f32 v25, v24, v25, 0xbd5c1c4e
	s_delay_alu instid0(VALU_DEP_1) | instskip(NEXT) | instid1(VALU_DEP_1)
	v_fmaak_f32 v25, v24, v25, 0x3e088382
	v_fmaak_f32 v25, v24, v25, 0xbeaaaa99
	s_delay_alu instid0(VALU_DEP_1) | instskip(NEXT) | instid1(VALU_DEP_1)
	v_mul_f32_e64 v25, |v18|, v25
	v_fma_f32 v130, v24, v25, |v18|
.LBB25_156:                             ;   in Loop: Header=BB25_80 Depth=2
	s_wait_alu 0xfffe
	s_or_b32 exec_lo, exec_lo, s1
	v_cmp_ngt_f32_e64 s1, 0x3f200000, |v19|
                                        ; implicit-def: $vgpr131
	s_and_saveexec_b32 s3, s1
	s_wait_alu 0xfffe
	s_xor_b32 s1, exec_lo, s3
	s_cbranch_execz .LBB25_158
; %bb.157:                              ;   in Loop: Header=BB25_80 Depth=2
	v_add_f32_e64 v24, |v19|, |v19|
	s_delay_alu instid0(VALU_DEP_1) | instskip(SKIP_1) | instid1(VALU_DEP_2)
	v_mul_f32_e32 v25, 0x3fb8aa3b, v24
	v_cmp_ngt_f32_e32 vcc_lo, 0xc2ce8ed0, v24
	v_rndne_f32_e32 v26, v25
	v_fma_f32 v27, 0x3fb8aa3b, v24, -v25
	s_delay_alu instid0(VALU_DEP_2) | instskip(NEXT) | instid1(VALU_DEP_2)
	v_sub_f32_e32 v25, v25, v26
	v_fmac_f32_e32 v27, 0x32a5705f, v24
	v_cvt_i32_f32_e32 v26, v26
	s_delay_alu instid0(VALU_DEP_2) | instskip(NEXT) | instid1(VALU_DEP_1)
	v_add_f32_e32 v25, v25, v27
	v_exp_f32_e32 v25, v25
	s_delay_alu instid0(TRANS32_DEP_1) | instskip(SKIP_1) | instid1(VALU_DEP_1)
	v_ldexp_f32 v25, v25, v26
	s_wait_alu 0xfffd
	v_cndmask_b32_e32 v25, 0, v25, vcc_lo
	v_cmp_nlt_f32_e32 vcc_lo, 0x42b17218, v24
	s_wait_alu 0xfffd
	s_delay_alu instid0(VALU_DEP_2) | instskip(NEXT) | instid1(VALU_DEP_1)
	v_cndmask_b32_e32 v24, 0x7f800000, v25, vcc_lo
	v_add_f32_e32 v24, 1.0, v24
	s_delay_alu instid0(VALU_DEP_1) | instskip(NEXT) | instid1(TRANS32_DEP_1)
	v_rcp_f32_e32 v24, v24
	v_fma_f32 v131, v24, -2.0, 1.0
.LBB25_158:                             ;   in Loop: Header=BB25_80 Depth=2
	s_wait_alu 0xfffe
	s_and_not1_saveexec_b32 s1, s1
	s_cbranch_execz .LBB25_160
; %bb.159:                              ;   in Loop: Header=BB25_80 Depth=2
	v_mul_f32_e32 v24, v19, v19
	s_delay_alu instid0(VALU_DEP_1) | instskip(NEXT) | instid1(VALU_DEP_1)
	v_fmaak_f32 v25, s39, v24, 0x3ca908c9
	v_fmaak_f32 v25, v24, v25, 0xbd5c1c4e
	s_delay_alu instid0(VALU_DEP_1) | instskip(NEXT) | instid1(VALU_DEP_1)
	v_fmaak_f32 v25, v24, v25, 0x3e088382
	v_fmaak_f32 v25, v24, v25, 0xbeaaaa99
	s_delay_alu instid0(VALU_DEP_1) | instskip(NEXT) | instid1(VALU_DEP_1)
	v_mul_f32_e64 v25, |v19|, v25
	v_fma_f32 v131, v24, v25, |v19|
.LBB25_160:                             ;   in Loop: Header=BB25_80 Depth=2
	s_wait_alu 0xfffe
	s_or_b32 exec_lo, exec_lo, s1
	v_cmp_ngt_f32_e64 s1, 0x3f200000, |v20|
                                        ; implicit-def: $vgpr132
	s_and_saveexec_b32 s3, s1
	s_wait_alu 0xfffe
	s_xor_b32 s1, exec_lo, s3
	s_cbranch_execz .LBB25_162
; %bb.161:                              ;   in Loop: Header=BB25_80 Depth=2
	v_add_f32_e64 v24, |v20|, |v20|
	s_delay_alu instid0(VALU_DEP_1) | instskip(SKIP_1) | instid1(VALU_DEP_2)
	v_mul_f32_e32 v25, 0x3fb8aa3b, v24
	v_cmp_ngt_f32_e32 vcc_lo, 0xc2ce8ed0, v24
	v_rndne_f32_e32 v26, v25
	v_fma_f32 v27, 0x3fb8aa3b, v24, -v25
	s_delay_alu instid0(VALU_DEP_2) | instskip(NEXT) | instid1(VALU_DEP_2)
	v_sub_f32_e32 v25, v25, v26
	v_fmac_f32_e32 v27, 0x32a5705f, v24
	v_cvt_i32_f32_e32 v26, v26
	s_delay_alu instid0(VALU_DEP_2) | instskip(NEXT) | instid1(VALU_DEP_1)
	v_add_f32_e32 v25, v25, v27
	v_exp_f32_e32 v25, v25
	s_delay_alu instid0(TRANS32_DEP_1) | instskip(SKIP_1) | instid1(VALU_DEP_1)
	v_ldexp_f32 v25, v25, v26
	s_wait_alu 0xfffd
	v_cndmask_b32_e32 v25, 0, v25, vcc_lo
	v_cmp_nlt_f32_e32 vcc_lo, 0x42b17218, v24
	s_wait_alu 0xfffd
	s_delay_alu instid0(VALU_DEP_2) | instskip(NEXT) | instid1(VALU_DEP_1)
	v_cndmask_b32_e32 v24, 0x7f800000, v25, vcc_lo
	v_add_f32_e32 v24, 1.0, v24
	s_delay_alu instid0(VALU_DEP_1) | instskip(NEXT) | instid1(TRANS32_DEP_1)
	v_rcp_f32_e32 v24, v24
	v_fma_f32 v132, v24, -2.0, 1.0
.LBB25_162:                             ;   in Loop: Header=BB25_80 Depth=2
	s_wait_alu 0xfffe
	s_and_not1_saveexec_b32 s1, s1
	s_cbranch_execz .LBB25_164
; %bb.163:                              ;   in Loop: Header=BB25_80 Depth=2
	v_mul_f32_e32 v24, v20, v20
	s_delay_alu instid0(VALU_DEP_1) | instskip(NEXT) | instid1(VALU_DEP_1)
	v_fmaak_f32 v25, s39, v24, 0x3ca908c9
	v_fmaak_f32 v25, v24, v25, 0xbd5c1c4e
	s_delay_alu instid0(VALU_DEP_1) | instskip(NEXT) | instid1(VALU_DEP_1)
	v_fmaak_f32 v25, v24, v25, 0x3e088382
	v_fmaak_f32 v25, v24, v25, 0xbeaaaa99
	s_delay_alu instid0(VALU_DEP_1) | instskip(NEXT) | instid1(VALU_DEP_1)
	v_mul_f32_e64 v25, |v20|, v25
	v_fma_f32 v132, v24, v25, |v20|
.LBB25_164:                             ;   in Loop: Header=BB25_80 Depth=2
	s_wait_alu 0xfffe
	s_or_b32 exec_lo, exec_lo, s1
	v_cmp_ngt_f32_e64 s1, 0x3f200000, |v21|
                                        ; implicit-def: $vgpr133
	s_and_saveexec_b32 s3, s1
	s_wait_alu 0xfffe
	s_xor_b32 s1, exec_lo, s3
	s_cbranch_execz .LBB25_166
; %bb.165:                              ;   in Loop: Header=BB25_80 Depth=2
	v_add_f32_e64 v24, |v21|, |v21|
	s_delay_alu instid0(VALU_DEP_1) | instskip(SKIP_1) | instid1(VALU_DEP_2)
	v_mul_f32_e32 v25, 0x3fb8aa3b, v24
	v_cmp_ngt_f32_e32 vcc_lo, 0xc2ce8ed0, v24
	v_rndne_f32_e32 v26, v25
	v_fma_f32 v27, 0x3fb8aa3b, v24, -v25
	s_delay_alu instid0(VALU_DEP_2) | instskip(NEXT) | instid1(VALU_DEP_2)
	v_sub_f32_e32 v25, v25, v26
	v_fmac_f32_e32 v27, 0x32a5705f, v24
	v_cvt_i32_f32_e32 v26, v26
	s_delay_alu instid0(VALU_DEP_2) | instskip(NEXT) | instid1(VALU_DEP_1)
	v_add_f32_e32 v25, v25, v27
	v_exp_f32_e32 v25, v25
	s_delay_alu instid0(TRANS32_DEP_1) | instskip(SKIP_1) | instid1(VALU_DEP_1)
	v_ldexp_f32 v25, v25, v26
	s_wait_alu 0xfffd
	v_cndmask_b32_e32 v25, 0, v25, vcc_lo
	v_cmp_nlt_f32_e32 vcc_lo, 0x42b17218, v24
	s_wait_alu 0xfffd
	s_delay_alu instid0(VALU_DEP_2) | instskip(NEXT) | instid1(VALU_DEP_1)
	v_cndmask_b32_e32 v24, 0x7f800000, v25, vcc_lo
	v_add_f32_e32 v24, 1.0, v24
	s_delay_alu instid0(VALU_DEP_1) | instskip(NEXT) | instid1(TRANS32_DEP_1)
	v_rcp_f32_e32 v24, v24
	v_fma_f32 v133, v24, -2.0, 1.0
.LBB25_166:                             ;   in Loop: Header=BB25_80 Depth=2
	s_wait_alu 0xfffe
	s_and_not1_saveexec_b32 s1, s1
	s_cbranch_execz .LBB25_168
; %bb.167:                              ;   in Loop: Header=BB25_80 Depth=2
	v_mul_f32_e32 v24, v21, v21
	s_delay_alu instid0(VALU_DEP_1) | instskip(NEXT) | instid1(VALU_DEP_1)
	v_fmaak_f32 v25, s39, v24, 0x3ca908c9
	v_fmaak_f32 v25, v24, v25, 0xbd5c1c4e
	s_delay_alu instid0(VALU_DEP_1) | instskip(NEXT) | instid1(VALU_DEP_1)
	v_fmaak_f32 v25, v24, v25, 0x3e088382
	v_fmaak_f32 v25, v24, v25, 0xbeaaaa99
	s_delay_alu instid0(VALU_DEP_1) | instskip(NEXT) | instid1(VALU_DEP_1)
	v_mul_f32_e64 v25, |v21|, v25
	v_fma_f32 v133, v24, v25, |v21|
.LBB25_168:                             ;   in Loop: Header=BB25_80 Depth=2
	s_wait_alu 0xfffe
	s_or_b32 exec_lo, exec_lo, s1
	v_cmp_ngt_f32_e64 s1, 0x3f200000, |v22|
                                        ; implicit-def: $vgpr134
	s_and_saveexec_b32 s3, s1
	s_wait_alu 0xfffe
	s_xor_b32 s1, exec_lo, s3
	s_cbranch_execz .LBB25_170
; %bb.169:                              ;   in Loop: Header=BB25_80 Depth=2
	v_add_f32_e64 v24, |v22|, |v22|
	s_delay_alu instid0(VALU_DEP_1) | instskip(SKIP_1) | instid1(VALU_DEP_2)
	v_mul_f32_e32 v25, 0x3fb8aa3b, v24
	v_cmp_ngt_f32_e32 vcc_lo, 0xc2ce8ed0, v24
	v_rndne_f32_e32 v26, v25
	v_fma_f32 v27, 0x3fb8aa3b, v24, -v25
	s_delay_alu instid0(VALU_DEP_2) | instskip(NEXT) | instid1(VALU_DEP_2)
	v_sub_f32_e32 v25, v25, v26
	v_fmac_f32_e32 v27, 0x32a5705f, v24
	v_cvt_i32_f32_e32 v26, v26
	s_delay_alu instid0(VALU_DEP_2) | instskip(NEXT) | instid1(VALU_DEP_1)
	v_add_f32_e32 v25, v25, v27
	v_exp_f32_e32 v25, v25
	s_delay_alu instid0(TRANS32_DEP_1) | instskip(SKIP_1) | instid1(VALU_DEP_1)
	v_ldexp_f32 v25, v25, v26
	s_wait_alu 0xfffd
	v_cndmask_b32_e32 v25, 0, v25, vcc_lo
	v_cmp_nlt_f32_e32 vcc_lo, 0x42b17218, v24
	s_wait_alu 0xfffd
	s_delay_alu instid0(VALU_DEP_2) | instskip(NEXT) | instid1(VALU_DEP_1)
	v_cndmask_b32_e32 v24, 0x7f800000, v25, vcc_lo
	v_add_f32_e32 v24, 1.0, v24
	s_delay_alu instid0(VALU_DEP_1) | instskip(NEXT) | instid1(TRANS32_DEP_1)
	v_rcp_f32_e32 v24, v24
	v_fma_f32 v134, v24, -2.0, 1.0
.LBB25_170:                             ;   in Loop: Header=BB25_80 Depth=2
	s_wait_alu 0xfffe
	s_and_not1_saveexec_b32 s1, s1
	s_cbranch_execz .LBB25_172
; %bb.171:                              ;   in Loop: Header=BB25_80 Depth=2
	v_mul_f32_e32 v24, v22, v22
	s_delay_alu instid0(VALU_DEP_1) | instskip(NEXT) | instid1(VALU_DEP_1)
	v_fmaak_f32 v25, s39, v24, 0x3ca908c9
	v_fmaak_f32 v25, v24, v25, 0xbd5c1c4e
	s_delay_alu instid0(VALU_DEP_1) | instskip(NEXT) | instid1(VALU_DEP_1)
	v_fmaak_f32 v25, v24, v25, 0x3e088382
	v_fmaak_f32 v25, v24, v25, 0xbeaaaa99
	s_delay_alu instid0(VALU_DEP_1) | instskip(NEXT) | instid1(VALU_DEP_1)
	v_mul_f32_e64 v25, |v22|, v25
	v_fma_f32 v134, v24, v25, |v22|
.LBB25_172:                             ;   in Loop: Header=BB25_80 Depth=2
	s_wait_alu 0xfffe
	s_or_b32 exec_lo, exec_lo, s1
	v_cmp_ngt_f32_e64 s1, 0x3f200000, |v23|
                                        ; implicit-def: $vgpr135
	s_and_saveexec_b32 s3, s1
	s_wait_alu 0xfffe
	s_xor_b32 s1, exec_lo, s3
	s_cbranch_execz .LBB25_174
; %bb.173:                              ;   in Loop: Header=BB25_80 Depth=2
	v_add_f32_e64 v24, |v23|, |v23|
	s_delay_alu instid0(VALU_DEP_1) | instskip(SKIP_1) | instid1(VALU_DEP_2)
	v_mul_f32_e32 v25, 0x3fb8aa3b, v24
	v_cmp_ngt_f32_e32 vcc_lo, 0xc2ce8ed0, v24
	v_rndne_f32_e32 v26, v25
	v_fma_f32 v27, 0x3fb8aa3b, v24, -v25
	s_delay_alu instid0(VALU_DEP_2) | instskip(NEXT) | instid1(VALU_DEP_2)
	v_sub_f32_e32 v25, v25, v26
	v_fmac_f32_e32 v27, 0x32a5705f, v24
	v_cvt_i32_f32_e32 v26, v26
	s_delay_alu instid0(VALU_DEP_2) | instskip(NEXT) | instid1(VALU_DEP_1)
	v_add_f32_e32 v25, v25, v27
	v_exp_f32_e32 v25, v25
	s_delay_alu instid0(TRANS32_DEP_1) | instskip(SKIP_1) | instid1(VALU_DEP_1)
	v_ldexp_f32 v25, v25, v26
	s_wait_alu 0xfffd
	v_cndmask_b32_e32 v25, 0, v25, vcc_lo
	v_cmp_nlt_f32_e32 vcc_lo, 0x42b17218, v24
	s_wait_alu 0xfffd
	s_delay_alu instid0(VALU_DEP_2) | instskip(NEXT) | instid1(VALU_DEP_1)
	v_cndmask_b32_e32 v24, 0x7f800000, v25, vcc_lo
	v_add_f32_e32 v24, 1.0, v24
	s_delay_alu instid0(VALU_DEP_1) | instskip(NEXT) | instid1(TRANS32_DEP_1)
	v_rcp_f32_e32 v24, v24
	v_fma_f32 v135, v24, -2.0, 1.0
.LBB25_174:                             ;   in Loop: Header=BB25_80 Depth=2
	s_wait_alu 0xfffe
	s_and_not1_saveexec_b32 s1, s1
	s_cbranch_execz .LBB25_176
; %bb.175:                              ;   in Loop: Header=BB25_80 Depth=2
	v_mul_f32_e32 v24, v23, v23
	s_delay_alu instid0(VALU_DEP_1) | instskip(NEXT) | instid1(VALU_DEP_1)
	v_fmaak_f32 v25, s39, v24, 0x3ca908c9
	v_fmaak_f32 v25, v24, v25, 0xbd5c1c4e
	s_delay_alu instid0(VALU_DEP_1) | instskip(NEXT) | instid1(VALU_DEP_1)
	v_fmaak_f32 v25, v24, v25, 0x3e088382
	v_fmaak_f32 v25, v24, v25, 0xbeaaaa99
	s_delay_alu instid0(VALU_DEP_1) | instskip(NEXT) | instid1(VALU_DEP_1)
	v_mul_f32_e64 v25, |v23|, v25
	v_fma_f32 v135, v24, v25, |v23|
.LBB25_176:                             ;   in Loop: Header=BB25_80 Depth=2
	s_wait_alu 0xfffe
	s_or_b32 exec_lo, exec_lo, s1
	v_wmma_f32_16x16x16_f16 v[24:31], v[124:127], v[92:95], 0
	s_delay_alu instid0(VALU_DEP_1) | instskip(NEXT) | instid1(VALU_DEP_1)
	v_wmma_f32_16x16x16_f16 v[24:31], v[120:123], v[88:91], v[24:31]
	v_wmma_f32_16x16x16_f16 v[24:31], v[116:119], v[84:87], v[24:31]
	s_delay_alu instid0(VALU_DEP_1) | instskip(NEXT) | instid1(VALU_DEP_1)
	v_wmma_f32_16x16x16_f16 v[24:31], v[112:115], v[80:83], v[24:31]
	;; [unrolled: 3-line block ×4, first 2 shown]
                                        ; implicit-def: $vgpr99
	v_cmp_ngt_f32_e64 s1, 0x3f200000, |v24|
	s_and_saveexec_b32 s3, s1
	s_wait_alu 0xfffe
	s_xor_b32 s1, exec_lo, s3
	s_cbranch_execz .LBB25_178
; %bb.177:                              ;   in Loop: Header=BB25_80 Depth=2
	v_add_f32_e64 v96, |v24|, |v24|
	s_delay_alu instid0(VALU_DEP_1) | instskip(SKIP_1) | instid1(VALU_DEP_2)
	v_mul_f32_e32 v97, 0x3fb8aa3b, v96
	v_cmp_ngt_f32_e32 vcc_lo, 0xc2ce8ed0, v96
	v_rndne_f32_e32 v98, v97
	v_fma_f32 v99, 0x3fb8aa3b, v96, -v97
	s_delay_alu instid0(VALU_DEP_2) | instskip(NEXT) | instid1(VALU_DEP_2)
	v_sub_f32_e32 v97, v97, v98
	v_fmac_f32_e32 v99, 0x32a5705f, v96
	v_cvt_i32_f32_e32 v98, v98
	s_delay_alu instid0(VALU_DEP_2) | instskip(NEXT) | instid1(VALU_DEP_1)
	v_add_f32_e32 v97, v97, v99
	v_exp_f32_e32 v97, v97
	s_delay_alu instid0(TRANS32_DEP_1) | instskip(SKIP_1) | instid1(VALU_DEP_1)
	v_ldexp_f32 v97, v97, v98
	s_wait_alu 0xfffd
	v_cndmask_b32_e32 v97, 0, v97, vcc_lo
	v_cmp_nlt_f32_e32 vcc_lo, 0x42b17218, v96
	s_wait_alu 0xfffd
	s_delay_alu instid0(VALU_DEP_2) | instskip(NEXT) | instid1(VALU_DEP_1)
	v_cndmask_b32_e32 v96, 0x7f800000, v97, vcc_lo
	v_add_f32_e32 v96, 1.0, v96
	s_delay_alu instid0(VALU_DEP_1) | instskip(NEXT) | instid1(TRANS32_DEP_1)
	v_rcp_f32_e32 v96, v96
	v_fma_f32 v99, v96, -2.0, 1.0
.LBB25_178:                             ;   in Loop: Header=BB25_80 Depth=2
	s_wait_alu 0xfffe
	s_and_not1_saveexec_b32 s1, s1
	s_cbranch_execz .LBB25_180
; %bb.179:                              ;   in Loop: Header=BB25_80 Depth=2
	v_mul_f32_e32 v96, v24, v24
	s_delay_alu instid0(VALU_DEP_1) | instskip(NEXT) | instid1(VALU_DEP_1)
	v_fmaak_f32 v97, s39, v96, 0x3ca908c9
	v_fmaak_f32 v97, v96, v97, 0xbd5c1c4e
	s_delay_alu instid0(VALU_DEP_1) | instskip(NEXT) | instid1(VALU_DEP_1)
	v_fmaak_f32 v97, v96, v97, 0x3e088382
	v_fmaak_f32 v97, v96, v97, 0xbeaaaa99
	s_delay_alu instid0(VALU_DEP_1) | instskip(NEXT) | instid1(VALU_DEP_1)
	v_mul_f32_e64 v97, |v24|, v97
	v_fma_f32 v99, v96, v97, |v24|
.LBB25_180:                             ;   in Loop: Header=BB25_80 Depth=2
	s_wait_alu 0xfffe
	s_or_b32 exec_lo, exec_lo, s1
	v_cmp_ngt_f32_e64 s1, 0x3f200000, |v25|
                                        ; implicit-def: $vgpr100
	s_and_saveexec_b32 s3, s1
	s_wait_alu 0xfffe
	s_xor_b32 s1, exec_lo, s3
	s_cbranch_execz .LBB25_182
; %bb.181:                              ;   in Loop: Header=BB25_80 Depth=2
	v_add_f32_e64 v96, |v25|, |v25|
	s_delay_alu instid0(VALU_DEP_1) | instskip(SKIP_1) | instid1(VALU_DEP_2)
	v_mul_f32_e32 v97, 0x3fb8aa3b, v96
	v_cmp_ngt_f32_e32 vcc_lo, 0xc2ce8ed0, v96
	v_rndne_f32_e32 v98, v97
	v_fma_f32 v100, 0x3fb8aa3b, v96, -v97
	s_delay_alu instid0(VALU_DEP_1) | instskip(SKIP_1) | instid1(VALU_DEP_2)
	v_dual_sub_f32 v97, v97, v98 :: v_dual_fmac_f32 v100, 0x32a5705f, v96
	v_cvt_i32_f32_e32 v98, v98
	v_add_f32_e32 v97, v97, v100
	s_delay_alu instid0(VALU_DEP_1) | instskip(NEXT) | instid1(TRANS32_DEP_1)
	v_exp_f32_e32 v97, v97
	v_ldexp_f32 v97, v97, v98
	s_wait_alu 0xfffd
	s_delay_alu instid0(VALU_DEP_1) | instskip(SKIP_2) | instid1(VALU_DEP_2)
	v_cndmask_b32_e32 v97, 0, v97, vcc_lo
	v_cmp_nlt_f32_e32 vcc_lo, 0x42b17218, v96
	s_wait_alu 0xfffd
	v_cndmask_b32_e32 v96, 0x7f800000, v97, vcc_lo
	s_delay_alu instid0(VALU_DEP_1) | instskip(NEXT) | instid1(VALU_DEP_1)
	v_add_f32_e32 v96, 1.0, v96
	v_rcp_f32_e32 v96, v96
	s_delay_alu instid0(TRANS32_DEP_1)
	v_fma_f32 v100, v96, -2.0, 1.0
.LBB25_182:                             ;   in Loop: Header=BB25_80 Depth=2
	s_wait_alu 0xfffe
	s_and_not1_saveexec_b32 s1, s1
	s_cbranch_execz .LBB25_184
; %bb.183:                              ;   in Loop: Header=BB25_80 Depth=2
	v_mul_f32_e32 v96, v25, v25
	s_delay_alu instid0(VALU_DEP_1) | instskip(NEXT) | instid1(VALU_DEP_1)
	v_fmaak_f32 v97, s39, v96, 0x3ca908c9
	v_fmaak_f32 v97, v96, v97, 0xbd5c1c4e
	s_delay_alu instid0(VALU_DEP_1) | instskip(NEXT) | instid1(VALU_DEP_1)
	v_fmaak_f32 v97, v96, v97, 0x3e088382
	v_fmaak_f32 v97, v96, v97, 0xbeaaaa99
	s_delay_alu instid0(VALU_DEP_1) | instskip(NEXT) | instid1(VALU_DEP_1)
	v_mul_f32_e64 v97, |v25|, v97
	v_fma_f32 v100, v96, v97, |v25|
.LBB25_184:                             ;   in Loop: Header=BB25_80 Depth=2
	s_wait_alu 0xfffe
	s_or_b32 exec_lo, exec_lo, s1
	v_cmp_ngt_f32_e64 s1, 0x3f200000, |v26|
                                        ; implicit-def: $vgpr101
	s_and_saveexec_b32 s3, s1
	s_wait_alu 0xfffe
	s_xor_b32 s1, exec_lo, s3
	s_cbranch_execz .LBB25_186
; %bb.185:                              ;   in Loop: Header=BB25_80 Depth=2
	v_add_f32_e64 v96, |v26|, |v26|
	s_delay_alu instid0(VALU_DEP_1) | instskip(SKIP_1) | instid1(VALU_DEP_2)
	v_mul_f32_e32 v97, 0x3fb8aa3b, v96
	v_cmp_ngt_f32_e32 vcc_lo, 0xc2ce8ed0, v96
	v_rndne_f32_e32 v98, v97
	v_fma_f32 v101, 0x3fb8aa3b, v96, -v97
	s_delay_alu instid0(VALU_DEP_2) | instskip(NEXT) | instid1(VALU_DEP_2)
	v_sub_f32_e32 v97, v97, v98
	v_fmac_f32_e32 v101, 0x32a5705f, v96
	v_cvt_i32_f32_e32 v98, v98
	s_delay_alu instid0(VALU_DEP_2) | instskip(NEXT) | instid1(VALU_DEP_1)
	v_add_f32_e32 v97, v97, v101
	v_exp_f32_e32 v97, v97
	s_delay_alu instid0(TRANS32_DEP_1) | instskip(SKIP_1) | instid1(VALU_DEP_1)
	v_ldexp_f32 v97, v97, v98
	s_wait_alu 0xfffd
	v_cndmask_b32_e32 v97, 0, v97, vcc_lo
	v_cmp_nlt_f32_e32 vcc_lo, 0x42b17218, v96
	s_wait_alu 0xfffd
	s_delay_alu instid0(VALU_DEP_2) | instskip(NEXT) | instid1(VALU_DEP_1)
	v_cndmask_b32_e32 v96, 0x7f800000, v97, vcc_lo
	v_add_f32_e32 v96, 1.0, v96
	s_delay_alu instid0(VALU_DEP_1) | instskip(NEXT) | instid1(TRANS32_DEP_1)
	v_rcp_f32_e32 v96, v96
	v_fma_f32 v101, v96, -2.0, 1.0
.LBB25_186:                             ;   in Loop: Header=BB25_80 Depth=2
	s_wait_alu 0xfffe
	s_and_not1_saveexec_b32 s1, s1
	s_cbranch_execz .LBB25_188
; %bb.187:                              ;   in Loop: Header=BB25_80 Depth=2
	v_mul_f32_e32 v96, v26, v26
	s_delay_alu instid0(VALU_DEP_1) | instskip(NEXT) | instid1(VALU_DEP_1)
	v_fmaak_f32 v97, s39, v96, 0x3ca908c9
	v_fmaak_f32 v97, v96, v97, 0xbd5c1c4e
	s_delay_alu instid0(VALU_DEP_1) | instskip(NEXT) | instid1(VALU_DEP_1)
	v_fmaak_f32 v97, v96, v97, 0x3e088382
	v_fmaak_f32 v97, v96, v97, 0xbeaaaa99
	s_delay_alu instid0(VALU_DEP_1) | instskip(NEXT) | instid1(VALU_DEP_1)
	v_mul_f32_e64 v97, |v26|, v97
	v_fma_f32 v101, v96, v97, |v26|
.LBB25_188:                             ;   in Loop: Header=BB25_80 Depth=2
	s_wait_alu 0xfffe
	s_or_b32 exec_lo, exec_lo, s1
	v_cmp_ngt_f32_e64 s1, 0x3f200000, |v27|
                                        ; implicit-def: $vgpr102
	s_and_saveexec_b32 s3, s1
	s_wait_alu 0xfffe
	s_xor_b32 s1, exec_lo, s3
	s_cbranch_execz .LBB25_190
; %bb.189:                              ;   in Loop: Header=BB25_80 Depth=2
	v_add_f32_e64 v96, |v27|, |v27|
	s_delay_alu instid0(VALU_DEP_1) | instskip(SKIP_1) | instid1(VALU_DEP_2)
	v_mul_f32_e32 v97, 0x3fb8aa3b, v96
	v_cmp_ngt_f32_e32 vcc_lo, 0xc2ce8ed0, v96
	v_rndne_f32_e32 v98, v97
	v_fma_f32 v102, 0x3fb8aa3b, v96, -v97
	s_delay_alu instid0(VALU_DEP_1) | instskip(SKIP_1) | instid1(VALU_DEP_2)
	v_dual_sub_f32 v97, v97, v98 :: v_dual_fmac_f32 v102, 0x32a5705f, v96
	v_cvt_i32_f32_e32 v98, v98
	v_add_f32_e32 v97, v97, v102
	s_delay_alu instid0(VALU_DEP_1) | instskip(NEXT) | instid1(TRANS32_DEP_1)
	v_exp_f32_e32 v97, v97
	v_ldexp_f32 v97, v97, v98
	s_wait_alu 0xfffd
	s_delay_alu instid0(VALU_DEP_1) | instskip(SKIP_2) | instid1(VALU_DEP_2)
	v_cndmask_b32_e32 v97, 0, v97, vcc_lo
	v_cmp_nlt_f32_e32 vcc_lo, 0x42b17218, v96
	s_wait_alu 0xfffd
	v_cndmask_b32_e32 v96, 0x7f800000, v97, vcc_lo
	s_delay_alu instid0(VALU_DEP_1) | instskip(NEXT) | instid1(VALU_DEP_1)
	v_add_f32_e32 v96, 1.0, v96
	v_rcp_f32_e32 v96, v96
	s_delay_alu instid0(TRANS32_DEP_1)
	v_fma_f32 v102, v96, -2.0, 1.0
.LBB25_190:                             ;   in Loop: Header=BB25_80 Depth=2
	s_wait_alu 0xfffe
	s_and_not1_saveexec_b32 s1, s1
	s_cbranch_execz .LBB25_192
; %bb.191:                              ;   in Loop: Header=BB25_80 Depth=2
	v_mul_f32_e32 v96, v27, v27
	s_delay_alu instid0(VALU_DEP_1) | instskip(NEXT) | instid1(VALU_DEP_1)
	v_fmaak_f32 v97, s39, v96, 0x3ca908c9
	v_fmaak_f32 v97, v96, v97, 0xbd5c1c4e
	s_delay_alu instid0(VALU_DEP_1) | instskip(NEXT) | instid1(VALU_DEP_1)
	v_fmaak_f32 v97, v96, v97, 0x3e088382
	v_fmaak_f32 v97, v96, v97, 0xbeaaaa99
	s_delay_alu instid0(VALU_DEP_1) | instskip(NEXT) | instid1(VALU_DEP_1)
	v_mul_f32_e64 v97, |v27|, v97
	v_fma_f32 v102, v96, v97, |v27|
.LBB25_192:                             ;   in Loop: Header=BB25_80 Depth=2
	s_wait_alu 0xfffe
	s_or_b32 exec_lo, exec_lo, s1
	v_cmp_ngt_f32_e64 s1, 0x3f200000, |v28|
                                        ; implicit-def: $vgpr103
	s_and_saveexec_b32 s3, s1
	s_wait_alu 0xfffe
	s_xor_b32 s1, exec_lo, s3
	s_cbranch_execz .LBB25_194
; %bb.193:                              ;   in Loop: Header=BB25_80 Depth=2
	v_add_f32_e64 v96, |v28|, |v28|
	s_delay_alu instid0(VALU_DEP_1) | instskip(SKIP_1) | instid1(VALU_DEP_2)
	v_mul_f32_e32 v97, 0x3fb8aa3b, v96
	v_cmp_ngt_f32_e32 vcc_lo, 0xc2ce8ed0, v96
	v_rndne_f32_e32 v98, v97
	v_fma_f32 v103, 0x3fb8aa3b, v96, -v97
	s_delay_alu instid0(VALU_DEP_2) | instskip(NEXT) | instid1(VALU_DEP_2)
	v_sub_f32_e32 v97, v97, v98
	v_fmac_f32_e32 v103, 0x32a5705f, v96
	v_cvt_i32_f32_e32 v98, v98
	s_delay_alu instid0(VALU_DEP_2) | instskip(NEXT) | instid1(VALU_DEP_1)
	v_add_f32_e32 v97, v97, v103
	v_exp_f32_e32 v97, v97
	s_delay_alu instid0(TRANS32_DEP_1) | instskip(SKIP_1) | instid1(VALU_DEP_1)
	v_ldexp_f32 v97, v97, v98
	s_wait_alu 0xfffd
	v_cndmask_b32_e32 v97, 0, v97, vcc_lo
	v_cmp_nlt_f32_e32 vcc_lo, 0x42b17218, v96
	s_wait_alu 0xfffd
	s_delay_alu instid0(VALU_DEP_2) | instskip(NEXT) | instid1(VALU_DEP_1)
	v_cndmask_b32_e32 v96, 0x7f800000, v97, vcc_lo
	v_add_f32_e32 v96, 1.0, v96
	s_delay_alu instid0(VALU_DEP_1) | instskip(NEXT) | instid1(TRANS32_DEP_1)
	v_rcp_f32_e32 v96, v96
	v_fma_f32 v103, v96, -2.0, 1.0
.LBB25_194:                             ;   in Loop: Header=BB25_80 Depth=2
	s_wait_alu 0xfffe
	s_and_not1_saveexec_b32 s1, s1
	s_cbranch_execz .LBB25_196
; %bb.195:                              ;   in Loop: Header=BB25_80 Depth=2
	v_mul_f32_e32 v96, v28, v28
	s_delay_alu instid0(VALU_DEP_1) | instskip(NEXT) | instid1(VALU_DEP_1)
	v_fmaak_f32 v97, s39, v96, 0x3ca908c9
	v_fmaak_f32 v97, v96, v97, 0xbd5c1c4e
	s_delay_alu instid0(VALU_DEP_1) | instskip(NEXT) | instid1(VALU_DEP_1)
	v_fmaak_f32 v97, v96, v97, 0x3e088382
	v_fmaak_f32 v97, v96, v97, 0xbeaaaa99
	s_delay_alu instid0(VALU_DEP_1) | instskip(NEXT) | instid1(VALU_DEP_1)
	v_mul_f32_e64 v97, |v28|, v97
	v_fma_f32 v103, v96, v97, |v28|
.LBB25_196:                             ;   in Loop: Header=BB25_80 Depth=2
	s_wait_alu 0xfffe
	s_or_b32 exec_lo, exec_lo, s1
	v_cmp_ngt_f32_e64 s1, 0x3f200000, |v29|
                                        ; implicit-def: $vgpr104
	s_and_saveexec_b32 s3, s1
	s_wait_alu 0xfffe
	s_xor_b32 s1, exec_lo, s3
	s_cbranch_execz .LBB25_198
; %bb.197:                              ;   in Loop: Header=BB25_80 Depth=2
	v_add_f32_e64 v96, |v29|, |v29|
	s_delay_alu instid0(VALU_DEP_1) | instskip(SKIP_1) | instid1(VALU_DEP_2)
	v_mul_f32_e32 v97, 0x3fb8aa3b, v96
	v_cmp_ngt_f32_e32 vcc_lo, 0xc2ce8ed0, v96
	v_rndne_f32_e32 v98, v97
	v_fma_f32 v104, 0x3fb8aa3b, v96, -v97
	s_delay_alu instid0(VALU_DEP_1) | instskip(SKIP_1) | instid1(VALU_DEP_2)
	v_dual_sub_f32 v97, v97, v98 :: v_dual_fmac_f32 v104, 0x32a5705f, v96
	v_cvt_i32_f32_e32 v98, v98
	v_add_f32_e32 v97, v97, v104
	s_delay_alu instid0(VALU_DEP_1) | instskip(NEXT) | instid1(TRANS32_DEP_1)
	v_exp_f32_e32 v97, v97
	v_ldexp_f32 v97, v97, v98
	s_wait_alu 0xfffd
	s_delay_alu instid0(VALU_DEP_1) | instskip(SKIP_2) | instid1(VALU_DEP_2)
	v_cndmask_b32_e32 v97, 0, v97, vcc_lo
	v_cmp_nlt_f32_e32 vcc_lo, 0x42b17218, v96
	s_wait_alu 0xfffd
	v_cndmask_b32_e32 v96, 0x7f800000, v97, vcc_lo
	s_delay_alu instid0(VALU_DEP_1) | instskip(NEXT) | instid1(VALU_DEP_1)
	v_add_f32_e32 v96, 1.0, v96
	v_rcp_f32_e32 v96, v96
	s_delay_alu instid0(TRANS32_DEP_1)
	v_fma_f32 v104, v96, -2.0, 1.0
.LBB25_198:                             ;   in Loop: Header=BB25_80 Depth=2
	s_wait_alu 0xfffe
	s_and_not1_saveexec_b32 s1, s1
	s_cbranch_execz .LBB25_200
; %bb.199:                              ;   in Loop: Header=BB25_80 Depth=2
	v_mul_f32_e32 v96, v29, v29
	s_delay_alu instid0(VALU_DEP_1) | instskip(NEXT) | instid1(VALU_DEP_1)
	v_fmaak_f32 v97, s39, v96, 0x3ca908c9
	v_fmaak_f32 v97, v96, v97, 0xbd5c1c4e
	s_delay_alu instid0(VALU_DEP_1) | instskip(NEXT) | instid1(VALU_DEP_1)
	v_fmaak_f32 v97, v96, v97, 0x3e088382
	v_fmaak_f32 v97, v96, v97, 0xbeaaaa99
	s_delay_alu instid0(VALU_DEP_1) | instskip(NEXT) | instid1(VALU_DEP_1)
	v_mul_f32_e64 v97, |v29|, v97
	v_fma_f32 v104, v96, v97, |v29|
.LBB25_200:                             ;   in Loop: Header=BB25_80 Depth=2
	s_wait_alu 0xfffe
	s_or_b32 exec_lo, exec_lo, s1
	v_cmp_ngt_f32_e64 s1, 0x3f200000, |v30|
                                        ; implicit-def: $vgpr105
	s_and_saveexec_b32 s3, s1
	s_wait_alu 0xfffe
	s_xor_b32 s1, exec_lo, s3
	s_cbranch_execz .LBB25_202
; %bb.201:                              ;   in Loop: Header=BB25_80 Depth=2
	v_add_f32_e64 v96, |v30|, |v30|
	s_delay_alu instid0(VALU_DEP_1) | instskip(SKIP_1) | instid1(VALU_DEP_2)
	v_mul_f32_e32 v97, 0x3fb8aa3b, v96
	v_cmp_ngt_f32_e32 vcc_lo, 0xc2ce8ed0, v96
	v_rndne_f32_e32 v98, v97
	v_fma_f32 v105, 0x3fb8aa3b, v96, -v97
	s_delay_alu instid0(VALU_DEP_2) | instskip(NEXT) | instid1(VALU_DEP_2)
	v_sub_f32_e32 v97, v97, v98
	v_fmac_f32_e32 v105, 0x32a5705f, v96
	v_cvt_i32_f32_e32 v98, v98
	s_delay_alu instid0(VALU_DEP_2) | instskip(NEXT) | instid1(VALU_DEP_1)
	v_add_f32_e32 v97, v97, v105
	v_exp_f32_e32 v97, v97
	s_delay_alu instid0(TRANS32_DEP_1) | instskip(SKIP_1) | instid1(VALU_DEP_1)
	v_ldexp_f32 v97, v97, v98
	s_wait_alu 0xfffd
	v_cndmask_b32_e32 v97, 0, v97, vcc_lo
	v_cmp_nlt_f32_e32 vcc_lo, 0x42b17218, v96
	s_wait_alu 0xfffd
	s_delay_alu instid0(VALU_DEP_2) | instskip(NEXT) | instid1(VALU_DEP_1)
	v_cndmask_b32_e32 v96, 0x7f800000, v97, vcc_lo
	v_add_f32_e32 v96, 1.0, v96
	s_delay_alu instid0(VALU_DEP_1) | instskip(NEXT) | instid1(TRANS32_DEP_1)
	v_rcp_f32_e32 v96, v96
	v_fma_f32 v105, v96, -2.0, 1.0
.LBB25_202:                             ;   in Loop: Header=BB25_80 Depth=2
	s_wait_alu 0xfffe
	s_and_not1_saveexec_b32 s1, s1
	s_cbranch_execz .LBB25_204
; %bb.203:                              ;   in Loop: Header=BB25_80 Depth=2
	v_mul_f32_e32 v96, v30, v30
	s_delay_alu instid0(VALU_DEP_1) | instskip(NEXT) | instid1(VALU_DEP_1)
	v_fmaak_f32 v97, s39, v96, 0x3ca908c9
	v_fmaak_f32 v97, v96, v97, 0xbd5c1c4e
	s_delay_alu instid0(VALU_DEP_1) | instskip(NEXT) | instid1(VALU_DEP_1)
	v_fmaak_f32 v97, v96, v97, 0x3e088382
	v_fmaak_f32 v97, v96, v97, 0xbeaaaa99
	s_delay_alu instid0(VALU_DEP_1) | instskip(NEXT) | instid1(VALU_DEP_1)
	v_mul_f32_e64 v97, |v30|, v97
	v_fma_f32 v105, v96, v97, |v30|
.LBB25_204:                             ;   in Loop: Header=BB25_80 Depth=2
	s_wait_alu 0xfffe
	s_or_b32 exec_lo, exec_lo, s1
	v_cmp_ngt_f32_e64 s1, 0x3f200000, |v31|
                                        ; implicit-def: $vgpr106
	s_and_saveexec_b32 s3, s1
	s_wait_alu 0xfffe
	s_xor_b32 s1, exec_lo, s3
	s_cbranch_execz .LBB25_206
; %bb.205:                              ;   in Loop: Header=BB25_80 Depth=2
	v_add_f32_e64 v96, |v31|, |v31|
	s_delay_alu instid0(VALU_DEP_1) | instskip(SKIP_1) | instid1(VALU_DEP_2)
	v_mul_f32_e32 v97, 0x3fb8aa3b, v96
	v_cmp_ngt_f32_e32 vcc_lo, 0xc2ce8ed0, v96
	v_rndne_f32_e32 v98, v97
	v_fma_f32 v106, 0x3fb8aa3b, v96, -v97
	s_delay_alu instid0(VALU_DEP_1) | instskip(SKIP_1) | instid1(VALU_DEP_2)
	v_dual_sub_f32 v97, v97, v98 :: v_dual_fmac_f32 v106, 0x32a5705f, v96
	v_cvt_i32_f32_e32 v98, v98
	v_add_f32_e32 v97, v97, v106
	s_delay_alu instid0(VALU_DEP_1) | instskip(NEXT) | instid1(TRANS32_DEP_1)
	v_exp_f32_e32 v97, v97
	v_ldexp_f32 v97, v97, v98
	s_wait_alu 0xfffd
	s_delay_alu instid0(VALU_DEP_1) | instskip(SKIP_2) | instid1(VALU_DEP_2)
	v_cndmask_b32_e32 v97, 0, v97, vcc_lo
	v_cmp_nlt_f32_e32 vcc_lo, 0x42b17218, v96
	s_wait_alu 0xfffd
	v_cndmask_b32_e32 v96, 0x7f800000, v97, vcc_lo
	s_delay_alu instid0(VALU_DEP_1) | instskip(NEXT) | instid1(VALU_DEP_1)
	v_add_f32_e32 v96, 1.0, v96
	v_rcp_f32_e32 v96, v96
	s_delay_alu instid0(TRANS32_DEP_1)
	v_fma_f32 v106, v96, -2.0, 1.0
.LBB25_206:                             ;   in Loop: Header=BB25_80 Depth=2
	s_wait_alu 0xfffe
	s_and_not1_saveexec_b32 s1, s1
	s_cbranch_execz .LBB25_208
; %bb.207:                              ;   in Loop: Header=BB25_80 Depth=2
	v_mul_f32_e32 v96, v31, v31
	s_delay_alu instid0(VALU_DEP_1) | instskip(NEXT) | instid1(VALU_DEP_1)
	v_fmaak_f32 v97, s39, v96, 0x3ca908c9
	v_fmaak_f32 v97, v96, v97, 0xbd5c1c4e
	s_delay_alu instid0(VALU_DEP_1) | instskip(NEXT) | instid1(VALU_DEP_1)
	v_fmaak_f32 v97, v96, v97, 0x3e088382
	v_fmaak_f32 v97, v96, v97, 0xbeaaaa99
	s_delay_alu instid0(VALU_DEP_1) | instskip(NEXT) | instid1(VALU_DEP_1)
	v_mul_f32_e64 v97, |v31|, v97
	v_fma_f32 v106, v96, v97, |v31|
.LBB25_208:                             ;   in Loop: Header=BB25_80 Depth=2
	s_wait_alu 0xfffe
	s_or_b32 exec_lo, exec_lo, s1
	s_mul_u64 s[4:5], s[92:93], s[26:27]
	v_bfi_b32 v96, 0x7fffffff, v179, v0
	s_wait_alu 0xfffe
	s_lshl_b64 s[4:5], s[4:5], 2
	v_bfi_b32 v0, 0x7fffffff, v184, v4
	s_wait_alu 0xfffe
	s_add_nc_u64 s[4:5], s[76:77], s[4:5]
	v_bfi_b32 v4, 0x7fffffff, v152, v8
	v_bfi_b32 v8, 0x7fffffff, v155, v11
	;; [unrolled: 1-line block ×5, first 2 shown]
	s_wait_alu 0xfffe
	v_add_co_u32 v29, vcc_lo, s4, v208
	v_bfi_b32 v97, 0x7fffffff, v181, v1
	v_bfi_b32 v1, 0x7fffffff, v185, v5
	v_bfi_b32 v5, 0x7fffffff, v153, v9
	v_bfi_b32 v9, 0x7fffffff, v156, v12
	v_bfi_b32 v12, 0x7fffffff, v159, v15
	v_bfi_b32 v15, 0x7fffffff, v129, v17
	v_bfi_b32 v17, 0x7fffffff, v131, v19
	v_bfi_b32 v19, 0x7fffffff, v133, v21
	v_bfi_b32 v21, 0x7fffffff, v99, v24
	v_bfi_b32 v24, 0x7fffffff, v102, v27
	v_bfi_b32 v27, 0x7fffffff, v105, v30
	s_wait_alu 0xfffd
	v_add_co_ci_u32_e64 v30, null, s5, v209, vcc_lo
	v_add_co_u32 v29, vcc_lo, v29, v240
	v_bfi_b32 v98, 0x7fffffff, v182, v2
	v_bfi_b32 v2, 0x7fffffff, v186, v6
	v_bfi_b32 v6, 0x7fffffff, v154, v10
	v_bfi_b32 v10, 0x7fffffff, v158, v13
	v_bfi_b32 v13, 0x7fffffff, v157, v14
	v_bfi_b32 v14, 0x7fffffff, v128, v16
	v_bfi_b32 v16, 0x7fffffff, v130, v18
	v_bfi_b32 v18, 0x7fffffff, v132, v20
	v_bfi_b32 v20, 0x7fffffff, v134, v22
	v_bfi_b32 v22, 0x7fffffff, v100, v25
	v_bfi_b32 v25, 0x7fffffff, v103, v28
	v_bfi_b32 v28, 0x7fffffff, v106, v31
	s_wait_alu 0xfffd
	v_add_co_ci_u32_e64 v30, null, 0, v30, vcc_lo
	v_add_co_u32 v31, vcc_lo, s4, v210
	s_wait_alu 0xfffd
	v_add_co_ci_u32_e64 v99, null, s5, v211, vcc_lo
	v_add_nc_u32_e32 v100, 0x4400, v198
	s_delay_alu instid0(VALU_DEP_3)
	v_add_co_u32 v103, vcc_lo, v31, v240
	v_add_nc_u32_e32 v31, 0x4400, v202
	s_wait_alu 0xfffd
	v_add_co_ci_u32_e64 v104, null, 0, v99, vcc_lo
	v_add_nc_u32_e32 v99, 0x4400, v197
	ds_load_2addr_b32 v[107:108], v31 offset1:1
	ds_load_b32 v121, v202 offset:17416
	ds_load_2addr_b32 v[109:110], v99 offset1:1
	ds_load_b32 v122, v194 offset:17408
	v_add_nc_u32_e32 v31, 0x4400, v196
	v_add_nc_u32_e32 v99, 0x4400, v199
	;; [unrolled: 1-line block ×4, first 2 shown]
	ds_load_2addr_b32 v[111:112], v31 offset1:1
	ds_load_2addr_b32 v[113:114], v99 offset1:1
	;; [unrolled: 1-line block ×5, first 2 shown]
	s_clause 0x1
	global_load_b128 v[99:102], v[29:30], off
	global_load_b128 v[103:106], v[103:104], off
	v_add_co_u32 v29, vcc_lo, s4, v229
	s_wait_alu 0xfffd
	v_add_co_ci_u32_e64 v30, null, s5, v230, vcc_lo
	v_bfi_b32 v3, 0x7fffffff, v183, v3
	s_delay_alu instid0(VALU_DEP_3) | instskip(SKIP_1) | instid1(VALU_DEP_3)
	v_add_co_u32 v29, vcc_lo, v29, v240
	s_wait_alu 0xfffd
	v_add_co_ci_u32_e64 v30, null, 0, v30, vcc_lo
	v_add_co_u32 v31, vcc_lo, s4, v231
	s_wait_dscnt 0x8
	v_fma_mix_f32 v123, s7, v96, v107 op_sel_hi:[0,0,1]
	v_fma_mix_f32 v124, s7, v97, v107 op_sel:[0,0,1] op_sel_hi:[0,0,1]
	v_fma_mix_f32 v125, s7, v98, v108 op_sel_hi:[0,0,1]
	v_fma_mix_f32 v126, s7, v3, v108 op_sel:[0,0,1] op_sel_hi:[0,0,1]
	s_wait_dscnt 0x7
	v_fma_mix_f32 v0, s7, v0, v121 op_sel_hi:[0,0,1]
	v_add_f32_e32 v3, 0x40051340, v123
	v_fma_mix_f32 v1, s7, v1, v121 op_sel:[0,0,1] op_sel_hi:[0,0,1]
	s_wait_dscnt 0x5
	v_fma_mix_f32 v2, s7, v2, v122 op_sel_hi:[0,0,1]
	v_bfi_b32 v7, 0x7fffffff, v187, v7
	s_wait_dscnt 0x4
	v_fma_mix_f32 v108, s7, v9, v111 op_sel_hi:[0,0,1]
	v_fma_mix_f32 v107, s7, v10, v111 op_sel:[0,0,1] op_sel_hi:[0,0,1]
	s_wait_dscnt 0x2
	v_fma_mix_f32 v98, s7, v20, v116 op_sel_hi:[0,0,1]
	v_fma_mix_f32 v96, s7, v17, v114 op_sel:[0,0,1] op_sel_hi:[0,0,1]
	;; [unrolled: 3-line block ×3, first 2 shown]
	v_fma_mix_f32 v11, s7, v24, v118 op_sel:[0,0,1] op_sel_hi:[0,0,1]
	s_add_co_i32 s51, s51, 1
	s_add_co_i32 s92, s92, 64
	s_cmp_lt_i32 s51, s0
	s_wait_loadcnt 0x1
	ds_store_b128 v201, v[99:102]
	s_wait_loadcnt 0x0
	ds_store_b128 v188, v[103:106]
	s_wait_alu 0xfffd
	v_add_co_ci_u32_e64 v99, null, s5, v232, vcc_lo
	v_add_co_u32 v103, vcc_lo, v31, v240
	s_wait_alu 0xfffd
	s_delay_alu instid0(VALU_DEP_2)
	v_add_co_ci_u32_e64 v104, null, 0, v99, vcc_lo
	s_clause 0x1
	global_load_b128 v[99:102], v[29:30], off
	global_load_b128 v[103:106], v[103:104], off
	v_add_co_u32 v29, vcc_lo, s4, v233
	s_wait_alu 0xfffd
	v_add_co_ci_u32_e64 v30, null, s5, v234, vcc_lo
	s_wait_loadcnt 0x1
	ds_store_b128 v189, v[99:102]
	s_wait_loadcnt 0x0
	ds_store_b128 v191, v[103:106]
	v_add_co_u32 v29, vcc_lo, v29, v240
	s_wait_alu 0xfffd
	v_add_co_ci_u32_e64 v30, null, 0, v30, vcc_lo
	v_add_co_u32 v31, vcc_lo, s4, v235
	s_wait_alu 0xfffd
	v_add_co_ci_u32_e64 v99, null, s5, v236, vcc_lo
	s_delay_alu instid0(VALU_DEP_2) | instskip(SKIP_1) | instid1(VALU_DEP_2)
	v_add_co_u32 v103, vcc_lo, v31, v240
	s_wait_alu 0xfffd
	v_add_co_ci_u32_e64 v104, null, 0, v99, vcc_lo
	s_clause 0x1
	global_load_b128 v[99:102], v[29:30], off
	global_load_b128 v[103:106], v[103:104], off
	v_add_co_u32 v29, vcc_lo, s4, v244
	s_wait_alu 0xfffd
	v_add_co_ci_u32_e64 v30, null, s5, v245, vcc_lo
	s_wait_loadcnt 0x1
	ds_store_b128 v190, v[99:102]
	s_wait_loadcnt 0x0
	ds_store_b128 v193, v[103:106]
	v_add_co_u32 v29, vcc_lo, v29, v240
	s_wait_alu 0xfffd
	v_add_co_ci_u32_e64 v30, null, 0, v30, vcc_lo
	v_add_co_u32 v31, vcc_lo, s4, v247
	s_wait_alu 0xfffd
	v_add_co_ci_u32_e64 v99, null, s5, v248, vcc_lo
	s_delay_alu instid0(VALU_DEP_2) | instskip(SKIP_1) | instid1(VALU_DEP_2)
	v_add_co_u32 v103, vcc_lo, v31, v240
	s_wait_alu 0xfffd
	v_add_co_ci_u32_e64 v104, null, 0, v99, vcc_lo
	s_clause 0x1
	global_load_b128 v[99:102], v[29:30], off
	global_load_b128 v[103:106], v[103:104], off
	v_fma_mix_f32 v29, s7, v14, v113 op_sel_hi:[0,0,1]
	v_fma_mix_f32 v31, s7, v16, v114 op_sel_hi:[0,0,1]
	v_fma_mix_f32 v30, s7, v15, v113 op_sel:[0,0,1] op_sel_hi:[0,0,1]
	s_wait_dscnt 0x6
	v_fma_mix_f32 v15, s7, v25, v119 op_sel_hi:[0,0,1]
	v_fma_mix_f32 v14, s7, v26, v119 op_sel:[0,0,1] op_sel_hi:[0,0,1]
	s_wait_loadcnt 0x1
	ds_store_b128 v192, v[99:102]
	s_wait_loadcnt 0x0
	ds_store_b128 v195, v[103:106]
	v_fma_mix_f32 v103, s7, v6, v110 op_sel_hi:[0,0,1]
	v_add_f32_e32 v6, 0x40051340, v124
	v_fma_mix_f32 v101, s7, v4, v109 op_sel_hi:[0,0,1]
	v_fma_mix_f32 v104, s7, v8, v110 op_sel:[0,0,1] op_sel_hi:[0,0,1]
	v_add_f32_e32 v8, 0x40051340, v126
	v_fma_mix_f32 v102, s7, v5, v109 op_sel:[0,0,1] op_sel_hi:[0,0,1]
	v_max3_num_f32 v3, v180, v3, v6
	v_add_f32_e32 v6, 0x40051340, v125
	v_fma_mix_f32 v106, s7, v13, v112 op_sel_hi:[0,0,1]
	v_fma_mix_f32 v105, s7, v12, v112 op_sel:[0,0,1] op_sel_hi:[0,0,1]
	v_fma_mix_f32 v100, s7, v18, v115 op_sel_hi:[0,0,1]
	v_fma_mix_f32 v4, s7, v21, v117 op_sel_hi:[0,0,1]
	v_max3_num_f32 v3, v3, v6, v8
	v_add_f32_e32 v6, 0x40051340, v0
	v_add_f32_e32 v8, 0x40051340, v1
	v_fma_mix_f32 v99, s7, v19, v115 op_sel:[0,0,1] op_sel_hi:[0,0,1]
	v_fma_mix_f32 v13, s7, v27, v120 op_sel_hi:[0,0,1]
	v_fma_mix_f32 v5, s7, v22, v117 op_sel:[0,0,1] op_sel_hi:[0,0,1]
	v_fma_mix_f32 v12, s7, v28, v120 op_sel:[0,0,1] op_sel_hi:[0,0,1]
	v_max3_num_f32 v3, v3, v6, v8
	v_fma_mix_f32 v6, s7, v7, v122 op_sel:[0,0,1] op_sel_hi:[0,0,1]
	v_add_f32_e32 v7, 0x40051340, v2
	s_wait_dscnt 0x0
	s_barrier_signal -1
	s_barrier_wait -1
	v_add_f32_e32 v8, 0x40051340, v6
	global_inv scope:SCOPE_SE
	v_add_nc_u32_e32 v122, 0x400, v238
	ds_load_2addr_b32 v[25:26], v122 offset0:16 offset1:32
	ds_load_2addr_b32 v[109:110], v239 offset1:16
	ds_load_2addr_b32 v[111:112], v241 offset1:16
	ds_load_2addr_b32 v[27:28], v122 offset0:84 offset1:100
	v_max3_num_f32 v3, v3, v7, v8
	v_dual_add_f32 v7, 0x40051340, v101 :: v_dual_add_f32 v8, 0x40051340, v102
	ds_load_2addr_b32 v[113:114], v238 offset0:136 offset1:152
	ds_load_2addr_b32 v[115:116], v238 offset0:204 offset1:220
	ds_load_2addr_b32 v[117:118], v238 offset1:16
	ds_load_2addr_b32 v[119:120], v238 offset0:68 offset1:84
	v_max3_num_f32 v3, v3, v7, v8
	v_dual_add_f32 v7, 0x40051340, v103 :: v_dual_add_f32 v8, 0x40051340, v104
	s_delay_alu instid0(VALU_DEP_1) | instskip(SKIP_3) | instid1(VALU_DEP_2)
	v_max3_num_f32 v3, v3, v7, v8
	v_dual_add_f32 v7, 0x40051340, v108 :: v_dual_add_f32 v8, 0x40051340, v107
	s_wait_dscnt 0x5
	v_perm_b32 v24, v111, v109, 0x5040100
	v_max3_num_f32 v3, v3, v7, v8
	v_dual_add_f32 v7, 0x40051340, v106 :: v_dual_add_f32 v8, 0x40051340, v105
	s_delay_alu instid0(VALU_DEP_1) | instskip(SKIP_1) | instid1(VALU_DEP_1)
	v_max3_num_f32 v3, v3, v7, v8
	v_dual_add_f32 v7, 0x40051340, v29 :: v_dual_add_f32 v8, 0x40051340, v30
	v_max3_num_f32 v3, v3, v7, v8
	v_dual_add_f32 v7, 0x40051340, v31 :: v_dual_add_f32 v8, 0x40051340, v96
	s_delay_alu instid0(VALU_DEP_1) | instskip(SKIP_1) | instid1(VALU_DEP_1)
	v_max3_num_f32 v3, v3, v7, v8
	v_dual_add_f32 v7, 0x40051340, v100 :: v_dual_add_f32 v8, 0x40051340, v99
	;; [unrolled: 5-line block ×4, first 2 shown]
	v_max3_num_f32 v3, v3, v7, v8
	v_dual_add_f32 v7, 0x40051340, v13 :: v_dual_add_f32 v8, 0x40051340, v12
	s_delay_alu instid0(VALU_DEP_1) | instskip(SKIP_3) | instid1(VALU_DEP_1)
	v_max3_num_f32 v3, v3, v7, v8
	ds_bpermute_b32 v7, v212, v3
	s_wait_dscnt 0x0
	v_max_num_f32_e32 v7, v7, v7
	v_max_num_f32_e32 v179, v3, v7
	s_delay_alu instid0(VALU_DEP_1)
	v_sub_f32_e32 v0, v0, v179
	v_sub_f32_e32 v1, v1, v179
	;; [unrolled: 1-line block ×5, first 2 shown]
	v_cmp_ngt_f32_e64 s5, 0xc2ce8ed0, v0
	v_cmp_ngt_f32_e32 vcc_lo, 0xc2ce8ed0, v1
	v_mul_f32_e32 v3, 0x3fb8aa3b, v0
	v_cmp_ngt_f32_e64 s3, 0xc2ce8ed0, v2
	v_cmp_ngt_f32_e64 s4, 0xc2ce8ed0, v6
	v_sub_f32_e32 v12, v12, v179
	v_sub_f32_e32 v31, v31, v179
	v_fma_f32 v7, 0x3fb8aa3b, v0, -v3
	v_rndne_f32_e32 v8, v3
	v_sub_f32_e32 v29, v29, v179
	v_sub_f32_e32 v5, v5, v179
	;; [unrolled: 1-line block ×3, first 2 shown]
	v_fmac_f32_e32 v7, 0x32a5705f, v0
	v_sub_f32_e32 v3, v3, v8
	v_cvt_i32_f32_e32 v8, v8
	v_sub_f32_e32 v11, v11, v179
	v_sub_f32_e32 v10, v10, v179
	;; [unrolled: 1-line block ×3, first 2 shown]
	v_add_f32_e32 v3, v3, v7
	v_dual_mul_f32 v7, 0x3fb8aa3b, v1 :: v_dual_sub_f32 v14, v14, v179
	v_sub_f32_e32 v4, v4, v179
	s_delay_alu instid0(VALU_DEP_3) | instskip(NEXT) | instid1(VALU_DEP_2)
	v_exp_f32_e32 v3, v3
	v_fma_f32 v9, 0x3fb8aa3b, v1, -v7
	v_rndne_f32_e32 v16, v7
	s_delay_alu instid0(VALU_DEP_2) | instskip(NEXT) | instid1(VALU_DEP_2)
	v_fmac_f32_e32 v9, 0x32a5705f, v1
	v_sub_f32_e32 v7, v7, v16
	s_delay_alu instid0(TRANS32_DEP_1) | instskip(SKIP_1) | instid1(VALU_DEP_3)
	v_ldexp_f32 v3, v3, v8
	v_cvt_i32_f32_e32 v8, v16
	v_add_f32_e32 v7, v7, v9
	v_mul_f32_e32 v9, 0x3fb8aa3b, v2
	s_wait_alu 0xf1ff
	v_cndmask_b32_e64 v3, 0, v3, s5
	v_cmp_nlt_f32_e64 s5, 0x42b17218, v0
	v_exp_f32_e32 v7, v7
	v_fma_f32 v17, 0x3fb8aa3b, v2, -v9
	v_rndne_f32_e32 v18, v9
	s_delay_alu instid0(VALU_DEP_2) | instskip(NEXT) | instid1(VALU_DEP_2)
	v_fmac_f32_e32 v17, 0x32a5705f, v2
	v_sub_f32_e32 v9, v9, v18
	s_delay_alu instid0(TRANS32_DEP_1) | instskip(NEXT) | instid1(VALU_DEP_2)
	v_ldexp_f32 v7, v7, v8
	v_add_f32_e32 v9, v9, v17
	v_mul_f32_e32 v17, 0x3fb8aa3b, v6
	s_delay_alu instid0(VALU_DEP_2) | instskip(NEXT) | instid1(VALU_DEP_1)
	v_exp_f32_e32 v8, v9
	v_fma_f32 v19, 0x3fb8aa3b, v6, -v17
	v_rndne_f32_e32 v20, v17
	v_cvt_i32_f32_e32 v9, v18
	s_delay_alu instid0(VALU_DEP_3) | instskip(NEXT) | instid1(VALU_DEP_3)
	v_fmac_f32_e32 v19, 0x32a5705f, v6
	v_sub_f32_e32 v17, v17, v20
	v_cvt_i32_f32_e32 v16, v20
	s_delay_alu instid0(TRANS32_DEP_1) | instid1(VALU_DEP_4)
	v_ldexp_f32 v8, v8, v9
	s_delay_alu instid0(VALU_DEP_3) | instskip(NEXT) | instid1(VALU_DEP_1)
	v_add_f32_e32 v17, v17, v19
	v_exp_f32_e32 v9, v17
	s_delay_alu instid0(TRANS32_DEP_1)
	v_ldexp_f32 v9, v9, v16
	s_wait_alu 0xfffd
	v_cndmask_b32_e32 v16, 0, v7, vcc_lo
	v_cmp_nlt_f32_e32 vcc_lo, 0x42b17218, v1
	v_cndmask_b32_e64 v1, 0, v8, s3
	v_cmp_nlt_f32_e64 s3, 0x42b17218, v2
	v_cndmask_b32_e64 v2, 0, v9, s4
	v_cmp_nlt_f32_e64 s4, 0x42b17218, v6
	s_wait_alu 0xf1ff
	v_cndmask_b32_e64 v8, 0x7f800000, v3, s5
	s_wait_alu 0xfffd
	v_cndmask_b32_e32 v9, 0x7f800000, v16, vcc_lo
	v_cndmask_b32_e64 v6, 0x7f800000, v1, s3
	v_add_nc_u32_e32 v127, 0x3000, v241
	v_cndmask_b32_e64 v7, 0x7f800000, v2, s4
	v_cvt_f16_f32_e32 v0, v8
	v_cvt_f16_f32_e32 v16, v9
	;; [unrolled: 1-line block ×3, first 2 shown]
	s_delay_alu instid0(VALU_DEP_4) | instskip(NEXT) | instid1(VALU_DEP_1)
	v_cvt_f16_f32_e32 v2, v7
	v_pack_b32_f16 v3, v1, v2
	s_delay_alu instid0(VALU_DEP_4) | instskip(SKIP_1) | instid1(VALU_DEP_1)
	v_pack_b32_f16 v2, v0, v16
	v_sub_f32_e32 v0, v126, v179
	v_mul_f32_e32 v1, 0x3fb8aa3b, v0
	v_cmp_ngt_f32_e32 vcc_lo, 0xc2ce8ed0, v0
	s_delay_alu instid0(VALU_DEP_2) | instskip(SKIP_1) | instid1(VALU_DEP_1)
	v_fma_f32 v16, 0x3fb8aa3b, v0, -v1
	v_rndne_f32_e32 v17, v1
	v_dual_fmac_f32 v16, 0x32a5705f, v0 :: v_dual_sub_f32 v1, v1, v17
	v_cvt_i32_f32_e32 v17, v17
	s_delay_alu instid0(VALU_DEP_2) | instskip(SKIP_1) | instid1(VALU_DEP_2)
	v_add_f32_e32 v1, v1, v16
	v_dual_sub_f32 v16, v125, v179 :: v_dual_add_nc_u32 v125, 0x1000, v238
	v_exp_f32_e32 v1, v1
	s_delay_alu instid0(VALU_DEP_1) | instskip(SKIP_1) | instid1(VALU_DEP_2)
	v_mul_f32_e32 v18, 0x3fb8aa3b, v16
	v_cmp_ngt_f32_e64 s3, 0xc2ce8ed0, v16
	v_fma_f32 v19, 0x3fb8aa3b, v16, -v18
	v_rndne_f32_e32 v20, v18
	s_delay_alu instid0(TRANS32_DEP_1) | instskip(NEXT) | instid1(VALU_DEP_3)
	v_ldexp_f32 v1, v1, v17
	v_fmac_f32_e32 v19, 0x32a5705f, v16
	s_wait_alu 0xfffd
	s_delay_alu instid0(VALU_DEP_2) | instskip(SKIP_1) | instid1(VALU_DEP_2)
	v_dual_sub_f32 v18, v18, v20 :: v_dual_cndmask_b32 v1, 0, v1
	v_cmp_nlt_f32_e32 vcc_lo, 0x42b17218, v0
	v_add_f32_e32 v18, v18, v19
	s_delay_alu instid0(VALU_DEP_1)
	v_exp_f32_e32 v17, v18
	v_cvt_i32_f32_e32 v18, v20
	s_delay_alu instid0(TRANS32_DEP_1) | instid1(VALU_DEP_1)
	v_ldexp_f32 v17, v17, v18
	s_wait_alu 0xf1ff
	s_delay_alu instid0(VALU_DEP_1) | instskip(SKIP_4) | instid1(VALU_DEP_2)
	v_cndmask_b32_e64 v0, 0, v17, s3
	v_cmp_nlt_f32_e64 s3, 0x42b17218, v16
	s_wait_alu 0xfffd
	v_cndmask_b32_e32 v17, 0x7f800000, v1, vcc_lo
	s_wait_alu 0xf1ff
	v_cndmask_b32_e64 v16, 0x7f800000, v0, s3
	s_delay_alu instid0(VALU_DEP_2) | instskip(NEXT) | instid1(VALU_DEP_2)
	v_cvt_f16_f32_e32 v1, v17
	v_cvt_f16_f32_e32 v0, v16
	s_delay_alu instid0(VALU_DEP_1) | instskip(SKIP_2) | instid1(VALU_DEP_2)
	v_pack_b32_f16 v1, v0, v1
	v_sub_f32_e32 v0, v124, v179
	v_add_nc_u32_e32 v124, 0x1000, v241
	v_mul_f32_e32 v18, 0x3fb8aa3b, v0
	v_cmp_ngt_f32_e32 vcc_lo, 0xc2ce8ed0, v0
	s_delay_alu instid0(VALU_DEP_2) | instskip(SKIP_1) | instid1(VALU_DEP_2)
	v_fma_f32 v19, 0x3fb8aa3b, v0, -v18
	v_rndne_f32_e32 v20, v18
	v_fmac_f32_e32 v19, 0x32a5705f, v0
	s_delay_alu instid0(VALU_DEP_2) | instskip(SKIP_1) | instid1(VALU_DEP_2)
	v_sub_f32_e32 v18, v18, v20
	v_cvt_i32_f32_e32 v20, v20
	v_add_f32_e32 v18, v18, v19
	v_sub_f32_e32 v19, v123, v179
	v_add_nc_u32_e32 v123, 0x1000, v239
	s_delay_alu instid0(VALU_DEP_3) | instskip(NEXT) | instid1(VALU_DEP_2)
	v_exp_f32_e32 v18, v18
	v_mul_f32_e32 v21, 0x3fb8aa3b, v19
	v_cmp_ngt_f32_e64 s3, 0xc2ce8ed0, v19
	s_delay_alu instid0(VALU_DEP_2) | instskip(SKIP_1) | instid1(TRANS32_DEP_1)
	v_fma_f32 v22, 0x3fb8aa3b, v19, -v21
	v_rndne_f32_e32 v23, v21
	v_ldexp_f32 v18, v18, v20
	s_delay_alu instid0(VALU_DEP_3) | instskip(SKIP_1) | instid1(VALU_DEP_2)
	v_fmac_f32_e32 v22, 0x32a5705f, v19
	s_wait_alu 0xfffd
	v_dual_sub_f32 v21, v21, v23 :: v_dual_cndmask_b32 v18, 0, v18
	v_cmp_nlt_f32_e32 vcc_lo, 0x42b17218, v0
	s_delay_alu instid0(VALU_DEP_2) | instskip(NEXT) | instid1(VALU_DEP_1)
	v_add_f32_e32 v21, v21, v22
	v_exp_f32_e32 v20, v21
	v_cvt_i32_f32_e32 v21, v23
	s_delay_alu instid0(TRANS32_DEP_1) | instid1(VALU_DEP_1)
	v_ldexp_f32 v20, v20, v21
	s_wait_alu 0xf1ff
	s_delay_alu instid0(VALU_DEP_1) | instskip(SKIP_4) | instid1(VALU_DEP_2)
	v_cndmask_b32_e64 v0, 0, v20, s3
	v_cmp_nlt_f32_e64 s3, 0x42b17218, v19
	s_wait_alu 0xfffd
	v_cndmask_b32_e32 v20, 0x7f800000, v18, vcc_lo
	s_wait_alu 0xf1ff
	v_cndmask_b32_e64 v19, 0x7f800000, v0, s3
	s_delay_alu instid0(VALU_DEP_2) | instskip(NEXT) | instid1(VALU_DEP_2)
	v_cvt_f16_f32_e32 v18, v20
	v_cvt_f16_f32_e32 v0, v19
	s_delay_alu instid0(VALU_DEP_1) | instskip(SKIP_1) | instid1(VALU_DEP_1)
	v_pack_b32_f16 v0, v0, v18
	v_sub_f32_e32 v18, v180, v179
	v_mul_f32_e32 v21, 0x3fb8aa3b, v18
	v_cmp_ngt_f32_e32 vcc_lo, 0xc2ce8ed0, v18
	s_delay_alu instid0(VALU_DEP_2) | instskip(SKIP_1) | instid1(VALU_DEP_1)
	v_fma_f32 v22, 0x3fb8aa3b, v18, -v21
	v_rndne_f32_e32 v23, v21
	v_dual_fmac_f32 v22, 0x32a5705f, v18 :: v_dual_sub_f32 v21, v21, v23
	s_delay_alu instid0(VALU_DEP_1) | instskip(SKIP_2) | instid1(VALU_DEP_3)
	v_add_f32_e32 v21, v21, v22
	v_cvt_i32_f32_e32 v22, v23
	v_perm_b32 v23, v27, v25, 0x5040100
	v_exp_f32_e32 v21, v21
	s_delay_alu instid0(TRANS32_DEP_1) | instskip(SKIP_2) | instid1(VALU_DEP_2)
	v_ldexp_f32 v21, v21, v22
	v_perm_b32 v22, v115, v113, 0x5040100
	s_wait_alu 0xfffd
	v_cndmask_b32_e32 v21, 0, v21, vcc_lo
	v_cmp_nlt_f32_e32 vcc_lo, 0x42b17218, v18
	s_wait_alu 0xfffd
	s_delay_alu instid0(VALU_DEP_2) | instskip(SKIP_2) | instid1(VALU_DEP_2)
	v_cndmask_b32_e32 v21, 0x7f800000, v21, vcc_lo
	v_cmp_le_f32_e32 vcc_lo, 0xc1a00000, v18
	s_wait_alu 0xfffd
	v_cndmask_b32_e32 v18, 0, v21, vcc_lo
	s_delay_alu instid0(VALU_DEP_1) | instskip(NEXT) | instid1(VALU_DEP_1)
	v_cvt_f16_f32_e32 v21, v18
	v_and_b32_e32 v21, 0xffff, v21
	s_delay_alu instid0(VALU_DEP_1) | instskip(SKIP_1) | instid1(VALU_DEP_2)
	v_mul_u32_u24_e32 v121, 0x10001, v21
	v_perm_b32 v21, v119, v117, 0x5040100
	v_pk_mul_f16 v60, v60, v121
	v_pk_mul_f16 v61, v61, v121
	;; [unrolled: 1-line block ×8, first 2 shown]
	v_wmma_f16_16x16x16_f16 v[60:63], v[21:24], v[0:3], v[60:63]
	v_perm_b32 v21, v119, v117, 0x7060302
	v_perm_b32 v22, v115, v113, 0x7060302
	;; [unrolled: 1-line block ×6, first 2 shown]
	v_pk_mul_f16 v56, v56, v121
	v_pk_mul_f16 v57, v57, v121
	v_wmma_f16_16x16x16_f16 v[52:55], v[21:24], v[0:3], v[52:55]
	v_perm_b32 v23, v28, v26, 0x7060302
	v_perm_b32 v26, v116, v114, 0x5040100
	;; [unrolled: 1-line block ×3, first 2 shown]
	v_pk_mul_f16 v58, v58, v121
	v_pk_mul_f16 v59, v59, v121
	v_perm_b32 v22, v116, v114, 0x7060302
	v_perm_b32 v21, v120, v118, 0x7060302
	;; [unrolled: 1-line block ×3, first 2 shown]
	v_pk_mul_f16 v48, v48, v121
	v_wmma_f16_16x16x16_f16 v[56:59], v[25:28], v[0:3], v[56:59]
	ds_load_2addr_b32 v[25:26], v122 offset0:48 offset1:64
	ds_load_2addr_b32 v[27:28], v122 offset0:116 offset1:132
	;; [unrolled: 1-line block ×8, first 2 shown]
	v_pk_mul_f16 v49, v49, v121
	v_pk_mul_f16 v50, v50, v121
	;; [unrolled: 1-line block ×7, first 2 shown]
	v_wmma_f16_16x16x16_f16 v[48:51], v[21:24], v[0:3], v[48:51]
	v_pk_mul_f16 v40, v40, v121
	v_pk_mul_f16 v41, v41, v121
	;; [unrolled: 1-line block ×7, first 2 shown]
	s_wait_dscnt 0x6
	v_perm_b32 v23, v27, v25, 0x5040100
	v_pk_mul_f16 v39, v39, v121
	s_wait_dscnt 0x4
	v_perm_b32 v24, v111, v109, 0x5040100
	s_wait_dscnt 0x2
	v_perm_b32 v22, v115, v113, 0x5040100
	;; [unrolled: 2-line block ×3, first 2 shown]
	v_pk_mul_f16 v32, v32, v121
	v_pk_mul_f16 v33, v33, v121
	;; [unrolled: 1-line block ×4, first 2 shown]
	v_wmma_f16_16x16x16_f16 v[44:47], v[21:24], v[0:3], v[44:47]
	v_perm_b32 v21, v119, v117, 0x7060302
	v_perm_b32 v22, v115, v113, 0x7060302
	v_perm_b32 v23, v27, v25, 0x7060302
	v_perm_b32 v24, v111, v109, 0x7060302
	v_perm_b32 v27, v28, v26, 0x5040100
	v_perm_b32 v25, v120, v118, 0x5040100
	v_add_nc_u32_e32 v122, 0x1400, v238
	s_delay_alu instid0(VALU_DEP_4)
	v_wmma_f16_16x16x16_f16 v[40:43], v[21:24], v[0:3], v[40:43]
	v_perm_b32 v22, v116, v114, 0x7060302
	v_perm_b32 v23, v28, v26, 0x7060302
	v_perm_b32 v26, v116, v114, 0x5040100
	v_perm_b32 v21, v120, v118, 0x7060302
	v_perm_b32 v28, v112, v110, 0x5040100
	v_perm_b32 v24, v112, v110, 0x7060302
	s_delay_alu instid0(VALU_DEP_2) | instskip(NEXT) | instid1(VALU_DEP_2)
	v_wmma_f16_16x16x16_f16 v[36:39], v[25:28], v[0:3], v[36:39]
	v_wmma_f16_16x16x16_f16 v[32:35], v[21:24], v[0:3], v[32:35]
	v_sub_f32_e32 v0, v108, v179
	s_delay_alu instid0(VALU_DEP_1) | instskip(SKIP_1) | instid1(VALU_DEP_2)
	v_mul_f32_e32 v1, 0x3fb8aa3b, v0
	v_cmp_ngt_f32_e64 s5, 0xc2ce8ed0, v0
	v_fma_f32 v2, 0x3fb8aa3b, v0, -v1
	v_rndne_f32_e32 v3, v1
	s_delay_alu instid0(VALU_DEP_1) | instskip(SKIP_1) | instid1(VALU_DEP_2)
	v_dual_fmac_f32 v2, 0x32a5705f, v0 :: v_dual_sub_f32 v1, v1, v3
	v_cvt_i32_f32_e32 v3, v3
	v_dual_add_f32 v1, v1, v2 :: v_dual_sub_f32 v2, v107, v179
	s_delay_alu instid0(VALU_DEP_1) | instskip(NEXT) | instid1(VALU_DEP_1)
	v_exp_f32_e32 v1, v1
	v_mul_f32_e32 v21, 0x3fb8aa3b, v2
	v_cmp_ngt_f32_e32 vcc_lo, 0xc2ce8ed0, v2
	s_delay_alu instid0(VALU_DEP_2) | instskip(SKIP_1) | instid1(TRANS32_DEP_1)
	v_fma_f32 v22, 0x3fb8aa3b, v2, -v21
	v_rndne_f32_e32 v23, v21
	v_ldexp_f32 v1, v1, v3
	s_delay_alu instid0(VALU_DEP_2) | instskip(SKIP_1) | instid1(VALU_DEP_2)
	v_dual_fmac_f32 v22, 0x32a5705f, v2 :: v_dual_sub_f32 v21, v21, v23
	s_wait_alu 0xf1ff
	v_cndmask_b32_e64 v1, 0, v1, s5
	v_cmp_nlt_f32_e64 s5, 0x42b17218, v0
	s_delay_alu instid0(VALU_DEP_3) | instskip(NEXT) | instid1(VALU_DEP_1)
	v_add_f32_e32 v21, v21, v22
	v_exp_f32_e32 v3, v21
	v_cvt_i32_f32_e32 v21, v23
	s_delay_alu instid0(TRANS32_DEP_1) | instid1(VALU_DEP_1)
	v_ldexp_f32 v3, v3, v21
	v_sub_f32_e32 v21, v106, v179
	s_wait_alu 0xfffd
	s_delay_alu instid0(VALU_DEP_1)
	v_dual_cndmask_b32 v3, 0, v3 :: v_dual_mul_f32 v22, 0x3fb8aa3b, v21
	v_cmp_nlt_f32_e32 vcc_lo, 0x42b17218, v2
	v_sub_f32_e32 v2, v105, v179
	v_cmp_ngt_f32_e64 s3, 0xc2ce8ed0, v21
	ds_load_2addr_b32 v[105:106], v122 offset0:80 offset1:96
	ds_load_2addr_b32 v[108:109], v123 offset0:64 offset1:80
	ds_load_2addr_b32 v[110:111], v124 offset0:64 offset1:80
	ds_load_2addr_b32 v[112:113], v122 offset0:148 offset1:164
	v_fma_f32 v23, 0x3fb8aa3b, v21, -v22
	v_rndne_f32_e32 v24, v22
	v_cmp_ngt_f32_e64 s4, 0xc2ce8ed0, v2
	s_wait_alu 0xfffd
	v_cndmask_b32_e32 v3, 0x7f800000, v3, vcc_lo
	ds_load_2addr_b32 v[114:115], v125 offset0:200 offset1:216
	ds_load_2addr_b32 v[116:117], v122 offset0:12 offset1:28
	v_dual_fmac_f32 v23, 0x32a5705f, v21 :: v_dual_sub_f32 v22, v22, v24
	v_cvt_i32_f32_e32 v24, v24
	ds_load_2addr_b32 v[118:119], v125 offset0:64 offset1:80
	ds_load_2addr_b32 v[120:121], v125 offset0:132 offset1:148
	v_dual_add_f32 v22, v22, v23 :: v_dual_mul_f32 v23, 0x3fb8aa3b, v2
	s_delay_alu instid0(VALU_DEP_1) | instskip(NEXT) | instid1(VALU_DEP_1)
	v_exp_f32_e32 v22, v22
	v_fma_f32 v25, 0x3fb8aa3b, v2, -v23
	v_rndne_f32_e32 v26, v23
	s_wait_dscnt 0x4
	v_perm_b32 v107, v113, v106, 0x5040100
	s_delay_alu instid0(VALU_DEP_3) | instskip(NEXT) | instid1(VALU_DEP_3)
	v_fmac_f32_e32 v25, 0x32a5705f, v2
	v_sub_f32_e32 v23, v23, v26
	s_delay_alu instid0(TRANS32_DEP_1) | instskip(SKIP_1) | instid1(VALU_DEP_3)
	v_ldexp_f32 v22, v22, v24
	v_cvt_i32_f32_e32 v24, v26
	v_add_f32_e32 v23, v23, v25
	s_wait_alu 0xf1ff
	s_delay_alu instid0(VALU_DEP_3) | instskip(SKIP_1) | instid1(VALU_DEP_3)
	v_cndmask_b32_e64 v22, 0, v22, s3
	v_cmp_nlt_f32_e64 s3, 0x42b17218, v21
	v_exp_f32_e32 v23, v23
	s_wait_alu 0xf1ff
	s_delay_alu instid0(VALU_DEP_1) | instskip(NEXT) | instid1(VALU_DEP_1)
	v_cndmask_b32_e64 v0, 0x7f800000, v22, s3
	v_cvt_f16_f32_e32 v22, v0
	s_delay_alu instid0(TRANS32_DEP_1) | instskip(SKIP_1) | instid1(VALU_DEP_2)
	v_ldexp_f32 v23, v23, v24
	v_cvt_f16_f32_e32 v24, v3
	v_cndmask_b32_e64 v21, 0, v23, s4
	v_cmp_nlt_f32_e64 s4, 0x42b17218, v2
	v_cndmask_b32_e64 v2, 0x7f800000, v1, s5
	s_wait_alu 0xf1ff
	s_delay_alu instid0(VALU_DEP_2) | instskip(NEXT) | instid1(VALU_DEP_2)
	v_cndmask_b32_e64 v1, 0x7f800000, v21, s4
	v_cvt_f16_f32_e32 v21, v2
	s_delay_alu instid0(VALU_DEP_2) | instskip(NEXT) | instid1(VALU_DEP_2)
	v_cvt_f16_f32_e32 v23, v1
	v_pack_b32_f16 v27, v21, v24
	v_sub_f32_e32 v21, v104, v179
	s_delay_alu instid0(VALU_DEP_3) | instskip(NEXT) | instid1(VALU_DEP_2)
	v_pack_b32_f16 v28, v22, v23
	v_mul_f32_e32 v22, 0x3fb8aa3b, v21
	v_cmp_ngt_f32_e32 vcc_lo, 0xc2ce8ed0, v21
	s_delay_alu instid0(VALU_DEP_2) | instskip(SKIP_1) | instid1(VALU_DEP_1)
	v_fma_f32 v23, 0x3fb8aa3b, v21, -v22
	v_rndne_f32_e32 v24, v22
	v_dual_fmac_f32 v23, 0x32a5705f, v21 :: v_dual_sub_f32 v22, v22, v24
	v_cvt_i32_f32_e32 v24, v24
	s_delay_alu instid0(VALU_DEP_2) | instskip(SKIP_1) | instid1(VALU_DEP_2)
	v_add_f32_e32 v22, v22, v23
	v_sub_f32_e32 v23, v103, v179
	v_exp_f32_e32 v22, v22
	s_delay_alu instid0(VALU_DEP_1) | instskip(SKIP_1) | instid1(VALU_DEP_2)
	v_mul_f32_e32 v25, 0x3fb8aa3b, v23
	v_cmp_ngt_f32_e64 s3, 0xc2ce8ed0, v23
	v_fma_f32 v26, 0x3fb8aa3b, v23, -v25
	v_rndne_f32_e32 v103, v25
	s_delay_alu instid0(TRANS32_DEP_1) | instskip(NEXT) | instid1(VALU_DEP_3)
	v_ldexp_f32 v22, v22, v24
	v_fmac_f32_e32 v26, 0x32a5705f, v23
	s_wait_alu 0xfffd
	s_delay_alu instid0(VALU_DEP_2) | instskip(SKIP_1) | instid1(VALU_DEP_2)
	v_dual_sub_f32 v25, v25, v103 :: v_dual_cndmask_b32 v22, 0, v22
	v_cmp_nlt_f32_e32 vcc_lo, 0x42b17218, v21
	v_add_f32_e32 v25, v25, v26
	s_wait_alu 0xfffd
	s_delay_alu instid0(VALU_DEP_3) | instskip(NEXT) | instid1(VALU_DEP_2)
	v_cndmask_b32_e32 v22, 0x7f800000, v22, vcc_lo
	v_exp_f32_e32 v24, v25
	v_cvt_i32_f32_e32 v25, v103
	s_delay_alu instid0(TRANS32_DEP_1) | instid1(VALU_DEP_1)
	v_ldexp_f32 v24, v24, v25
	s_wait_alu 0xf1ff
	s_delay_alu instid0(VALU_DEP_1) | instskip(SKIP_3) | instid1(VALU_DEP_2)
	v_cndmask_b32_e64 v21, 0, v24, s3
	v_cmp_nlt_f32_e64 s3, 0x42b17218, v23
	v_cvt_f16_f32_e32 v24, v22
	s_wait_alu 0xf1ff
	v_cndmask_b32_e64 v21, 0x7f800000, v21, s3
	s_delay_alu instid0(VALU_DEP_1) | instskip(NEXT) | instid1(VALU_DEP_1)
	v_cvt_f16_f32_e32 v23, v21
	v_pack_b32_f16 v26, v23, v24
	v_sub_f32_e32 v23, v102, v179
	s_delay_alu instid0(VALU_DEP_1) | instskip(SKIP_1) | instid1(VALU_DEP_2)
	v_mul_f32_e32 v24, 0x3fb8aa3b, v23
	v_cmp_ngt_f32_e32 vcc_lo, 0xc2ce8ed0, v23
	v_fma_f32 v25, 0x3fb8aa3b, v23, -v24
	v_rndne_f32_e32 v102, v24
	s_delay_alu instid0(VALU_DEP_1) | instskip(SKIP_1) | instid1(VALU_DEP_2)
	v_dual_fmac_f32 v25, 0x32a5705f, v23 :: v_dual_sub_f32 v24, v24, v102
	v_cvt_i32_f32_e32 v102, v102
	v_dual_add_f32 v24, v24, v25 :: v_dual_sub_f32 v25, v101, v179
	s_delay_alu instid0(VALU_DEP_1) | instskip(NEXT) | instid1(VALU_DEP_1)
	v_exp_f32_e32 v24, v24
	v_mul_f32_e32 v101, 0x3fb8aa3b, v25
	v_cmp_ngt_f32_e64 s3, 0xc2ce8ed0, v25
	s_delay_alu instid0(VALU_DEP_2) | instskip(SKIP_1) | instid1(TRANS32_DEP_1)
	v_fma_f32 v103, 0x3fb8aa3b, v25, -v101
	v_rndne_f32_e32 v104, v101
	v_ldexp_f32 v24, v24, v102
	s_delay_alu instid0(VALU_DEP_3) | instskip(NEXT) | instid1(VALU_DEP_3)
	v_fmac_f32_e32 v103, 0x32a5705f, v25
	v_sub_f32_e32 v101, v101, v104
	v_cvt_i32_f32_e32 v102, v104
	v_perm_b32 v104, v110, v108, 0x5040100
	s_wait_alu 0xfffd
	v_cndmask_b32_e32 v24, 0, v24, vcc_lo
	v_cmp_nlt_f32_e32 vcc_lo, 0x42b17218, v23
	v_add_f32_e32 v101, v101, v103
	v_perm_b32 v103, v112, v105, 0x5040100
	s_wait_alu 0xfffd
	v_cndmask_b32_e32 v24, 0x7f800000, v24, vcc_lo
	s_delay_alu instid0(VALU_DEP_3) | instskip(NEXT) | instid1(TRANS32_DEP_1)
	v_exp_f32_e32 v101, v101
	v_ldexp_f32 v101, v101, v102
	s_wait_dscnt 0x2
	v_perm_b32 v102, v116, v114, 0x5040100
	s_wait_alu 0xf1ff
	s_delay_alu instid0(VALU_DEP_2) | instskip(SKIP_3) | instid1(VALU_DEP_2)
	v_cndmask_b32_e64 v23, 0, v101, s3
	v_cmp_nlt_f32_e64 s3, 0x42b17218, v25
	v_cvt_f16_f32_e32 v101, v24
	s_wait_alu 0xf1ff
	v_cndmask_b32_e64 v23, 0x7f800000, v23, s3
	v_cmp_ngt_f32_e64 s3, 0xc2ce8ed0, v98
	s_delay_alu instid0(VALU_DEP_2) | instskip(NEXT) | instid1(VALU_DEP_1)
	v_cvt_f16_f32_e32 v25, v23
	v_pack_b32_f16 v25, v25, v101
	s_wait_dscnt 0x0
	v_perm_b32 v101, v120, v118, 0x5040100
	s_delay_alu instid0(VALU_DEP_1)
	v_wmma_f16_16x16x16_f16 v[60:63], v[101:104], v[25:28], v[60:63]
	v_perm_b32 v101, v120, v118, 0x7060302
	v_perm_b32 v102, v116, v114, 0x7060302
	;; [unrolled: 1-line block ×6, first 2 shown]
	s_delay_alu instid0(VALU_DEP_3)
	v_wmma_f16_16x16x16_f16 v[52:55], v[101:104], v[25:28], v[52:55]
	v_perm_b32 v103, v113, v106, 0x7060302
	v_perm_b32 v106, v117, v115, 0x5040100
	v_perm_b32 v102, v117, v115, 0x7060302
	v_perm_b32 v104, v111, v109, 0x7060302
	v_perm_b32 v101, v121, v119, 0x7060302
	s_delay_alu instid0(VALU_DEP_4)
	v_wmma_f16_16x16x16_f16 v[56:59], v[105:108], v[25:28], v[56:59]
	ds_load_2addr_b32 v[108:109], v122 offset0:44 offset1:60
	ds_load_2addr_b32 v[111:112], v122 offset0:112 offset1:128
	;; [unrolled: 1-line block ×4, first 2 shown]
	v_wmma_f16_16x16x16_f16 v[48:51], v[101:104], v[25:28], v[48:51]
	s_wait_dscnt 0x1
	v_perm_b32 v107, v115, v111, 0x7060302
	s_wait_dscnt 0x0
	v_perm_b32 v106, v108, v117, 0x7060302
	v_perm_b32 v111, v115, v111, 0x5040100
	;; [unrolled: 1-line block ×5, first 2 shown]
	ds_load_2addr_b32 v[116:117], v125 offset0:96 offset1:112
	ds_load_2addr_b32 v[120:121], v125 offset0:164 offset1:180
	v_perm_b32 v114, v109, v118, 0x7060302
	v_perm_b32 v118, v109, v118, 0x5040100
	v_add_nc_u32_e32 v125, 0x2000, v238
	s_wait_dscnt 0x0
	v_perm_b32 v105, v120, v116, 0x7060302
	v_perm_b32 v109, v120, v116, 0x5040100
	;; [unrolled: 1-line block ×4, first 2 shown]
	ds_load_2addr_b32 v[120:121], v123 offset0:96 offset1:112
	ds_load_2addr_b32 v[122:123], v124 offset0:96 offset1:112
	v_add_nc_u32_e32 v124, 0x2000, v241
	s_wait_dscnt 0x0
	v_perm_b32 v112, v122, v120, 0x5040100
	v_perm_b32 v108, v122, v120, 0x7060302
	;; [unrolled: 1-line block ×4, first 2 shown]
	s_delay_alu instid0(VALU_DEP_4) | instskip(NEXT) | instid1(VALU_DEP_4)
	v_wmma_f16_16x16x16_f16 v[44:47], v[109:112], v[25:28], v[44:47]
	v_wmma_f16_16x16x16_f16 v[40:43], v[105:108], v[25:28], v[40:43]
	s_delay_alu instid0(VALU_DEP_4) | instskip(NEXT) | instid1(VALU_DEP_4)
	v_wmma_f16_16x16x16_f16 v[36:39], v[117:120], v[25:28], v[36:39]
	v_wmma_f16_16x16x16_f16 v[32:35], v[113:116], v[25:28], v[32:35]
	v_sub_f32_e32 v25, v100, v179
	v_add_nc_u32_e32 v116, 0x2000, v239
	v_add_nc_u32_e32 v115, 0x2400, v238
	s_delay_alu instid0(VALU_DEP_3) | instskip(SKIP_1) | instid1(VALU_DEP_2)
	v_mul_f32_e32 v26, 0x3fb8aa3b, v25
	v_cmp_ngt_f32_e64 s5, 0xc2ce8ed0, v25
	v_fma_f32 v27, 0x3fb8aa3b, v25, -v26
	v_rndne_f32_e32 v28, v26
	s_delay_alu instid0(VALU_DEP_1) | instskip(SKIP_1) | instid1(VALU_DEP_2)
	v_dual_fmac_f32 v27, 0x32a5705f, v25 :: v_dual_sub_f32 v26, v26, v28
	v_cvt_i32_f32_e32 v28, v28
	v_add_f32_e32 v26, v26, v27
	v_sub_f32_e32 v27, v99, v179
	s_delay_alu instid0(VALU_DEP_2) | instskip(NEXT) | instid1(VALU_DEP_1)
	v_exp_f32_e32 v26, v26
	v_mul_f32_e32 v99, 0x3fb8aa3b, v27
	v_cmp_ngt_f32_e32 vcc_lo, 0xc2ce8ed0, v27
	s_delay_alu instid0(VALU_DEP_2) | instskip(SKIP_1) | instid1(TRANS32_DEP_1)
	v_fma_f32 v100, 0x3fb8aa3b, v27, -v99
	v_rndne_f32_e32 v101, v99
	v_ldexp_f32 v26, v26, v28
	s_delay_alu instid0(VALU_DEP_2) | instskip(SKIP_1) | instid1(VALU_DEP_2)
	v_dual_fmac_f32 v100, 0x32a5705f, v27 :: v_dual_sub_f32 v99, v99, v101
	s_wait_alu 0xf1ff
	v_cndmask_b32_e64 v26, 0, v26, s5
	v_cmp_nlt_f32_e64 s5, 0x42b17218, v25
	s_delay_alu instid0(VALU_DEP_3) | instskip(SKIP_1) | instid1(VALU_DEP_2)
	v_add_f32_e32 v99, v99, v100
	s_wait_alu 0xf1ff
	v_cndmask_b32_e64 v117, 0x7f800000, v26, s5
	s_delay_alu instid0(VALU_DEP_2) | instskip(SKIP_2) | instid1(VALU_DEP_3)
	v_exp_f32_e32 v28, v99
	v_cvt_i32_f32_e32 v99, v101
	v_cmp_ngt_f32_e64 s5, 0xc2ce8ed0, v15
	v_cvt_f16_f32_e32 v25, v117
	s_delay_alu instid0(TRANS32_DEP_1) | instid1(VALU_DEP_3)
	v_ldexp_f32 v28, v28, v99
	s_wait_alu 0xfffd
	s_delay_alu instid0(VALU_DEP_1) | instskip(NEXT) | instid1(VALU_DEP_1)
	v_dual_mul_f32 v99, 0x3fb8aa3b, v98 :: v_dual_cndmask_b32 v28, 0, v28
	v_fma_f32 v100, 0x3fb8aa3b, v98, -v99
	v_rndne_f32_e32 v101, v99
	v_cmp_nlt_f32_e32 vcc_lo, 0x42b17218, v27
	s_delay_alu instid0(VALU_DEP_3) | instskip(SKIP_1) | instid1(VALU_DEP_3)
	v_dual_sub_f32 v27, v97, v179 :: v_dual_fmac_f32 v100, 0x32a5705f, v98
	s_wait_alu 0xfffd
	v_dual_sub_f32 v99, v99, v101 :: v_dual_cndmask_b32 v120, 0x7f800000, v28
	s_delay_alu instid0(VALU_DEP_2) | instskip(SKIP_1) | instid1(VALU_DEP_3)
	v_mul_f32_e32 v97, 0x3fb8aa3b, v27
	v_cmp_ngt_f32_e64 s4, 0xc2ce8ed0, v27
	v_add_f32_e32 v99, v99, v100
	s_delay_alu instid0(VALU_DEP_3) | instskip(SKIP_1) | instid1(VALU_DEP_3)
	v_fma_f32 v100, 0x3fb8aa3b, v27, -v97
	v_rndne_f32_e32 v102, v97
	v_exp_f32_e32 v99, v99
	s_delay_alu instid0(VALU_DEP_1) | instskip(NEXT) | instid1(VALU_DEP_1)
	v_dual_fmac_f32 v100, 0x32a5705f, v27 :: v_dual_sub_f32 v97, v97, v102
	v_add_f32_e32 v97, v97, v100
	v_cvt_i32_f32_e32 v100, v101
	s_delay_alu instid0(VALU_DEP_2)
	v_exp_f32_e32 v97, v97
	s_delay_alu instid0(TRANS32_DEP_2) | instid1(VALU_DEP_1)
	v_ldexp_f32 v99, v99, v100
	v_cvt_i32_f32_e32 v100, v102
	s_delay_alu instid0(VALU_DEP_2)
	v_cndmask_b32_e64 v99, 0, v99, s3
	v_cmp_nlt_f32_e64 s3, 0x42b17218, v98
	s_delay_alu instid0(TRANS32_DEP_1) | instid1(VALU_DEP_3)
	v_ldexp_f32 v97, v97, v100
	s_wait_alu 0xf1ff
	s_delay_alu instid0(VALU_DEP_2) | instskip(SKIP_1) | instid1(VALU_DEP_3)
	v_cndmask_b32_e64 v118, 0x7f800000, v99, s3
	v_cmp_ngt_f32_e64 s3, 0xc2ce8ed0, v31
	v_cndmask_b32_e64 v97, 0, v97, s4
	v_cmp_nlt_f32_e64 s4, 0x42b17218, v27
	s_delay_alu instid0(VALU_DEP_4) | instskip(SKIP_1) | instid1(VALU_DEP_2)
	v_cvt_f16_f32_e32 v26, v118
	s_wait_alu 0xf1ff
	v_cndmask_b32_e64 v119, 0x7f800000, v97, s4
	v_cvt_f16_f32_e32 v97, v120
	s_delay_alu instid0(VALU_DEP_2) | instskip(NEXT) | instid1(VALU_DEP_1)
	v_cvt_f16_f32_e32 v27, v119
	v_pack_b32_f16 v28, v26, v27
	s_delay_alu instid0(VALU_DEP_3) | instskip(SKIP_1) | instid1(VALU_DEP_1)
	v_pack_b32_f16 v27, v25, v97
	v_sub_f32_e32 v25, v96, v179
	v_mul_f32_e32 v26, 0x3fb8aa3b, v25
	v_cmp_ngt_f32_e32 vcc_lo, 0xc2ce8ed0, v25
	s_delay_alu instid0(VALU_DEP_2) | instskip(SKIP_1) | instid1(VALU_DEP_2)
	v_fma_f32 v96, 0x3fb8aa3b, v25, -v26
	v_rndne_f32_e32 v97, v26
	v_fmac_f32_e32 v96, 0x32a5705f, v25
	s_delay_alu instid0(VALU_DEP_2) | instskip(SKIP_1) | instid1(VALU_DEP_2)
	v_sub_f32_e32 v26, v26, v97
	v_cvt_i32_f32_e32 v97, v97
	v_add_f32_e32 v26, v26, v96
	v_mul_f32_e32 v96, 0x3fb8aa3b, v31
	s_delay_alu instid0(VALU_DEP_2) | instskip(NEXT) | instid1(VALU_DEP_1)
	v_exp_f32_e32 v26, v26
	v_fma_f32 v98, 0x3fb8aa3b, v31, -v96
	v_rndne_f32_e32 v99, v96
	s_delay_alu instid0(VALU_DEP_2) | instskip(NEXT) | instid1(VALU_DEP_2)
	v_fmac_f32_e32 v98, 0x32a5705f, v31
	v_sub_f32_e32 v96, v96, v99
	s_delay_alu instid0(TRANS32_DEP_1) | instskip(SKIP_1) | instid1(VALU_DEP_3)
	v_ldexp_f32 v26, v26, v97
	v_cvt_i32_f32_e32 v97, v99
	v_add_f32_e32 v96, v96, v98
	s_wait_alu 0xfffd
	s_delay_alu instid0(VALU_DEP_3) | instskip(SKIP_1) | instid1(VALU_DEP_3)
	v_cndmask_b32_e32 v26, 0, v26, vcc_lo
	v_cmp_nlt_f32_e32 vcc_lo, 0x42b17218, v25
	v_exp_f32_e32 v96, v96
	s_wait_alu 0xfffd
	s_delay_alu instid0(VALU_DEP_2) | instskip(NEXT) | instid1(VALU_DEP_1)
	v_cndmask_b32_e32 v121, 0x7f800000, v26, vcc_lo
	v_cvt_f16_f32_e32 v26, v121
	s_delay_alu instid0(TRANS32_DEP_1) | instskip(NEXT) | instid1(VALU_DEP_1)
	v_ldexp_f32 v96, v96, v97
	v_cndmask_b32_e64 v25, 0, v96, s3
	v_cmp_nlt_f32_e64 s3, 0x42b17218, v31
	s_wait_alu 0xf1ff
	s_delay_alu instid0(VALU_DEP_1) | instskip(SKIP_1) | instid1(VALU_DEP_2)
	v_cndmask_b32_e64 v31, 0x7f800000, v25, s3
	v_cmp_ngt_f32_e64 s3, 0xc2ce8ed0, v29
	v_cvt_f16_f32_e32 v25, v31
	s_delay_alu instid0(VALU_DEP_1) | instskip(SKIP_1) | instid1(VALU_DEP_1)
	v_pack_b32_f16 v26, v25, v26
	v_sub_f32_e32 v25, v30, v179
	v_mul_f32_e32 v30, 0x3fb8aa3b, v25
	v_cmp_ngt_f32_e32 vcc_lo, 0xc2ce8ed0, v25
	s_delay_alu instid0(VALU_DEP_2) | instskip(SKIP_1) | instid1(VALU_DEP_2)
	v_fma_f32 v96, 0x3fb8aa3b, v25, -v30
	v_rndne_f32_e32 v97, v30
	v_fmac_f32_e32 v96, 0x32a5705f, v25
	s_delay_alu instid0(VALU_DEP_2) | instskip(SKIP_1) | instid1(VALU_DEP_2)
	v_sub_f32_e32 v30, v30, v97
	v_cvt_i32_f32_e32 v97, v97
	v_add_f32_e32 v30, v30, v96
	v_mul_f32_e32 v96, 0x3fb8aa3b, v29
	s_delay_alu instid0(VALU_DEP_2) | instskip(NEXT) | instid1(VALU_DEP_1)
	v_exp_f32_e32 v30, v30
	v_fma_f32 v98, 0x3fb8aa3b, v29, -v96
	v_rndne_f32_e32 v99, v96
	s_delay_alu instid0(VALU_DEP_2) | instskip(NEXT) | instid1(VALU_DEP_2)
	v_fmac_f32_e32 v98, 0x32a5705f, v29
	v_sub_f32_e32 v96, v96, v99
	s_delay_alu instid0(TRANS32_DEP_1) | instskip(SKIP_1) | instid1(VALU_DEP_3)
	v_ldexp_f32 v30, v30, v97
	v_cvt_i32_f32_e32 v97, v99
	v_add_f32_e32 v96, v96, v98
	s_wait_alu 0xfffd
	s_delay_alu instid0(VALU_DEP_3) | instskip(SKIP_1) | instid1(VALU_DEP_3)
	v_cndmask_b32_e32 v30, 0, v30, vcc_lo
	v_cmp_nlt_f32_e32 vcc_lo, 0x42b17218, v25
	v_exp_f32_e32 v96, v96
	s_wait_alu 0xfffd
	s_delay_alu instid0(VALU_DEP_2) | instskip(SKIP_1) | instid1(TRANS32_DEP_1)
	v_cndmask_b32_e32 v123, 0x7f800000, v30, vcc_lo
	v_cmp_ngt_f32_e32 vcc_lo, 0xc2ce8ed0, v14
	v_ldexp_f32 v96, v96, v97
	s_wait_alu 0xf1ff
	s_delay_alu instid0(VALU_DEP_1) | instskip(SKIP_3) | instid1(VALU_DEP_2)
	v_cndmask_b32_e64 v25, 0, v96, s3
	v_cmp_nlt_f32_e64 s3, 0x42b17218, v29
	v_cvt_f16_f32_e32 v29, v123
	s_wait_alu 0xf1ff
	v_cndmask_b32_e64 v122, 0x7f800000, v25, s3
	v_cmp_ngt_f32_e64 s3, 0xc2ce8ed0, v13
	s_delay_alu instid0(VALU_DEP_2) | instskip(NEXT) | instid1(VALU_DEP_1)
	v_cvt_f16_f32_e32 v25, v122
	v_pack_b32_f16 v25, v25, v29
	ds_load_2addr_b32 v[29:30], v115 offset0:144 offset1:160
	ds_load_2addr_b32 v[103:104], v116 offset0:128 offset1:144
	ds_load_2addr_b32 v[105:106], v124 offset0:128 offset1:144
	ds_load_2addr_b32 v[100:101], v115 offset0:212 offset1:228
	ds_load_2addr_b32 v[107:108], v115 offset0:8 offset1:24
	ds_load_2addr_b32 v[109:110], v115 offset0:76 offset1:92
	ds_load_2addr_b32 v[111:112], v125 offset0:128 offset1:144
	ds_load_2addr_b32 v[113:114], v125 offset0:196 offset1:212
	s_wait_dscnt 0x5
	v_perm_b32 v99, v105, v103, 0x5040100
	s_wait_dscnt 0x4
	v_perm_b32 v98, v100, v29, 0x5040100
	;; [unrolled: 2-line block ×4, first 2 shown]
	v_perm_b32 v102, v101, v30, 0x5040100
	s_delay_alu instid0(VALU_DEP_2)
	v_wmma_f16_16x16x16_f16 v[60:63], v[96:99], v[25:28], v[60:63]
	v_perm_b32 v96, v113, v111, 0x7060302
	v_perm_b32 v97, v109, v107, 0x7060302
	;; [unrolled: 1-line block ×6, first 2 shown]
	v_add_nc_u32_e32 v29, 0x2600, v238
	s_delay_alu instid0(VALU_DEP_4)
	v_wmma_f16_16x16x16_f16 v[52:55], v[96:99], v[25:28], v[52:55]
	v_perm_b32 v98, v101, v30, 0x7060302
	v_perm_b32 v101, v110, v108, 0x5040100
	;; [unrolled: 1-line block ×5, first 2 shown]
	s_delay_alu instid0(VALU_DEP_4)
	v_wmma_f16_16x16x16_f16 v[56:59], v[100:103], v[25:28], v[56:59]
	ds_load_2addr_b32 v[29:30], v29 offset0:116 offset1:132
	ds_load_2addr_b32 v[103:104], v115 offset0:40 offset1:56
	;; [unrolled: 1-line block ×4, first 2 shown]
	v_wmma_f16_16x16x16_f16 v[48:51], v[96:99], v[25:28], v[48:51]
	s_wait_dscnt 0x1
	v_perm_b32 v102, v29, v106, 0x5040100
	s_wait_dscnt 0x0
	v_perm_b32 v101, v110, v103, 0x5040100
	v_perm_b32 v105, v110, v103, 0x7060302
	;; [unrolled: 1-line block ×7, first 2 shown]
	ds_load_2addr_b32 v[29:30], v125 offset0:160 offset1:176
	ds_load_2addr_b32 v[111:112], v125 offset0:228 offset1:244
	s_wait_dscnt 0x0
	v_perm_b32 v104, v111, v29, 0x7060302
	v_perm_b32 v100, v111, v29, 0x5040100
	;; [unrolled: 1-line block ×4, first 2 shown]
	ds_load_2addr_b32 v[29:30], v116 offset0:160 offset1:176
	ds_load_2addr_b32 v[115:116], v124 offset0:160 offset1:176
	s_wait_dscnt 0x0
	v_perm_b32 v103, v115, v29, 0x5040100
	v_perm_b32 v107, v115, v29, 0x7060302
	;; [unrolled: 1-line block ×4, first 2 shown]
	s_delay_alu instid0(VALU_DEP_4) | instskip(NEXT) | instid1(VALU_DEP_4)
	v_wmma_f16_16x16x16_f16 v[44:47], v[100:103], v[25:28], v[44:47]
	v_wmma_f16_16x16x16_f16 v[40:43], v[104:107], v[25:28], v[40:43]
	s_delay_alu instid0(VALU_DEP_4) | instskip(NEXT) | instid1(VALU_DEP_4)
	v_wmma_f16_16x16x16_f16 v[36:39], v[112:115], v[25:28], v[36:39]
	v_wmma_f16_16x16x16_f16 v[32:35], v[108:111], v[25:28], v[32:35]
	v_mul_f32_e32 v25, 0x3fb8aa3b, v15
	v_add_nc_u32_e32 v107, 0x3400, v238
	v_add_nc_u32_e32 v108, 0x3000, v238
	v_add_nc_u32_e32 v111, 0x3000, v239
	v_add_nc_u32_e32 v106, 0x3800, v238
	v_fma_f32 v26, 0x3fb8aa3b, v15, -v25
	v_rndne_f32_e32 v27, v25
	s_delay_alu instid0(VALU_DEP_2) | instskip(NEXT) | instid1(VALU_DEP_2)
	v_fmac_f32_e32 v26, 0x32a5705f, v15
	v_sub_f32_e32 v25, v25, v27
	v_cvt_i32_f32_e32 v27, v27
	s_delay_alu instid0(VALU_DEP_2) | instskip(SKIP_1) | instid1(VALU_DEP_2)
	v_add_f32_e32 v25, v25, v26
	v_mul_f32_e32 v26, 0x3fb8aa3b, v14
	v_exp_f32_e32 v25, v25
	s_delay_alu instid0(VALU_DEP_1) | instskip(SKIP_1) | instid1(VALU_DEP_2)
	v_fma_f32 v28, 0x3fb8aa3b, v14, -v26
	v_rndne_f32_e32 v29, v26
	v_fmac_f32_e32 v28, 0x32a5705f, v14
	s_delay_alu instid0(VALU_DEP_2) | instskip(NEXT) | instid1(TRANS32_DEP_1)
	v_sub_f32_e32 v26, v26, v29
	v_ldexp_f32 v25, v25, v27
	v_cvt_i32_f32_e32 v27, v29
	s_delay_alu instid0(VALU_DEP_3) | instskip(NEXT) | instid1(VALU_DEP_1)
	v_add_f32_e32 v26, v26, v28
	v_exp_f32_e32 v26, v26
	s_delay_alu instid0(TRANS32_DEP_1) | instskip(SKIP_1) | instid1(VALU_DEP_1)
	v_ldexp_f32 v26, v26, v27
	s_wait_alu 0xfffd
	v_dual_mul_f32 v27, 0x3fb8aa3b, v13 :: v_dual_cndmask_b32 v26, 0, v26
	s_delay_alu instid0(VALU_DEP_1) | instskip(SKIP_2) | instid1(VALU_DEP_3)
	v_fma_f32 v28, 0x3fb8aa3b, v13, -v27
	v_rndne_f32_e32 v29, v27
	v_cmp_nlt_f32_e32 vcc_lo, 0x42b17218, v14
	v_fmac_f32_e32 v28, 0x32a5705f, v13
	s_delay_alu instid0(VALU_DEP_3)
	v_sub_f32_e32 v27, v27, v29
	s_wait_alu 0xfffd
	v_cndmask_b32_e32 v115, 0x7f800000, v26, vcc_lo
	v_cmp_ngt_f32_e64 s4, 0xc2ce8ed0, v12
	v_cmp_ngt_f32_e32 vcc_lo, 0xc2ce8ed0, v11
	v_add_f32_e32 v27, v27, v28
	v_mul_f32_e32 v28, 0x3fb8aa3b, v12
	s_delay_alu instid0(VALU_DEP_2) | instskip(NEXT) | instid1(VALU_DEP_1)
	v_exp_f32_e32 v14, v27
	v_fma_f32 v30, 0x3fb8aa3b, v12, -v28
	v_rndne_f32_e32 v96, v28
	v_cvt_i32_f32_e32 v27, v29
	s_delay_alu instid0(VALU_DEP_3) | instskip(NEXT) | instid1(VALU_DEP_3)
	v_fmac_f32_e32 v30, 0x32a5705f, v12
	v_sub_f32_e32 v28, v28, v96
	s_delay_alu instid0(TRANS32_DEP_1) | instid1(VALU_DEP_3)
	v_ldexp_f32 v14, v14, v27
	s_delay_alu instid0(VALU_DEP_2) | instskip(SKIP_1) | instid1(VALU_DEP_2)
	v_add_f32_e32 v28, v28, v30
	s_wait_alu 0xf1ff
	v_cndmask_b32_e64 v14, 0, v14, s3
	v_cmp_nlt_f32_e64 s3, 0x42b17218, v13
	s_delay_alu instid0(VALU_DEP_3) | instskip(SKIP_2) | instid1(VALU_DEP_2)
	v_exp_f32_e32 v27, v28
	v_cvt_i32_f32_e32 v28, v96
	s_wait_alu 0xf1ff
	v_cndmask_b32_e64 v113, 0x7f800000, v14, s3
	v_cmp_ngt_f32_e64 s3, 0xc2ce8ed0, v10
	s_delay_alu instid0(TRANS32_DEP_1) | instid1(VALU_DEP_3)
	v_ldexp_f32 v27, v27, v28
	s_delay_alu instid0(VALU_DEP_1)
	v_cndmask_b32_e64 v13, 0, v27, s4
	v_cmp_nlt_f32_e64 s4, 0x42b17218, v12
	v_cndmask_b32_e64 v12, 0, v25, s5
	v_cmp_nlt_f32_e64 s5, 0x42b17218, v15
	v_cvt_f16_f32_e32 v15, v115
	s_wait_alu 0xf1ff
	v_cndmask_b32_e64 v114, 0x7f800000, v13, s4
	v_cvt_f16_f32_e32 v13, v113
	v_cndmask_b32_e64 v112, 0x7f800000, v12, s5
	s_delay_alu instid0(VALU_DEP_3) | instskip(NEXT) | instid1(VALU_DEP_2)
	v_cvt_f16_f32_e32 v14, v114
	v_cvt_f16_f32_e32 v12, v112
	s_delay_alu instid0(VALU_DEP_2) | instskip(SKIP_1) | instid1(VALU_DEP_3)
	v_pack_b32_f16 v13, v13, v14
	v_mul_f32_e32 v14, 0x3fb8aa3b, v11
	v_pack_b32_f16 v12, v12, v15
	s_delay_alu instid0(VALU_DEP_2) | instskip(SKIP_1) | instid1(VALU_DEP_1)
	v_fma_f32 v15, 0x3fb8aa3b, v11, -v14
	v_rndne_f32_e32 v25, v14
	v_dual_fmac_f32 v15, 0x32a5705f, v11 :: v_dual_sub_f32 v14, v14, v25
	v_cvt_i32_f32_e32 v25, v25
	s_delay_alu instid0(VALU_DEP_2) | instskip(NEXT) | instid1(VALU_DEP_1)
	v_dual_add_f32 v14, v14, v15 :: v_dual_mul_f32 v15, 0x3fb8aa3b, v10
	v_exp_f32_e32 v14, v14
	s_delay_alu instid0(VALU_DEP_1) | instskip(SKIP_1) | instid1(VALU_DEP_2)
	v_fma_f32 v26, 0x3fb8aa3b, v10, -v15
	v_rndne_f32_e32 v27, v15
	v_fmac_f32_e32 v26, 0x32a5705f, v10
	s_delay_alu instid0(TRANS32_DEP_1) | instskip(NEXT) | instid1(VALU_DEP_3)
	v_ldexp_f32 v14, v14, v25
	v_cvt_i32_f32_e32 v25, v27
	s_wait_alu 0xfffd
	s_delay_alu instid0(VALU_DEP_2) | instskip(SKIP_2) | instid1(VALU_DEP_2)
	v_cndmask_b32_e32 v14, 0, v14, vcc_lo
	v_cmp_nlt_f32_e32 vcc_lo, 0x42b17218, v11
	s_wait_alu 0xfffd
	v_cndmask_b32_e32 v124, 0x7f800000, v14, vcc_lo
	v_cmp_ngt_f32_e32 vcc_lo, 0xc2ce8ed0, v5
	v_sub_f32_e32 v15, v15, v27
	s_delay_alu instid0(VALU_DEP_1) | instskip(NEXT) | instid1(VALU_DEP_1)
	v_add_f32_e32 v15, v15, v26
	v_exp_f32_e32 v15, v15
	s_delay_alu instid0(TRANS32_DEP_1) | instskip(NEXT) | instid1(VALU_DEP_1)
	v_ldexp_f32 v15, v15, v25
	v_cndmask_b32_e64 v11, 0, v15, s3
	v_cmp_nlt_f32_e64 s3, 0x42b17218, v10
	s_wait_alu 0xf1ff
	s_delay_alu instid0(VALU_DEP_1) | instskip(SKIP_2) | instid1(VALU_DEP_3)
	v_cndmask_b32_e64 v116, 0x7f800000, v11, s3
	v_cvt_f16_f32_e32 v11, v124
	v_cmp_ngt_f32_e64 s3, 0xc2ce8ed0, v4
	v_cvt_f16_f32_e32 v10, v116
	s_delay_alu instid0(VALU_DEP_1) | instskip(SKIP_1) | instid1(VALU_DEP_1)
	v_pack_b32_f16 v11, v10, v11
	v_mul_f32_e32 v10, 0x3fb8aa3b, v5
	v_fma_f32 v14, 0x3fb8aa3b, v5, -v10
	v_rndne_f32_e32 v15, v10
	s_delay_alu instid0(VALU_DEP_2) | instskip(NEXT) | instid1(VALU_DEP_2)
	v_fmac_f32_e32 v14, 0x32a5705f, v5
	v_sub_f32_e32 v10, v10, v15
	v_cvt_i32_f32_e32 v15, v15
	s_delay_alu instid0(VALU_DEP_2) | instskip(SKIP_1) | instid1(VALU_DEP_2)
	v_add_f32_e32 v10, v10, v14
	v_mul_f32_e32 v14, 0x3fb8aa3b, v4
	v_exp_f32_e32 v10, v10
	s_delay_alu instid0(VALU_DEP_1) | instskip(SKIP_1) | instid1(VALU_DEP_1)
	v_fma_f32 v25, 0x3fb8aa3b, v4, -v14
	v_rndne_f32_e32 v26, v14
	v_dual_fmac_f32 v25, 0x32a5705f, v4 :: v_dual_sub_f32 v14, v14, v26
	s_delay_alu instid0(TRANS32_DEP_1) | instskip(SKIP_1) | instid1(VALU_DEP_3)
	v_ldexp_f32 v10, v10, v15
	v_cvt_i32_f32_e32 v15, v26
	v_add_f32_e32 v14, v14, v25
	s_wait_alu 0xfffd
	s_delay_alu instid0(VALU_DEP_3) | instskip(SKIP_1) | instid1(VALU_DEP_3)
	v_cndmask_b32_e32 v10, 0, v10, vcc_lo
	v_cmp_nlt_f32_e32 vcc_lo, 0x42b17218, v5
	v_exp_f32_e32 v14, v14
	s_wait_alu 0xfffd
	s_delay_alu instid0(VALU_DEP_2) | instskip(NEXT) | instid1(TRANS32_DEP_1)
	v_cndmask_b32_e32 v126, 0x7f800000, v10, vcc_lo
	v_ldexp_f32 v14, v14, v15
	s_wait_alu 0xf1ff
	s_delay_alu instid0(VALU_DEP_1) | instskip(SKIP_2) | instid1(VALU_DEP_1)
	v_cndmask_b32_e64 v5, 0, v14, s3
	v_cmp_nlt_f32_e64 s3, 0x42b17218, v4
	s_wait_alu 0xf1ff
	v_cndmask_b32_e64 v125, 0x7f800000, v5, s3
	v_cvt_f16_f32_e32 v5, v126
	s_delay_alu instid0(VALU_DEP_2) | instskip(NEXT) | instid1(VALU_DEP_1)
	v_cvt_f16_f32_e32 v4, v125
	v_pack_b32_f16 v10, v4, v5
	ds_load_2addr_b32 v[4:5], v107 offset0:208 offset1:224
	ds_load_2addr_b32 v[14:15], v111 offset0:192 offset1:208
	;; [unrolled: 1-line block ×8, first 2 shown]
	s_wait_dscnt 0x5
	v_perm_b32 v28, v29, v14, 0x5040100
	s_wait_dscnt 0x4
	v_perm_b32 v27, v98, v4, 0x5040100
	;; [unrolled: 2-line block ×4, first 2 shown]
	s_delay_alu instid0(VALU_DEP_1)
	v_wmma_f16_16x16x16_f16 v[60:63], v[25:28], v[10:13], v[60:63]
	v_perm_b32 v25, v104, v102, 0x7060302
	v_perm_b32 v26, v100, v96, 0x7060302
	;; [unrolled: 1-line block ×6, first 2 shown]
	v_add_nc_u32_e32 v4, 0x3600, v238
	s_delay_alu instid0(VALU_DEP_4)
	v_wmma_f16_16x16x16_f16 v[52:55], v[25:28], v[10:13], v[52:55]
	v_perm_b32 v26, v101, v97, 0x7060302
	v_perm_b32 v97, v101, v97, 0x5040100
	;; [unrolled: 1-line block ×6, first 2 shown]
	s_delay_alu instid0(VALU_DEP_3)
	v_wmma_f16_16x16x16_f16 v[56:59], v[96:99], v[10:13], v[56:59]
	ds_load_2addr_b32 v[4:5], v4 offset0:112 offset1:128
	ds_load_2addr_b32 v[14:15], v106 offset0:52 offset1:68
	;; [unrolled: 1-line block ×4, first 2 shown]
	v_wmma_f16_16x16x16_f16 v[48:51], v[25:28], v[10:13], v[48:51]
	s_wait_dscnt 0x2
	v_perm_b32 v98, v14, v4, 0x7060302
	v_perm_b32 v102, v14, v4, 0x5040100
	;; [unrolled: 1-line block ×4, first 2 shown]
	ds_load_2addr_b32 v[4:5], v108 offset0:224 offset1:240
	ds_load_2addr_b32 v[14:15], v107 offset0:36 offset1:52
	s_wait_dscnt 0x2
	v_perm_b32 v105, v100, v30, 0x7060302
	v_perm_b32 v109, v100, v30, 0x5040100
	;; [unrolled: 1-line block ×4, first 2 shown]
	s_wait_dscnt 0x0
	v_perm_b32 v96, v14, v4, 0x7060302
	v_perm_b32 v100, v14, v4, 0x5040100
	;; [unrolled: 1-line block ×4, first 2 shown]
	ds_load_2addr_b32 v[4:5], v111 offset0:224 offset1:240
	ds_load_2addr_b32 v[14:15], v127 offset0:224 offset1:240
	s_wait_loadcnt_dscnt 0x0
	s_barrier_signal -1
	s_barrier_wait -1
	global_inv scope:SCOPE_SE
	v_perm_b32 v103, v14, v4, 0x5040100
	v_perm_b32 v99, v14, v4, 0x7060302
	v_add_f32_e32 v4, v19, v20
	v_perm_b32 v111, v15, v5, 0x5040100
	v_perm_b32 v107, v15, v5, 0x7060302
	v_wmma_f16_16x16x16_f16 v[44:47], v[100:103], v[10:13], v[44:47]
	v_wmma_f16_16x16x16_f16 v[40:43], v[96:99], v[10:13], v[40:43]
	v_add_f32_e32 v4, v16, v4
	v_wmma_f16_16x16x16_f16 v[36:39], v[108:111], v[10:13], v[36:39]
	v_wmma_f16_16x16x16_f16 v[32:35], v[104:107], v[10:13], v[32:35]
	s_delay_alu instid0(VALU_DEP_3) | instskip(NEXT) | instid1(VALU_DEP_1)
	v_add_f32_e32 v4, v17, v4
	v_add_f32_e32 v4, v8, v4
	s_delay_alu instid0(VALU_DEP_1) | instskip(NEXT) | instid1(VALU_DEP_1)
	v_add_f32_e32 v4, v9, v4
	v_add_f32_e32 v4, v6, v4
	s_delay_alu instid0(VALU_DEP_1) | instskip(NEXT) | instid1(VALU_DEP_1)
	;; [unrolled: 3-line block ×14, first 2 shown]
	v_add_f32_e32 v250, v114, v0
	v_fmac_f32_e32 v250, v178, v18
	s_cbranch_scc0 .LBB25_212
; %bb.209:                              ;   in Loop: Header=BB25_80 Depth=2
	s_delay_alu instid0(VALU_DEP_1)
	v_mov_b32_e32 v178, v250
	v_mov_b32_e32 v180, v179
	s_branch .LBB25_80
.LBB25_210:                             ;   in Loop: Header=BB25_9 Depth=1
	s_mov_b32 s1, 0
                                        ; implicit-def: $vgpr1
                                        ; implicit-def: $vgpr2
	s_cbranch_execnz .LBB25_438
	s_branch .LBB25_864
.LBB25_211:                             ;   in Loop: Header=BB25_9 Depth=1
	v_dual_mov_b32 v63, 0 :: v_dual_mov_b32 v250, 0
	v_mov_b32_e32 v55, 0
	s_delay_alu instid0(VALU_DEP_2) | instskip(SKIP_1) | instid1(VALU_DEP_3)
	v_dual_mov_b32 v179, 0xfeffffff :: v_dual_mov_b32 v62, v63
	v_dual_mov_b32 v60, v63 :: v_dual_mov_b32 v61, v63
	;; [unrolled: 1-line block ×15, first 2 shown]
	v_mov_b32_e32 v32, v55
.LBB25_212:                             ;   in Loop: Header=BB25_9 Depth=1
	scratch_load_b32 v2, off, off offset:84 ; 4-byte Folded Reload
	s_lshl_b32 s4, s51, 6
	v_lshlrev_b64_e32 v[0:1], 1, v[215:216]
	s_wait_alu 0xfffe
	s_ashr_i32 s5, s4, 31
	v_lshlrev_b64_e32 v[4:5], 1, v[217:218]
	s_wait_alu 0xfffe
	s_lshl_b64 s[0:1], s[4:5], 1
	v_lshlrev_b64_e32 v[6:7], 1, v[221:222]
	s_wait_alu 0xfffe
	s_add_nc_u64 s[0:1], s[80:81], s[0:1]
	v_lshlrev_b64_e32 v[8:9], 1, v[225:226]
	v_lshlrev_b64_e32 v[10:11], 1, v[227:228]
	;; [unrolled: 1-line block ×4, first 2 shown]
                                        ; implicit-def: $vgpr176
	s_wait_loadcnt 0x0
	v_lshlrev_b32_e32 v2, 1, v2
	s_wait_alu 0xfffe
	s_delay_alu instid0(VALU_DEP_1) | instskip(SKIP_3) | instid1(VALU_DEP_3)
	v_add_co_u32 v16, s0, s0, v2
	v_lshlrev_b64_e32 v[2:3], 1, v[213:214]
	s_wait_alu 0xf1ff
	v_add_co_ci_u32_e64 v17, null, s1, 0, s0
	v_add_co_u32 v0, vcc_lo, v16, v0
	s_mul_u64 s[0:1], s[34:35], s[4:5]
	s_wait_alu 0xfffd
	v_add_co_ci_u32_e64 v1, null, v17, v1, vcc_lo
	v_add_co_u32 v2, vcc_lo, v16, v2
	s_wait_alu 0xfffd
	v_add_co_ci_u32_e64 v3, null, v17, v3, vcc_lo
	v_add_co_u32 v4, vcc_lo, v16, v4
	s_wait_alu 0xfffd
	v_add_co_ci_u32_e64 v5, null, v17, v5, vcc_lo
	v_add_co_u32 v6, vcc_lo, v16, v6
	s_wait_alu 0xfffd
	v_add_co_ci_u32_e64 v7, null, v17, v7, vcc_lo
	v_add_co_u32 v8, vcc_lo, v16, v8
	s_wait_alu 0xfffd
	v_add_co_ci_u32_e64 v9, null, v17, v9, vcc_lo
	v_add_co_u32 v10, vcc_lo, v16, v10
	s_wait_alu 0xfffd
	v_add_co_ci_u32_e64 v11, null, v17, v11, vcc_lo
	v_add_co_u32 v12, vcc_lo, v16, v12
	s_wait_alu 0xfffd
	v_add_co_ci_u32_e64 v13, null, v17, v13, vcc_lo
	v_add_co_u32 v14, vcc_lo, v16, v14
	s_wait_alu 0xfffd
	v_add_co_ci_u32_e64 v15, null, v17, v15, vcc_lo
	s_clause 0x7
	global_load_b32 v0, v[0:1], off
	global_load_b32 v1, v[2:3], off
	;; [unrolled: 1-line block ×8, first 2 shown]
	scratch_load_b32 v8, off, off           ; 4-byte Folded Reload
	v_add_nc_u32_e32 v9, 0, v200
	s_wait_alu 0xfffe
	s_lshl_b64 s[0:1], s[0:1], 2
	s_wait_alu 0xfffe
	s_add_nc_u64 s[0:1], s[78:79], s[0:1]
	s_wait_loadcnt 0x0
	v_add_nc_u32_e32 v8, v9, v8
	s_delay_alu instid0(VALU_DEP_1)
	v_add_nc_u32_e32 v9, 0x4400, v8
	ds_store_2addr_b32 v9, v0, v1 offset1:144
	v_add_nc_u32_e32 v0, 0x4800, v8
	ds_store_2addr_b32 v0, v2, v3 offset0:32 offset1:176
	v_add_nc_u32_e32 v0, 0x4c00, v8
	scratch_load_b64 v[2:3], off, off offset:12 ; 8-byte Folded Reload
	ds_store_2addr_b32 v0, v4, v5 offset0:64 offset1:208
	scratch_load_b64 v[0:1], off, off offset:4 ; 8-byte Folded Reload
	s_wait_loadcnt 0x0
	s_wait_alu 0xfffe
	v_add_co_u32 v0, vcc_lo, s0, v0
	s_wait_alu 0xfffd
	v_add_co_ci_u32_e64 v1, null, s1, v1, vcc_lo
	s_delay_alu instid0(VALU_DEP_2) | instskip(SKIP_1) | instid1(VALU_DEP_2)
	v_add_co_u32 v0, vcc_lo, v0, v240
	s_wait_alu 0xfffd
	v_add_co_ci_u32_e64 v1, null, 0, v1, vcc_lo
	v_add_co_u32 v2, vcc_lo, s0, v2
	s_wait_alu 0xfffd
	v_add_co_ci_u32_e64 v3, null, s1, v3, vcc_lo
	s_delay_alu instid0(VALU_DEP_2) | instskip(SKIP_2) | instid1(VALU_DEP_3)
	v_add_co_u32 v4, vcc_lo, v2, v240
	v_add_nc_u32_e32 v2, 0x5000, v8
	s_wait_alu 0xfffd
	v_add_co_ci_u32_e64 v5, null, 0, v3, vcc_lo
	ds_store_2addr_b32 v2, v6, v7 offset0:96 offset1:240
	s_clause 0x1
	global_load_b128 v[0:3], v[0:1], off
	global_load_b128 v[4:7], v[4:5], off
	s_wait_loadcnt 0x1
	ds_store_b128 v201, v[0:3]
	s_wait_loadcnt 0x0
	ds_store_b128 v188, v[4:7]
	s_clause 0x1
	scratch_load_b64 v[0:1], off, off offset:20
	scratch_load_b64 v[2:3], off, off offset:28
	s_wait_loadcnt 0x1
	v_add_co_u32 v0, vcc_lo, s0, v0
	s_wait_alu 0xfffd
	v_add_co_ci_u32_e64 v1, null, s1, v1, vcc_lo
	s_wait_loadcnt 0x0
	v_add_co_u32 v2, vcc_lo, s0, v2
	s_wait_alu 0xfffd
	v_add_co_ci_u32_e64 v3, null, s1, v3, vcc_lo
	v_add_co_u32 v0, vcc_lo, v0, v240
	s_wait_alu 0xfffd
	v_add_co_ci_u32_e64 v1, null, 0, v1, vcc_lo
	v_add_co_u32 v4, vcc_lo, v2, v240
	s_wait_alu 0xfffd
	v_add_co_ci_u32_e64 v5, null, 0, v3, vcc_lo
	s_clause 0x1
	global_load_b128 v[0:3], v[0:1], off
	global_load_b128 v[4:7], v[4:5], off
	s_wait_loadcnt 0x1
	ds_store_b128 v189, v[0:3]
	s_wait_loadcnt 0x0
	ds_store_b128 v191, v[4:7]
	s_clause 0x1
	scratch_load_b64 v[0:1], off, off offset:36
	scratch_load_b64 v[2:3], off, off offset:44
	s_wait_loadcnt 0x1
	v_add_co_u32 v0, vcc_lo, s0, v0
	s_wait_alu 0xfffd
	v_add_co_ci_u32_e64 v1, null, s1, v1, vcc_lo
	s_wait_loadcnt 0x0
	v_add_co_u32 v2, vcc_lo, s0, v2
	s_wait_alu 0xfffd
	v_add_co_ci_u32_e64 v3, null, s1, v3, vcc_lo
	v_add_co_u32 v0, vcc_lo, v0, v240
	s_wait_alu 0xfffd
	v_add_co_ci_u32_e64 v1, null, 0, v1, vcc_lo
	v_add_co_u32 v4, vcc_lo, v2, v240
	s_wait_alu 0xfffd
	v_add_co_ci_u32_e64 v5, null, 0, v3, vcc_lo
	;; [unrolled: 24-line block ×3, first 2 shown]
	s_clause 0x1
	global_load_b128 v[0:3], v[0:1], off
	global_load_b128 v[4:7], v[4:5], off
	s_wait_loadcnt 0x1
	ds_store_b128 v192, v[0:3]
	s_wait_loadcnt 0x0
	ds_store_b128 v195, v[4:7]
	s_wait_storecnt_dscnt 0x0
	s_barrier_signal -1
	s_barrier_wait -1
	global_inv scope:SCOPE_SE
	ds_load_b128 v[8:11], v253
	ds_load_b128 v[12:15], v253 offset:32
	s_wait_dscnt 0x1
	v_wmma_f32_16x16x16_f16 v[0:7], v[8:11], v[92:95], 0
	s_wait_dscnt 0x0
	s_delay_alu instid0(VALU_DEP_1)
	v_wmma_f32_16x16x16_f16 v[0:7], v[12:15], v[88:91], v[0:7]
	ds_load_b128 v[8:11], v253 offset:64
	ds_load_b128 v[12:15], v253 offset:96
	s_wait_dscnt 0x1
	v_wmma_f32_16x16x16_f16 v[0:7], v[8:11], v[84:87], v[0:7]
	s_wait_dscnt 0x0
	s_delay_alu instid0(VALU_DEP_1)
	v_wmma_f32_16x16x16_f16 v[0:7], v[12:15], v[80:83], v[0:7]
	ds_load_b128 v[8:11], v253 offset:128
	;; [unrolled: 7-line block ×3, first 2 shown]
	ds_load_b128 v[12:15], v253 offset:224
	ds_load_b128 v[172:175], v253 offset:4352
	;; [unrolled: 1-line block ×25, first 2 shown]
	s_wait_loadcnt_dscnt 0x0
	s_barrier_signal -1
	s_barrier_wait -1
	global_inv scope:SCOPE_SE
	v_wmma_f32_16x16x16_f16 v[0:7], v[8:11], v[68:71], v[0:7]
	s_delay_alu instid0(VALU_DEP_1) | instskip(NEXT) | instid1(VALU_DEP_1)
	v_wmma_f32_16x16x16_f16 v[0:7], v[12:15], v[64:67], v[0:7]
	v_cmp_ngt_f32_e64 s0, 0x3f200000, |v0|
	s_and_saveexec_b32 s1, s0
	s_wait_alu 0xfffe
	s_xor_b32 s0, exec_lo, s1
	s_cbranch_execz .LBB25_214
; %bb.213:                              ;   in Loop: Header=BB25_9 Depth=1
	v_add_f32_e64 v8, |v0|, |v0|
	s_delay_alu instid0(VALU_DEP_1) | instskip(SKIP_1) | instid1(VALU_DEP_2)
	v_mul_f32_e32 v9, 0x3fb8aa3b, v8
	v_cmp_ngt_f32_e32 vcc_lo, 0xc2ce8ed0, v8
	v_rndne_f32_e32 v10, v9
	v_fma_f32 v11, 0x3fb8aa3b, v8, -v9
	s_delay_alu instid0(VALU_DEP_2) | instskip(NEXT) | instid1(VALU_DEP_2)
	v_sub_f32_e32 v9, v9, v10
	v_fmac_f32_e32 v11, 0x32a5705f, v8
	v_cvt_i32_f32_e32 v10, v10
	s_delay_alu instid0(VALU_DEP_2) | instskip(NEXT) | instid1(VALU_DEP_1)
	v_add_f32_e32 v9, v9, v11
	v_exp_f32_e32 v9, v9
	s_delay_alu instid0(TRANS32_DEP_1) | instskip(SKIP_1) | instid1(VALU_DEP_1)
	v_ldexp_f32 v9, v9, v10
	s_wait_alu 0xfffd
	v_cndmask_b32_e32 v9, 0, v9, vcc_lo
	v_cmp_nlt_f32_e32 vcc_lo, 0x42b17218, v8
	s_wait_alu 0xfffd
	s_delay_alu instid0(VALU_DEP_2) | instskip(NEXT) | instid1(VALU_DEP_1)
	v_cndmask_b32_e32 v8, 0x7f800000, v9, vcc_lo
	v_add_f32_e32 v8, 1.0, v8
	s_delay_alu instid0(VALU_DEP_1) | instskip(NEXT) | instid1(TRANS32_DEP_1)
	v_rcp_f32_e32 v8, v8
	v_fma_f32 v176, v8, -2.0, 1.0
.LBB25_214:                             ;   in Loop: Header=BB25_9 Depth=1
	s_wait_alu 0xfffe
	s_and_not1_saveexec_b32 s0, s0
	s_cbranch_execz .LBB25_216
; %bb.215:                              ;   in Loop: Header=BB25_9 Depth=1
	v_mul_f32_e32 v8, v0, v0
	s_delay_alu instid0(VALU_DEP_1) | instskip(NEXT) | instid1(VALU_DEP_1)
	v_fmaak_f32 v9, s39, v8, 0x3ca908c9
	v_fmaak_f32 v9, v8, v9, 0xbd5c1c4e
	s_delay_alu instid0(VALU_DEP_1) | instskip(NEXT) | instid1(VALU_DEP_1)
	v_fmaak_f32 v9, v8, v9, 0x3e088382
	v_fmaak_f32 v9, v8, v9, 0xbeaaaa99
	s_delay_alu instid0(VALU_DEP_1) | instskip(NEXT) | instid1(VALU_DEP_1)
	v_mul_f32_e64 v9, |v0|, v9
	v_fma_f32 v176, v8, v9, |v0|
.LBB25_216:                             ;   in Loop: Header=BB25_9 Depth=1
	s_wait_alu 0xfffe
	s_or_b32 exec_lo, exec_lo, s0
	v_cmp_ngt_f32_e64 s0, 0x3f200000, |v1|
                                        ; implicit-def: $vgpr178
	s_and_saveexec_b32 s1, s0
	s_wait_alu 0xfffe
	s_xor_b32 s0, exec_lo, s1
	s_cbranch_execz .LBB25_218
; %bb.217:                              ;   in Loop: Header=BB25_9 Depth=1
	v_add_f32_e64 v8, |v1|, |v1|
	s_delay_alu instid0(VALU_DEP_1) | instskip(SKIP_1) | instid1(VALU_DEP_2)
	v_mul_f32_e32 v9, 0x3fb8aa3b, v8
	v_cmp_ngt_f32_e32 vcc_lo, 0xc2ce8ed0, v8
	v_rndne_f32_e32 v10, v9
	v_fma_f32 v11, 0x3fb8aa3b, v8, -v9
	s_delay_alu instid0(VALU_DEP_2) | instskip(NEXT) | instid1(VALU_DEP_2)
	v_sub_f32_e32 v9, v9, v10
	v_fmac_f32_e32 v11, 0x32a5705f, v8
	v_cvt_i32_f32_e32 v10, v10
	s_delay_alu instid0(VALU_DEP_2) | instskip(NEXT) | instid1(VALU_DEP_1)
	v_add_f32_e32 v9, v9, v11
	v_exp_f32_e32 v9, v9
	s_delay_alu instid0(TRANS32_DEP_1) | instskip(SKIP_1) | instid1(VALU_DEP_1)
	v_ldexp_f32 v9, v9, v10
	s_wait_alu 0xfffd
	v_cndmask_b32_e32 v9, 0, v9, vcc_lo
	v_cmp_nlt_f32_e32 vcc_lo, 0x42b17218, v8
	s_wait_alu 0xfffd
	s_delay_alu instid0(VALU_DEP_2) | instskip(NEXT) | instid1(VALU_DEP_1)
	v_cndmask_b32_e32 v8, 0x7f800000, v9, vcc_lo
	v_add_f32_e32 v8, 1.0, v8
	s_delay_alu instid0(VALU_DEP_1) | instskip(NEXT) | instid1(TRANS32_DEP_1)
	v_rcp_f32_e32 v8, v8
	v_fma_f32 v178, v8, -2.0, 1.0
.LBB25_218:                             ;   in Loop: Header=BB25_9 Depth=1
	s_wait_alu 0xfffe
	s_and_not1_saveexec_b32 s0, s0
	s_cbranch_execz .LBB25_220
; %bb.219:                              ;   in Loop: Header=BB25_9 Depth=1
	v_mul_f32_e32 v8, v1, v1
	s_delay_alu instid0(VALU_DEP_1) | instskip(NEXT) | instid1(VALU_DEP_1)
	v_fmaak_f32 v9, s39, v8, 0x3ca908c9
	v_fmaak_f32 v9, v8, v9, 0xbd5c1c4e
	s_delay_alu instid0(VALU_DEP_1) | instskip(NEXT) | instid1(VALU_DEP_1)
	v_fmaak_f32 v9, v8, v9, 0x3e088382
	v_fmaak_f32 v9, v8, v9, 0xbeaaaa99
	s_delay_alu instid0(VALU_DEP_1) | instskip(NEXT) | instid1(VALU_DEP_1)
	v_mul_f32_e64 v9, |v1|, v9
	v_fma_f32 v178, v8, v9, |v1|
.LBB25_220:                             ;   in Loop: Header=BB25_9 Depth=1
	s_wait_alu 0xfffe
	s_or_b32 exec_lo, exec_lo, s0
	v_cmp_ngt_f32_e64 s0, 0x3f200000, |v2|
                                        ; implicit-def: $vgpr180
	s_and_saveexec_b32 s1, s0
	s_wait_alu 0xfffe
	s_xor_b32 s0, exec_lo, s1
	s_cbranch_execz .LBB25_222
; %bb.221:                              ;   in Loop: Header=BB25_9 Depth=1
	v_add_f32_e64 v8, |v2|, |v2|
	s_delay_alu instid0(VALU_DEP_1) | instskip(SKIP_1) | instid1(VALU_DEP_2)
	v_mul_f32_e32 v9, 0x3fb8aa3b, v8
	v_cmp_ngt_f32_e32 vcc_lo, 0xc2ce8ed0, v8
	v_rndne_f32_e32 v10, v9
	v_fma_f32 v11, 0x3fb8aa3b, v8, -v9
	s_delay_alu instid0(VALU_DEP_2) | instskip(NEXT) | instid1(VALU_DEP_2)
	v_sub_f32_e32 v9, v9, v10
	v_fmac_f32_e32 v11, 0x32a5705f, v8
	v_cvt_i32_f32_e32 v10, v10
	s_delay_alu instid0(VALU_DEP_2) | instskip(NEXT) | instid1(VALU_DEP_1)
	v_add_f32_e32 v9, v9, v11
	v_exp_f32_e32 v9, v9
	s_delay_alu instid0(TRANS32_DEP_1) | instskip(SKIP_1) | instid1(VALU_DEP_1)
	v_ldexp_f32 v9, v9, v10
	s_wait_alu 0xfffd
	v_cndmask_b32_e32 v9, 0, v9, vcc_lo
	v_cmp_nlt_f32_e32 vcc_lo, 0x42b17218, v8
	s_wait_alu 0xfffd
	s_delay_alu instid0(VALU_DEP_2) | instskip(NEXT) | instid1(VALU_DEP_1)
	v_cndmask_b32_e32 v8, 0x7f800000, v9, vcc_lo
	v_add_f32_e32 v8, 1.0, v8
	s_delay_alu instid0(VALU_DEP_1) | instskip(NEXT) | instid1(TRANS32_DEP_1)
	v_rcp_f32_e32 v8, v8
	v_fma_f32 v180, v8, -2.0, 1.0
.LBB25_222:                             ;   in Loop: Header=BB25_9 Depth=1
	s_wait_alu 0xfffe
	s_and_not1_saveexec_b32 s0, s0
	s_cbranch_execz .LBB25_224
; %bb.223:                              ;   in Loop: Header=BB25_9 Depth=1
	v_mul_f32_e32 v8, v2, v2
	s_delay_alu instid0(VALU_DEP_1) | instskip(NEXT) | instid1(VALU_DEP_1)
	v_fmaak_f32 v9, s39, v8, 0x3ca908c9
	v_fmaak_f32 v9, v8, v9, 0xbd5c1c4e
	s_delay_alu instid0(VALU_DEP_1) | instskip(NEXT) | instid1(VALU_DEP_1)
	v_fmaak_f32 v9, v8, v9, 0x3e088382
	v_fmaak_f32 v9, v8, v9, 0xbeaaaa99
	s_delay_alu instid0(VALU_DEP_1) | instskip(NEXT) | instid1(VALU_DEP_1)
	v_mul_f32_e64 v9, |v2|, v9
	v_fma_f32 v180, v8, v9, |v2|
.LBB25_224:                             ;   in Loop: Header=BB25_9 Depth=1
	s_wait_alu 0xfffe
	s_or_b32 exec_lo, exec_lo, s0
	v_cmp_ngt_f32_e64 s0, 0x3f200000, |v3|
                                        ; implicit-def: $vgpr181
	s_and_saveexec_b32 s1, s0
	s_wait_alu 0xfffe
	s_xor_b32 s0, exec_lo, s1
	s_cbranch_execz .LBB25_226
; %bb.225:                              ;   in Loop: Header=BB25_9 Depth=1
	v_add_f32_e64 v8, |v3|, |v3|
	s_delay_alu instid0(VALU_DEP_1) | instskip(SKIP_1) | instid1(VALU_DEP_2)
	v_mul_f32_e32 v9, 0x3fb8aa3b, v8
	v_cmp_ngt_f32_e32 vcc_lo, 0xc2ce8ed0, v8
	v_rndne_f32_e32 v10, v9
	v_fma_f32 v11, 0x3fb8aa3b, v8, -v9
	s_delay_alu instid0(VALU_DEP_2) | instskip(NEXT) | instid1(VALU_DEP_2)
	v_sub_f32_e32 v9, v9, v10
	v_fmac_f32_e32 v11, 0x32a5705f, v8
	v_cvt_i32_f32_e32 v10, v10
	s_delay_alu instid0(VALU_DEP_2) | instskip(NEXT) | instid1(VALU_DEP_1)
	v_add_f32_e32 v9, v9, v11
	v_exp_f32_e32 v9, v9
	s_delay_alu instid0(TRANS32_DEP_1) | instskip(SKIP_1) | instid1(VALU_DEP_1)
	v_ldexp_f32 v9, v9, v10
	s_wait_alu 0xfffd
	v_cndmask_b32_e32 v9, 0, v9, vcc_lo
	v_cmp_nlt_f32_e32 vcc_lo, 0x42b17218, v8
	s_wait_alu 0xfffd
	s_delay_alu instid0(VALU_DEP_2) | instskip(NEXT) | instid1(VALU_DEP_1)
	v_cndmask_b32_e32 v8, 0x7f800000, v9, vcc_lo
	v_add_f32_e32 v8, 1.0, v8
	s_delay_alu instid0(VALU_DEP_1) | instskip(NEXT) | instid1(TRANS32_DEP_1)
	v_rcp_f32_e32 v8, v8
	v_fma_f32 v181, v8, -2.0, 1.0
.LBB25_226:                             ;   in Loop: Header=BB25_9 Depth=1
	s_wait_alu 0xfffe
	s_and_not1_saveexec_b32 s0, s0
	s_cbranch_execz .LBB25_228
; %bb.227:                              ;   in Loop: Header=BB25_9 Depth=1
	v_mul_f32_e32 v8, v3, v3
	s_delay_alu instid0(VALU_DEP_1) | instskip(NEXT) | instid1(VALU_DEP_1)
	v_fmaak_f32 v9, s39, v8, 0x3ca908c9
	v_fmaak_f32 v9, v8, v9, 0xbd5c1c4e
	s_delay_alu instid0(VALU_DEP_1) | instskip(NEXT) | instid1(VALU_DEP_1)
	v_fmaak_f32 v9, v8, v9, 0x3e088382
	v_fmaak_f32 v9, v8, v9, 0xbeaaaa99
	s_delay_alu instid0(VALU_DEP_1) | instskip(NEXT) | instid1(VALU_DEP_1)
	v_mul_f32_e64 v9, |v3|, v9
	v_fma_f32 v181, v8, v9, |v3|
.LBB25_228:                             ;   in Loop: Header=BB25_9 Depth=1
	s_wait_alu 0xfffe
	s_or_b32 exec_lo, exec_lo, s0
	v_cmp_ngt_f32_e64 s0, 0x3f200000, |v4|
                                        ; implicit-def: $vgpr182
	s_and_saveexec_b32 s1, s0
	s_wait_alu 0xfffe
	s_xor_b32 s0, exec_lo, s1
	s_cbranch_execz .LBB25_230
; %bb.229:                              ;   in Loop: Header=BB25_9 Depth=1
	v_add_f32_e64 v8, |v4|, |v4|
	s_delay_alu instid0(VALU_DEP_1) | instskip(SKIP_1) | instid1(VALU_DEP_2)
	v_mul_f32_e32 v9, 0x3fb8aa3b, v8
	v_cmp_ngt_f32_e32 vcc_lo, 0xc2ce8ed0, v8
	v_rndne_f32_e32 v10, v9
	v_fma_f32 v11, 0x3fb8aa3b, v8, -v9
	s_delay_alu instid0(VALU_DEP_2) | instskip(NEXT) | instid1(VALU_DEP_2)
	v_sub_f32_e32 v9, v9, v10
	v_fmac_f32_e32 v11, 0x32a5705f, v8
	v_cvt_i32_f32_e32 v10, v10
	s_delay_alu instid0(VALU_DEP_2) | instskip(NEXT) | instid1(VALU_DEP_1)
	v_add_f32_e32 v9, v9, v11
	v_exp_f32_e32 v9, v9
	s_delay_alu instid0(TRANS32_DEP_1) | instskip(SKIP_1) | instid1(VALU_DEP_1)
	v_ldexp_f32 v9, v9, v10
	s_wait_alu 0xfffd
	v_cndmask_b32_e32 v9, 0, v9, vcc_lo
	v_cmp_nlt_f32_e32 vcc_lo, 0x42b17218, v8
	s_wait_alu 0xfffd
	s_delay_alu instid0(VALU_DEP_2) | instskip(NEXT) | instid1(VALU_DEP_1)
	v_cndmask_b32_e32 v8, 0x7f800000, v9, vcc_lo
	v_add_f32_e32 v8, 1.0, v8
	s_delay_alu instid0(VALU_DEP_1) | instskip(NEXT) | instid1(TRANS32_DEP_1)
	v_rcp_f32_e32 v8, v8
	v_fma_f32 v182, v8, -2.0, 1.0
.LBB25_230:                             ;   in Loop: Header=BB25_9 Depth=1
	s_wait_alu 0xfffe
	s_and_not1_saveexec_b32 s0, s0
	s_cbranch_execz .LBB25_232
; %bb.231:                              ;   in Loop: Header=BB25_9 Depth=1
	v_mul_f32_e32 v8, v4, v4
	s_delay_alu instid0(VALU_DEP_1) | instskip(NEXT) | instid1(VALU_DEP_1)
	v_fmaak_f32 v9, s39, v8, 0x3ca908c9
	v_fmaak_f32 v9, v8, v9, 0xbd5c1c4e
	s_delay_alu instid0(VALU_DEP_1) | instskip(NEXT) | instid1(VALU_DEP_1)
	v_fmaak_f32 v9, v8, v9, 0x3e088382
	v_fmaak_f32 v9, v8, v9, 0xbeaaaa99
	s_delay_alu instid0(VALU_DEP_1) | instskip(NEXT) | instid1(VALU_DEP_1)
	v_mul_f32_e64 v9, |v4|, v9
	v_fma_f32 v182, v8, v9, |v4|
.LBB25_232:                             ;   in Loop: Header=BB25_9 Depth=1
	s_wait_alu 0xfffe
	s_or_b32 exec_lo, exec_lo, s0
	v_cmp_ngt_f32_e64 s0, 0x3f200000, |v5|
                                        ; implicit-def: $vgpr183
	s_and_saveexec_b32 s1, s0
	s_wait_alu 0xfffe
	s_xor_b32 s0, exec_lo, s1
	s_cbranch_execz .LBB25_234
; %bb.233:                              ;   in Loop: Header=BB25_9 Depth=1
	v_add_f32_e64 v8, |v5|, |v5|
	s_delay_alu instid0(VALU_DEP_1) | instskip(SKIP_1) | instid1(VALU_DEP_2)
	v_mul_f32_e32 v9, 0x3fb8aa3b, v8
	v_cmp_ngt_f32_e32 vcc_lo, 0xc2ce8ed0, v8
	v_rndne_f32_e32 v10, v9
	v_fma_f32 v11, 0x3fb8aa3b, v8, -v9
	s_delay_alu instid0(VALU_DEP_2) | instskip(NEXT) | instid1(VALU_DEP_2)
	v_sub_f32_e32 v9, v9, v10
	v_fmac_f32_e32 v11, 0x32a5705f, v8
	v_cvt_i32_f32_e32 v10, v10
	s_delay_alu instid0(VALU_DEP_2) | instskip(NEXT) | instid1(VALU_DEP_1)
	v_add_f32_e32 v9, v9, v11
	v_exp_f32_e32 v9, v9
	s_delay_alu instid0(TRANS32_DEP_1) | instskip(SKIP_1) | instid1(VALU_DEP_1)
	v_ldexp_f32 v9, v9, v10
	s_wait_alu 0xfffd
	v_cndmask_b32_e32 v9, 0, v9, vcc_lo
	v_cmp_nlt_f32_e32 vcc_lo, 0x42b17218, v8
	s_wait_alu 0xfffd
	s_delay_alu instid0(VALU_DEP_2) | instskip(NEXT) | instid1(VALU_DEP_1)
	v_cndmask_b32_e32 v8, 0x7f800000, v9, vcc_lo
	v_add_f32_e32 v8, 1.0, v8
	s_delay_alu instid0(VALU_DEP_1) | instskip(NEXT) | instid1(TRANS32_DEP_1)
	v_rcp_f32_e32 v8, v8
	v_fma_f32 v183, v8, -2.0, 1.0
.LBB25_234:                             ;   in Loop: Header=BB25_9 Depth=1
	s_wait_alu 0xfffe
	s_and_not1_saveexec_b32 s0, s0
	s_cbranch_execz .LBB25_236
; %bb.235:                              ;   in Loop: Header=BB25_9 Depth=1
	v_mul_f32_e32 v8, v5, v5
	s_delay_alu instid0(VALU_DEP_1) | instskip(NEXT) | instid1(VALU_DEP_1)
	v_fmaak_f32 v9, s39, v8, 0x3ca908c9
	v_fmaak_f32 v9, v8, v9, 0xbd5c1c4e
	s_delay_alu instid0(VALU_DEP_1) | instskip(NEXT) | instid1(VALU_DEP_1)
	v_fmaak_f32 v9, v8, v9, 0x3e088382
	v_fmaak_f32 v9, v8, v9, 0xbeaaaa99
	s_delay_alu instid0(VALU_DEP_1) | instskip(NEXT) | instid1(VALU_DEP_1)
	v_mul_f32_e64 v9, |v5|, v9
	v_fma_f32 v183, v8, v9, |v5|
.LBB25_236:                             ;   in Loop: Header=BB25_9 Depth=1
	s_wait_alu 0xfffe
	s_or_b32 exec_lo, exec_lo, s0
	v_cmp_ngt_f32_e64 s0, 0x3f200000, |v6|
                                        ; implicit-def: $vgpr184
	s_and_saveexec_b32 s1, s0
	s_wait_alu 0xfffe
	s_xor_b32 s0, exec_lo, s1
	s_cbranch_execz .LBB25_238
; %bb.237:                              ;   in Loop: Header=BB25_9 Depth=1
	v_add_f32_e64 v8, |v6|, |v6|
	s_delay_alu instid0(VALU_DEP_1) | instskip(SKIP_1) | instid1(VALU_DEP_2)
	v_mul_f32_e32 v9, 0x3fb8aa3b, v8
	v_cmp_ngt_f32_e32 vcc_lo, 0xc2ce8ed0, v8
	v_rndne_f32_e32 v10, v9
	v_fma_f32 v11, 0x3fb8aa3b, v8, -v9
	s_delay_alu instid0(VALU_DEP_2) | instskip(NEXT) | instid1(VALU_DEP_2)
	v_sub_f32_e32 v9, v9, v10
	v_fmac_f32_e32 v11, 0x32a5705f, v8
	v_cvt_i32_f32_e32 v10, v10
	s_delay_alu instid0(VALU_DEP_2) | instskip(NEXT) | instid1(VALU_DEP_1)
	v_add_f32_e32 v9, v9, v11
	v_exp_f32_e32 v9, v9
	s_delay_alu instid0(TRANS32_DEP_1) | instskip(SKIP_1) | instid1(VALU_DEP_1)
	v_ldexp_f32 v9, v9, v10
	s_wait_alu 0xfffd
	v_cndmask_b32_e32 v9, 0, v9, vcc_lo
	v_cmp_nlt_f32_e32 vcc_lo, 0x42b17218, v8
	s_wait_alu 0xfffd
	s_delay_alu instid0(VALU_DEP_2) | instskip(NEXT) | instid1(VALU_DEP_1)
	v_cndmask_b32_e32 v8, 0x7f800000, v9, vcc_lo
	v_add_f32_e32 v8, 1.0, v8
	s_delay_alu instid0(VALU_DEP_1) | instskip(NEXT) | instid1(TRANS32_DEP_1)
	v_rcp_f32_e32 v8, v8
	v_fma_f32 v184, v8, -2.0, 1.0
.LBB25_238:                             ;   in Loop: Header=BB25_9 Depth=1
	s_wait_alu 0xfffe
	s_and_not1_saveexec_b32 s0, s0
	s_cbranch_execz .LBB25_240
; %bb.239:                              ;   in Loop: Header=BB25_9 Depth=1
	v_mul_f32_e32 v8, v6, v6
	s_delay_alu instid0(VALU_DEP_1) | instskip(NEXT) | instid1(VALU_DEP_1)
	v_fmaak_f32 v9, s39, v8, 0x3ca908c9
	v_fmaak_f32 v9, v8, v9, 0xbd5c1c4e
	s_delay_alu instid0(VALU_DEP_1) | instskip(NEXT) | instid1(VALU_DEP_1)
	v_fmaak_f32 v9, v8, v9, 0x3e088382
	v_fmaak_f32 v9, v8, v9, 0xbeaaaa99
	s_delay_alu instid0(VALU_DEP_1) | instskip(NEXT) | instid1(VALU_DEP_1)
	v_mul_f32_e64 v9, |v6|, v9
	v_fma_f32 v184, v8, v9, |v6|
.LBB25_240:                             ;   in Loop: Header=BB25_9 Depth=1
	s_wait_alu 0xfffe
	s_or_b32 exec_lo, exec_lo, s0
	v_cmp_ngt_f32_e64 s0, 0x3f200000, |v7|
                                        ; implicit-def: $vgpr185
	s_and_saveexec_b32 s1, s0
	s_wait_alu 0xfffe
	s_xor_b32 s0, exec_lo, s1
	s_cbranch_execz .LBB25_242
; %bb.241:                              ;   in Loop: Header=BB25_9 Depth=1
	v_add_f32_e64 v8, |v7|, |v7|
	s_delay_alu instid0(VALU_DEP_1) | instskip(SKIP_1) | instid1(VALU_DEP_2)
	v_mul_f32_e32 v9, 0x3fb8aa3b, v8
	v_cmp_ngt_f32_e32 vcc_lo, 0xc2ce8ed0, v8
	v_rndne_f32_e32 v10, v9
	v_fma_f32 v11, 0x3fb8aa3b, v8, -v9
	s_delay_alu instid0(VALU_DEP_2) | instskip(NEXT) | instid1(VALU_DEP_2)
	v_sub_f32_e32 v9, v9, v10
	v_fmac_f32_e32 v11, 0x32a5705f, v8
	v_cvt_i32_f32_e32 v10, v10
	s_delay_alu instid0(VALU_DEP_2) | instskip(NEXT) | instid1(VALU_DEP_1)
	v_add_f32_e32 v9, v9, v11
	v_exp_f32_e32 v9, v9
	s_delay_alu instid0(TRANS32_DEP_1) | instskip(SKIP_1) | instid1(VALU_DEP_1)
	v_ldexp_f32 v9, v9, v10
	s_wait_alu 0xfffd
	v_cndmask_b32_e32 v9, 0, v9, vcc_lo
	v_cmp_nlt_f32_e32 vcc_lo, 0x42b17218, v8
	s_wait_alu 0xfffd
	s_delay_alu instid0(VALU_DEP_2) | instskip(NEXT) | instid1(VALU_DEP_1)
	v_cndmask_b32_e32 v8, 0x7f800000, v9, vcc_lo
	v_add_f32_e32 v8, 1.0, v8
	s_delay_alu instid0(VALU_DEP_1) | instskip(NEXT) | instid1(TRANS32_DEP_1)
	v_rcp_f32_e32 v8, v8
	v_fma_f32 v185, v8, -2.0, 1.0
.LBB25_242:                             ;   in Loop: Header=BB25_9 Depth=1
	s_wait_alu 0xfffe
	s_and_not1_saveexec_b32 s0, s0
	s_cbranch_execz .LBB25_244
; %bb.243:                              ;   in Loop: Header=BB25_9 Depth=1
	v_mul_f32_e32 v8, v7, v7
	s_delay_alu instid0(VALU_DEP_1) | instskip(NEXT) | instid1(VALU_DEP_1)
	v_fmaak_f32 v9, s39, v8, 0x3ca908c9
	v_fmaak_f32 v9, v8, v9, 0xbd5c1c4e
	s_delay_alu instid0(VALU_DEP_1) | instskip(NEXT) | instid1(VALU_DEP_1)
	v_fmaak_f32 v9, v8, v9, 0x3e088382
	v_fmaak_f32 v9, v8, v9, 0xbeaaaa99
	s_delay_alu instid0(VALU_DEP_1) | instskip(NEXT) | instid1(VALU_DEP_1)
	v_mul_f32_e64 v9, |v7|, v9
	v_fma_f32 v185, v8, v9, |v7|
.LBB25_244:                             ;   in Loop: Header=BB25_9 Depth=1
	s_wait_alu 0xfffe
	s_or_b32 exec_lo, exec_lo, s0
	v_wmma_f32_16x16x16_f16 v[8:15], v[172:175], v[92:95], 0
	s_delay_alu instid0(VALU_DEP_1) | instskip(NEXT) | instid1(VALU_DEP_1)
	v_wmma_f32_16x16x16_f16 v[8:15], v[168:171], v[88:91], v[8:15]
	v_wmma_f32_16x16x16_f16 v[8:15], v[164:167], v[84:87], v[8:15]
	s_delay_alu instid0(VALU_DEP_1) | instskip(NEXT) | instid1(VALU_DEP_1)
	v_wmma_f32_16x16x16_f16 v[8:15], v[160:163], v[80:83], v[8:15]
	;; [unrolled: 3-line block ×3, first 2 shown]
                                        ; implicit-def: $vgpr152
	v_wmma_f32_16x16x16_f16 v[8:15], v[20:23], v[68:71], v[8:15]
	s_delay_alu instid0(VALU_DEP_1) | instskip(NEXT) | instid1(VALU_DEP_1)
	v_wmma_f32_16x16x16_f16 v[8:15], v[16:19], v[64:67], v[8:15]
	v_cmp_ngt_f32_e64 s0, 0x3f200000, |v8|
	s_and_saveexec_b32 s1, s0
	s_wait_alu 0xfffe
	s_xor_b32 s0, exec_lo, s1
	s_cbranch_execz .LBB25_246
; %bb.245:                              ;   in Loop: Header=BB25_9 Depth=1
	v_add_f32_e64 v16, |v8|, |v8|
	s_delay_alu instid0(VALU_DEP_1) | instskip(SKIP_1) | instid1(VALU_DEP_2)
	v_mul_f32_e32 v17, 0x3fb8aa3b, v16
	v_cmp_ngt_f32_e32 vcc_lo, 0xc2ce8ed0, v16
	v_rndne_f32_e32 v18, v17
	v_fma_f32 v19, 0x3fb8aa3b, v16, -v17
	s_delay_alu instid0(VALU_DEP_2) | instskip(NEXT) | instid1(VALU_DEP_2)
	v_sub_f32_e32 v17, v17, v18
	v_fmac_f32_e32 v19, 0x32a5705f, v16
	v_cvt_i32_f32_e32 v18, v18
	s_delay_alu instid0(VALU_DEP_2) | instskip(NEXT) | instid1(VALU_DEP_1)
	v_add_f32_e32 v17, v17, v19
	v_exp_f32_e32 v17, v17
	s_delay_alu instid0(TRANS32_DEP_1) | instskip(SKIP_1) | instid1(VALU_DEP_1)
	v_ldexp_f32 v17, v17, v18
	s_wait_alu 0xfffd
	v_cndmask_b32_e32 v17, 0, v17, vcc_lo
	v_cmp_nlt_f32_e32 vcc_lo, 0x42b17218, v16
	s_wait_alu 0xfffd
	s_delay_alu instid0(VALU_DEP_2) | instskip(NEXT) | instid1(VALU_DEP_1)
	v_cndmask_b32_e32 v16, 0x7f800000, v17, vcc_lo
	v_add_f32_e32 v16, 1.0, v16
	s_delay_alu instid0(VALU_DEP_1) | instskip(NEXT) | instid1(TRANS32_DEP_1)
	v_rcp_f32_e32 v16, v16
	v_fma_f32 v152, v16, -2.0, 1.0
.LBB25_246:                             ;   in Loop: Header=BB25_9 Depth=1
	s_wait_alu 0xfffe
	s_and_not1_saveexec_b32 s0, s0
	s_cbranch_execz .LBB25_248
; %bb.247:                              ;   in Loop: Header=BB25_9 Depth=1
	v_mul_f32_e32 v16, v8, v8
	s_delay_alu instid0(VALU_DEP_1) | instskip(NEXT) | instid1(VALU_DEP_1)
	v_fmaak_f32 v17, s39, v16, 0x3ca908c9
	v_fmaak_f32 v17, v16, v17, 0xbd5c1c4e
	s_delay_alu instid0(VALU_DEP_1) | instskip(NEXT) | instid1(VALU_DEP_1)
	v_fmaak_f32 v17, v16, v17, 0x3e088382
	v_fmaak_f32 v17, v16, v17, 0xbeaaaa99
	s_delay_alu instid0(VALU_DEP_1) | instskip(NEXT) | instid1(VALU_DEP_1)
	v_mul_f32_e64 v17, |v8|, v17
	v_fma_f32 v152, v16, v17, |v8|
.LBB25_248:                             ;   in Loop: Header=BB25_9 Depth=1
	s_wait_alu 0xfffe
	s_or_b32 exec_lo, exec_lo, s0
	v_cmp_ngt_f32_e64 s0, 0x3f200000, |v9|
                                        ; implicit-def: $vgpr153
	s_and_saveexec_b32 s1, s0
	s_wait_alu 0xfffe
	s_xor_b32 s0, exec_lo, s1
	s_cbranch_execz .LBB25_250
; %bb.249:                              ;   in Loop: Header=BB25_9 Depth=1
	v_add_f32_e64 v16, |v9|, |v9|
	s_delay_alu instid0(VALU_DEP_1) | instskip(SKIP_1) | instid1(VALU_DEP_2)
	v_mul_f32_e32 v17, 0x3fb8aa3b, v16
	v_cmp_ngt_f32_e32 vcc_lo, 0xc2ce8ed0, v16
	v_rndne_f32_e32 v18, v17
	v_fma_f32 v19, 0x3fb8aa3b, v16, -v17
	s_delay_alu instid0(VALU_DEP_2) | instskip(NEXT) | instid1(VALU_DEP_2)
	v_sub_f32_e32 v17, v17, v18
	v_fmac_f32_e32 v19, 0x32a5705f, v16
	v_cvt_i32_f32_e32 v18, v18
	s_delay_alu instid0(VALU_DEP_2) | instskip(NEXT) | instid1(VALU_DEP_1)
	v_add_f32_e32 v17, v17, v19
	v_exp_f32_e32 v17, v17
	s_delay_alu instid0(TRANS32_DEP_1) | instskip(SKIP_1) | instid1(VALU_DEP_1)
	v_ldexp_f32 v17, v17, v18
	s_wait_alu 0xfffd
	v_cndmask_b32_e32 v17, 0, v17, vcc_lo
	v_cmp_nlt_f32_e32 vcc_lo, 0x42b17218, v16
	s_wait_alu 0xfffd
	s_delay_alu instid0(VALU_DEP_2) | instskip(NEXT) | instid1(VALU_DEP_1)
	v_cndmask_b32_e32 v16, 0x7f800000, v17, vcc_lo
	v_add_f32_e32 v16, 1.0, v16
	s_delay_alu instid0(VALU_DEP_1) | instskip(NEXT) | instid1(TRANS32_DEP_1)
	v_rcp_f32_e32 v16, v16
	v_fma_f32 v153, v16, -2.0, 1.0
.LBB25_250:                             ;   in Loop: Header=BB25_9 Depth=1
	s_wait_alu 0xfffe
	s_and_not1_saveexec_b32 s0, s0
	s_cbranch_execz .LBB25_252
; %bb.251:                              ;   in Loop: Header=BB25_9 Depth=1
	v_mul_f32_e32 v16, v9, v9
	s_delay_alu instid0(VALU_DEP_1) | instskip(NEXT) | instid1(VALU_DEP_1)
	v_fmaak_f32 v17, s39, v16, 0x3ca908c9
	v_fmaak_f32 v17, v16, v17, 0xbd5c1c4e
	s_delay_alu instid0(VALU_DEP_1) | instskip(NEXT) | instid1(VALU_DEP_1)
	v_fmaak_f32 v17, v16, v17, 0x3e088382
	v_fmaak_f32 v17, v16, v17, 0xbeaaaa99
	s_delay_alu instid0(VALU_DEP_1) | instskip(NEXT) | instid1(VALU_DEP_1)
	v_mul_f32_e64 v17, |v9|, v17
	v_fma_f32 v153, v16, v17, |v9|
.LBB25_252:                             ;   in Loop: Header=BB25_9 Depth=1
	s_wait_alu 0xfffe
	s_or_b32 exec_lo, exec_lo, s0
	v_cmp_ngt_f32_e64 s0, 0x3f200000, |v10|
                                        ; implicit-def: $vgpr154
	s_and_saveexec_b32 s1, s0
	s_wait_alu 0xfffe
	s_xor_b32 s0, exec_lo, s1
	s_cbranch_execz .LBB25_254
; %bb.253:                              ;   in Loop: Header=BB25_9 Depth=1
	v_add_f32_e64 v16, |v10|, |v10|
	s_delay_alu instid0(VALU_DEP_1) | instskip(SKIP_1) | instid1(VALU_DEP_2)
	v_mul_f32_e32 v17, 0x3fb8aa3b, v16
	v_cmp_ngt_f32_e32 vcc_lo, 0xc2ce8ed0, v16
	v_rndne_f32_e32 v18, v17
	v_fma_f32 v19, 0x3fb8aa3b, v16, -v17
	s_delay_alu instid0(VALU_DEP_2) | instskip(NEXT) | instid1(VALU_DEP_2)
	v_sub_f32_e32 v17, v17, v18
	v_fmac_f32_e32 v19, 0x32a5705f, v16
	v_cvt_i32_f32_e32 v18, v18
	s_delay_alu instid0(VALU_DEP_2) | instskip(NEXT) | instid1(VALU_DEP_1)
	v_add_f32_e32 v17, v17, v19
	v_exp_f32_e32 v17, v17
	s_delay_alu instid0(TRANS32_DEP_1) | instskip(SKIP_1) | instid1(VALU_DEP_1)
	v_ldexp_f32 v17, v17, v18
	s_wait_alu 0xfffd
	v_cndmask_b32_e32 v17, 0, v17, vcc_lo
	v_cmp_nlt_f32_e32 vcc_lo, 0x42b17218, v16
	s_wait_alu 0xfffd
	s_delay_alu instid0(VALU_DEP_2) | instskip(NEXT) | instid1(VALU_DEP_1)
	v_cndmask_b32_e32 v16, 0x7f800000, v17, vcc_lo
	v_add_f32_e32 v16, 1.0, v16
	s_delay_alu instid0(VALU_DEP_1) | instskip(NEXT) | instid1(TRANS32_DEP_1)
	v_rcp_f32_e32 v16, v16
	v_fma_f32 v154, v16, -2.0, 1.0
.LBB25_254:                             ;   in Loop: Header=BB25_9 Depth=1
	s_wait_alu 0xfffe
	s_and_not1_saveexec_b32 s0, s0
	s_cbranch_execz .LBB25_256
; %bb.255:                              ;   in Loop: Header=BB25_9 Depth=1
	v_mul_f32_e32 v16, v10, v10
	s_delay_alu instid0(VALU_DEP_1) | instskip(NEXT) | instid1(VALU_DEP_1)
	v_fmaak_f32 v17, s39, v16, 0x3ca908c9
	v_fmaak_f32 v17, v16, v17, 0xbd5c1c4e
	s_delay_alu instid0(VALU_DEP_1) | instskip(NEXT) | instid1(VALU_DEP_1)
	v_fmaak_f32 v17, v16, v17, 0x3e088382
	v_fmaak_f32 v17, v16, v17, 0xbeaaaa99
	s_delay_alu instid0(VALU_DEP_1) | instskip(NEXT) | instid1(VALU_DEP_1)
	v_mul_f32_e64 v17, |v10|, v17
	v_fma_f32 v154, v16, v17, |v10|
.LBB25_256:                             ;   in Loop: Header=BB25_9 Depth=1
	s_wait_alu 0xfffe
	s_or_b32 exec_lo, exec_lo, s0
	v_cmp_ngt_f32_e64 s0, 0x3f200000, |v11|
                                        ; implicit-def: $vgpr155
	s_and_saveexec_b32 s1, s0
	s_wait_alu 0xfffe
	s_xor_b32 s0, exec_lo, s1
	s_cbranch_execz .LBB25_258
; %bb.257:                              ;   in Loop: Header=BB25_9 Depth=1
	v_add_f32_e64 v16, |v11|, |v11|
	s_delay_alu instid0(VALU_DEP_1) | instskip(SKIP_1) | instid1(VALU_DEP_2)
	v_mul_f32_e32 v17, 0x3fb8aa3b, v16
	v_cmp_ngt_f32_e32 vcc_lo, 0xc2ce8ed0, v16
	v_rndne_f32_e32 v18, v17
	v_fma_f32 v19, 0x3fb8aa3b, v16, -v17
	s_delay_alu instid0(VALU_DEP_2) | instskip(NEXT) | instid1(VALU_DEP_2)
	v_sub_f32_e32 v17, v17, v18
	v_fmac_f32_e32 v19, 0x32a5705f, v16
	v_cvt_i32_f32_e32 v18, v18
	s_delay_alu instid0(VALU_DEP_2) | instskip(NEXT) | instid1(VALU_DEP_1)
	v_add_f32_e32 v17, v17, v19
	v_exp_f32_e32 v17, v17
	s_delay_alu instid0(TRANS32_DEP_1) | instskip(SKIP_1) | instid1(VALU_DEP_1)
	v_ldexp_f32 v17, v17, v18
	s_wait_alu 0xfffd
	v_cndmask_b32_e32 v17, 0, v17, vcc_lo
	v_cmp_nlt_f32_e32 vcc_lo, 0x42b17218, v16
	s_wait_alu 0xfffd
	s_delay_alu instid0(VALU_DEP_2) | instskip(NEXT) | instid1(VALU_DEP_1)
	v_cndmask_b32_e32 v16, 0x7f800000, v17, vcc_lo
	v_add_f32_e32 v16, 1.0, v16
	s_delay_alu instid0(VALU_DEP_1) | instskip(NEXT) | instid1(TRANS32_DEP_1)
	v_rcp_f32_e32 v16, v16
	v_fma_f32 v155, v16, -2.0, 1.0
.LBB25_258:                             ;   in Loop: Header=BB25_9 Depth=1
	s_wait_alu 0xfffe
	s_and_not1_saveexec_b32 s0, s0
	s_cbranch_execz .LBB25_260
; %bb.259:                              ;   in Loop: Header=BB25_9 Depth=1
	v_mul_f32_e32 v16, v11, v11
	s_delay_alu instid0(VALU_DEP_1) | instskip(NEXT) | instid1(VALU_DEP_1)
	v_fmaak_f32 v17, s39, v16, 0x3ca908c9
	v_fmaak_f32 v17, v16, v17, 0xbd5c1c4e
	s_delay_alu instid0(VALU_DEP_1) | instskip(NEXT) | instid1(VALU_DEP_1)
	v_fmaak_f32 v17, v16, v17, 0x3e088382
	v_fmaak_f32 v17, v16, v17, 0xbeaaaa99
	s_delay_alu instid0(VALU_DEP_1) | instskip(NEXT) | instid1(VALU_DEP_1)
	v_mul_f32_e64 v17, |v11|, v17
	v_fma_f32 v155, v16, v17, |v11|
.LBB25_260:                             ;   in Loop: Header=BB25_9 Depth=1
	s_wait_alu 0xfffe
	s_or_b32 exec_lo, exec_lo, s0
	v_cmp_ngt_f32_e64 s0, 0x3f200000, |v12|
                                        ; implicit-def: $vgpr156
	s_and_saveexec_b32 s1, s0
	s_wait_alu 0xfffe
	s_xor_b32 s0, exec_lo, s1
	s_cbranch_execz .LBB25_262
; %bb.261:                              ;   in Loop: Header=BB25_9 Depth=1
	v_add_f32_e64 v16, |v12|, |v12|
	s_delay_alu instid0(VALU_DEP_1) | instskip(SKIP_1) | instid1(VALU_DEP_2)
	v_mul_f32_e32 v17, 0x3fb8aa3b, v16
	v_cmp_ngt_f32_e32 vcc_lo, 0xc2ce8ed0, v16
	v_rndne_f32_e32 v18, v17
	v_fma_f32 v19, 0x3fb8aa3b, v16, -v17
	s_delay_alu instid0(VALU_DEP_2) | instskip(NEXT) | instid1(VALU_DEP_2)
	v_sub_f32_e32 v17, v17, v18
	v_fmac_f32_e32 v19, 0x32a5705f, v16
	v_cvt_i32_f32_e32 v18, v18
	s_delay_alu instid0(VALU_DEP_2) | instskip(NEXT) | instid1(VALU_DEP_1)
	v_add_f32_e32 v17, v17, v19
	v_exp_f32_e32 v17, v17
	s_delay_alu instid0(TRANS32_DEP_1) | instskip(SKIP_1) | instid1(VALU_DEP_1)
	v_ldexp_f32 v17, v17, v18
	s_wait_alu 0xfffd
	v_cndmask_b32_e32 v17, 0, v17, vcc_lo
	v_cmp_nlt_f32_e32 vcc_lo, 0x42b17218, v16
	s_wait_alu 0xfffd
	s_delay_alu instid0(VALU_DEP_2) | instskip(NEXT) | instid1(VALU_DEP_1)
	v_cndmask_b32_e32 v16, 0x7f800000, v17, vcc_lo
	v_add_f32_e32 v16, 1.0, v16
	s_delay_alu instid0(VALU_DEP_1) | instskip(NEXT) | instid1(TRANS32_DEP_1)
	v_rcp_f32_e32 v16, v16
	v_fma_f32 v156, v16, -2.0, 1.0
.LBB25_262:                             ;   in Loop: Header=BB25_9 Depth=1
	s_wait_alu 0xfffe
	s_and_not1_saveexec_b32 s0, s0
	s_cbranch_execz .LBB25_264
; %bb.263:                              ;   in Loop: Header=BB25_9 Depth=1
	v_mul_f32_e32 v16, v12, v12
	s_delay_alu instid0(VALU_DEP_1) | instskip(NEXT) | instid1(VALU_DEP_1)
	v_fmaak_f32 v17, s39, v16, 0x3ca908c9
	v_fmaak_f32 v17, v16, v17, 0xbd5c1c4e
	s_delay_alu instid0(VALU_DEP_1) | instskip(NEXT) | instid1(VALU_DEP_1)
	v_fmaak_f32 v17, v16, v17, 0x3e088382
	v_fmaak_f32 v17, v16, v17, 0xbeaaaa99
	s_delay_alu instid0(VALU_DEP_1) | instskip(NEXT) | instid1(VALU_DEP_1)
	v_mul_f32_e64 v17, |v12|, v17
	v_fma_f32 v156, v16, v17, |v12|
.LBB25_264:                             ;   in Loop: Header=BB25_9 Depth=1
	s_wait_alu 0xfffe
	s_or_b32 exec_lo, exec_lo, s0
	v_cmp_ngt_f32_e64 s0, 0x3f200000, |v13|
                                        ; implicit-def: $vgpr158
	s_and_saveexec_b32 s1, s0
	s_wait_alu 0xfffe
	s_xor_b32 s0, exec_lo, s1
	s_cbranch_execz .LBB25_266
; %bb.265:                              ;   in Loop: Header=BB25_9 Depth=1
	v_add_f32_e64 v16, |v13|, |v13|
	s_delay_alu instid0(VALU_DEP_1) | instskip(SKIP_1) | instid1(VALU_DEP_2)
	v_mul_f32_e32 v17, 0x3fb8aa3b, v16
	v_cmp_ngt_f32_e32 vcc_lo, 0xc2ce8ed0, v16
	v_rndne_f32_e32 v18, v17
	v_fma_f32 v19, 0x3fb8aa3b, v16, -v17
	s_delay_alu instid0(VALU_DEP_2) | instskip(NEXT) | instid1(VALU_DEP_2)
	v_sub_f32_e32 v17, v17, v18
	v_fmac_f32_e32 v19, 0x32a5705f, v16
	v_cvt_i32_f32_e32 v18, v18
	s_delay_alu instid0(VALU_DEP_2) | instskip(NEXT) | instid1(VALU_DEP_1)
	v_add_f32_e32 v17, v17, v19
	v_exp_f32_e32 v17, v17
	s_delay_alu instid0(TRANS32_DEP_1) | instskip(SKIP_1) | instid1(VALU_DEP_1)
	v_ldexp_f32 v17, v17, v18
	s_wait_alu 0xfffd
	v_cndmask_b32_e32 v17, 0, v17, vcc_lo
	v_cmp_nlt_f32_e32 vcc_lo, 0x42b17218, v16
	s_wait_alu 0xfffd
	s_delay_alu instid0(VALU_DEP_2) | instskip(NEXT) | instid1(VALU_DEP_1)
	v_cndmask_b32_e32 v16, 0x7f800000, v17, vcc_lo
	v_add_f32_e32 v16, 1.0, v16
	s_delay_alu instid0(VALU_DEP_1) | instskip(NEXT) | instid1(TRANS32_DEP_1)
	v_rcp_f32_e32 v16, v16
	v_fma_f32 v158, v16, -2.0, 1.0
.LBB25_266:                             ;   in Loop: Header=BB25_9 Depth=1
	s_wait_alu 0xfffe
	s_and_not1_saveexec_b32 s0, s0
	s_cbranch_execz .LBB25_268
; %bb.267:                              ;   in Loop: Header=BB25_9 Depth=1
	v_mul_f32_e32 v16, v13, v13
	s_delay_alu instid0(VALU_DEP_1) | instskip(NEXT) | instid1(VALU_DEP_1)
	v_fmaak_f32 v17, s39, v16, 0x3ca908c9
	v_fmaak_f32 v17, v16, v17, 0xbd5c1c4e
	s_delay_alu instid0(VALU_DEP_1) | instskip(NEXT) | instid1(VALU_DEP_1)
	v_fmaak_f32 v17, v16, v17, 0x3e088382
	v_fmaak_f32 v17, v16, v17, 0xbeaaaa99
	s_delay_alu instid0(VALU_DEP_1) | instskip(NEXT) | instid1(VALU_DEP_1)
	v_mul_f32_e64 v17, |v13|, v17
	v_fma_f32 v158, v16, v17, |v13|
.LBB25_268:                             ;   in Loop: Header=BB25_9 Depth=1
	s_wait_alu 0xfffe
	s_or_b32 exec_lo, exec_lo, s0
	v_cmp_ngt_f32_e64 s0, 0x3f200000, |v14|
                                        ; implicit-def: $vgpr157
	s_and_saveexec_b32 s1, s0
	s_wait_alu 0xfffe
	s_xor_b32 s0, exec_lo, s1
	s_cbranch_execz .LBB25_270
; %bb.269:                              ;   in Loop: Header=BB25_9 Depth=1
	v_add_f32_e64 v16, |v14|, |v14|
	s_delay_alu instid0(VALU_DEP_1) | instskip(SKIP_1) | instid1(VALU_DEP_2)
	v_mul_f32_e32 v17, 0x3fb8aa3b, v16
	v_cmp_ngt_f32_e32 vcc_lo, 0xc2ce8ed0, v16
	v_rndne_f32_e32 v18, v17
	v_fma_f32 v19, 0x3fb8aa3b, v16, -v17
	s_delay_alu instid0(VALU_DEP_2) | instskip(NEXT) | instid1(VALU_DEP_2)
	v_sub_f32_e32 v17, v17, v18
	v_fmac_f32_e32 v19, 0x32a5705f, v16
	v_cvt_i32_f32_e32 v18, v18
	s_delay_alu instid0(VALU_DEP_2) | instskip(NEXT) | instid1(VALU_DEP_1)
	v_add_f32_e32 v17, v17, v19
	v_exp_f32_e32 v17, v17
	s_delay_alu instid0(TRANS32_DEP_1) | instskip(SKIP_1) | instid1(VALU_DEP_1)
	v_ldexp_f32 v17, v17, v18
	s_wait_alu 0xfffd
	v_cndmask_b32_e32 v17, 0, v17, vcc_lo
	v_cmp_nlt_f32_e32 vcc_lo, 0x42b17218, v16
	s_wait_alu 0xfffd
	s_delay_alu instid0(VALU_DEP_2) | instskip(NEXT) | instid1(VALU_DEP_1)
	v_cndmask_b32_e32 v16, 0x7f800000, v17, vcc_lo
	v_add_f32_e32 v16, 1.0, v16
	s_delay_alu instid0(VALU_DEP_1) | instskip(NEXT) | instid1(TRANS32_DEP_1)
	v_rcp_f32_e32 v16, v16
	v_fma_f32 v157, v16, -2.0, 1.0
.LBB25_270:                             ;   in Loop: Header=BB25_9 Depth=1
	s_wait_alu 0xfffe
	s_and_not1_saveexec_b32 s0, s0
	s_cbranch_execz .LBB25_272
; %bb.271:                              ;   in Loop: Header=BB25_9 Depth=1
	v_mul_f32_e32 v16, v14, v14
	s_delay_alu instid0(VALU_DEP_1) | instskip(NEXT) | instid1(VALU_DEP_1)
	v_fmaak_f32 v17, s39, v16, 0x3ca908c9
	v_fmaak_f32 v17, v16, v17, 0xbd5c1c4e
	s_delay_alu instid0(VALU_DEP_1) | instskip(NEXT) | instid1(VALU_DEP_1)
	v_fmaak_f32 v17, v16, v17, 0x3e088382
	v_fmaak_f32 v17, v16, v17, 0xbeaaaa99
	s_delay_alu instid0(VALU_DEP_1) | instskip(NEXT) | instid1(VALU_DEP_1)
	v_mul_f32_e64 v17, |v14|, v17
	v_fma_f32 v157, v16, v17, |v14|
.LBB25_272:                             ;   in Loop: Header=BB25_9 Depth=1
	s_wait_alu 0xfffe
	s_or_b32 exec_lo, exec_lo, s0
	v_cmp_ngt_f32_e64 s0, 0x3f200000, |v15|
                                        ; implicit-def: $vgpr159
	s_and_saveexec_b32 s1, s0
	s_wait_alu 0xfffe
	s_xor_b32 s0, exec_lo, s1
	s_cbranch_execz .LBB25_274
; %bb.273:                              ;   in Loop: Header=BB25_9 Depth=1
	v_add_f32_e64 v16, |v15|, |v15|
	s_delay_alu instid0(VALU_DEP_1) | instskip(SKIP_1) | instid1(VALU_DEP_2)
	v_mul_f32_e32 v17, 0x3fb8aa3b, v16
	v_cmp_ngt_f32_e32 vcc_lo, 0xc2ce8ed0, v16
	v_rndne_f32_e32 v18, v17
	v_fma_f32 v19, 0x3fb8aa3b, v16, -v17
	s_delay_alu instid0(VALU_DEP_2) | instskip(NEXT) | instid1(VALU_DEP_2)
	v_sub_f32_e32 v17, v17, v18
	v_fmac_f32_e32 v19, 0x32a5705f, v16
	v_cvt_i32_f32_e32 v18, v18
	s_delay_alu instid0(VALU_DEP_2) | instskip(NEXT) | instid1(VALU_DEP_1)
	v_add_f32_e32 v17, v17, v19
	v_exp_f32_e32 v17, v17
	s_delay_alu instid0(TRANS32_DEP_1) | instskip(SKIP_1) | instid1(VALU_DEP_1)
	v_ldexp_f32 v17, v17, v18
	s_wait_alu 0xfffd
	v_cndmask_b32_e32 v17, 0, v17, vcc_lo
	v_cmp_nlt_f32_e32 vcc_lo, 0x42b17218, v16
	s_wait_alu 0xfffd
	s_delay_alu instid0(VALU_DEP_2) | instskip(NEXT) | instid1(VALU_DEP_1)
	v_cndmask_b32_e32 v16, 0x7f800000, v17, vcc_lo
	v_add_f32_e32 v16, 1.0, v16
	s_delay_alu instid0(VALU_DEP_1) | instskip(NEXT) | instid1(TRANS32_DEP_1)
	v_rcp_f32_e32 v16, v16
	v_fma_f32 v159, v16, -2.0, 1.0
.LBB25_274:                             ;   in Loop: Header=BB25_9 Depth=1
	s_wait_alu 0xfffe
	s_and_not1_saveexec_b32 s0, s0
	s_cbranch_execz .LBB25_276
; %bb.275:                              ;   in Loop: Header=BB25_9 Depth=1
	v_mul_f32_e32 v16, v15, v15
	s_delay_alu instid0(VALU_DEP_1) | instskip(NEXT) | instid1(VALU_DEP_1)
	v_fmaak_f32 v17, s39, v16, 0x3ca908c9
	v_fmaak_f32 v17, v16, v17, 0xbd5c1c4e
	s_delay_alu instid0(VALU_DEP_1) | instskip(NEXT) | instid1(VALU_DEP_1)
	v_fmaak_f32 v17, v16, v17, 0x3e088382
	v_fmaak_f32 v17, v16, v17, 0xbeaaaa99
	s_delay_alu instid0(VALU_DEP_1) | instskip(NEXT) | instid1(VALU_DEP_1)
	v_mul_f32_e64 v17, |v15|, v17
	v_fma_f32 v159, v16, v17, |v15|
.LBB25_276:                             ;   in Loop: Header=BB25_9 Depth=1
	s_wait_alu 0xfffe
	s_or_b32 exec_lo, exec_lo, s0
	v_wmma_f32_16x16x16_f16 v[16:23], v[148:151], v[92:95], 0
	s_delay_alu instid0(VALU_DEP_1) | instskip(NEXT) | instid1(VALU_DEP_1)
	v_wmma_f32_16x16x16_f16 v[16:23], v[144:147], v[88:91], v[16:23]
	v_wmma_f32_16x16x16_f16 v[16:23], v[140:143], v[84:87], v[16:23]
	s_delay_alu instid0(VALU_DEP_1) | instskip(NEXT) | instid1(VALU_DEP_1)
	v_wmma_f32_16x16x16_f16 v[16:23], v[136:139], v[80:83], v[16:23]
	;; [unrolled: 3-line block ×3, first 2 shown]
                                        ; implicit-def: $vgpr128
	v_wmma_f32_16x16x16_f16 v[16:23], v[28:31], v[68:71], v[16:23]
	s_delay_alu instid0(VALU_DEP_1) | instskip(NEXT) | instid1(VALU_DEP_1)
	v_wmma_f32_16x16x16_f16 v[16:23], v[24:27], v[64:67], v[16:23]
	v_cmp_ngt_f32_e64 s0, 0x3f200000, |v16|
	s_and_saveexec_b32 s1, s0
	s_wait_alu 0xfffe
	s_xor_b32 s0, exec_lo, s1
	s_cbranch_execz .LBB25_278
; %bb.277:                              ;   in Loop: Header=BB25_9 Depth=1
	v_add_f32_e64 v24, |v16|, |v16|
	s_delay_alu instid0(VALU_DEP_1) | instskip(SKIP_1) | instid1(VALU_DEP_2)
	v_mul_f32_e32 v25, 0x3fb8aa3b, v24
	v_cmp_ngt_f32_e32 vcc_lo, 0xc2ce8ed0, v24
	v_rndne_f32_e32 v26, v25
	v_fma_f32 v27, 0x3fb8aa3b, v24, -v25
	s_delay_alu instid0(VALU_DEP_2) | instskip(NEXT) | instid1(VALU_DEP_2)
	v_sub_f32_e32 v25, v25, v26
	v_fmac_f32_e32 v27, 0x32a5705f, v24
	v_cvt_i32_f32_e32 v26, v26
	s_delay_alu instid0(VALU_DEP_2) | instskip(NEXT) | instid1(VALU_DEP_1)
	v_add_f32_e32 v25, v25, v27
	v_exp_f32_e32 v25, v25
	s_delay_alu instid0(TRANS32_DEP_1) | instskip(SKIP_1) | instid1(VALU_DEP_1)
	v_ldexp_f32 v25, v25, v26
	s_wait_alu 0xfffd
	v_cndmask_b32_e32 v25, 0, v25, vcc_lo
	v_cmp_nlt_f32_e32 vcc_lo, 0x42b17218, v24
	s_wait_alu 0xfffd
	s_delay_alu instid0(VALU_DEP_2) | instskip(NEXT) | instid1(VALU_DEP_1)
	v_cndmask_b32_e32 v24, 0x7f800000, v25, vcc_lo
	v_add_f32_e32 v24, 1.0, v24
	s_delay_alu instid0(VALU_DEP_1) | instskip(NEXT) | instid1(TRANS32_DEP_1)
	v_rcp_f32_e32 v24, v24
	v_fma_f32 v128, v24, -2.0, 1.0
.LBB25_278:                             ;   in Loop: Header=BB25_9 Depth=1
	s_wait_alu 0xfffe
	s_and_not1_saveexec_b32 s0, s0
	s_cbranch_execz .LBB25_280
; %bb.279:                              ;   in Loop: Header=BB25_9 Depth=1
	v_mul_f32_e32 v24, v16, v16
	s_delay_alu instid0(VALU_DEP_1) | instskip(NEXT) | instid1(VALU_DEP_1)
	v_fmaak_f32 v25, s39, v24, 0x3ca908c9
	v_fmaak_f32 v25, v24, v25, 0xbd5c1c4e
	s_delay_alu instid0(VALU_DEP_1) | instskip(NEXT) | instid1(VALU_DEP_1)
	v_fmaak_f32 v25, v24, v25, 0x3e088382
	v_fmaak_f32 v25, v24, v25, 0xbeaaaa99
	s_delay_alu instid0(VALU_DEP_1) | instskip(NEXT) | instid1(VALU_DEP_1)
	v_mul_f32_e64 v25, |v16|, v25
	v_fma_f32 v128, v24, v25, |v16|
.LBB25_280:                             ;   in Loop: Header=BB25_9 Depth=1
	s_wait_alu 0xfffe
	s_or_b32 exec_lo, exec_lo, s0
	v_cmp_ngt_f32_e64 s0, 0x3f200000, |v17|
                                        ; implicit-def: $vgpr129
	s_and_saveexec_b32 s1, s0
	s_wait_alu 0xfffe
	s_xor_b32 s0, exec_lo, s1
	s_cbranch_execz .LBB25_282
; %bb.281:                              ;   in Loop: Header=BB25_9 Depth=1
	v_add_f32_e64 v24, |v17|, |v17|
	s_delay_alu instid0(VALU_DEP_1) | instskip(SKIP_1) | instid1(VALU_DEP_2)
	v_mul_f32_e32 v25, 0x3fb8aa3b, v24
	v_cmp_ngt_f32_e32 vcc_lo, 0xc2ce8ed0, v24
	v_rndne_f32_e32 v26, v25
	v_fma_f32 v27, 0x3fb8aa3b, v24, -v25
	s_delay_alu instid0(VALU_DEP_2) | instskip(NEXT) | instid1(VALU_DEP_2)
	v_sub_f32_e32 v25, v25, v26
	v_fmac_f32_e32 v27, 0x32a5705f, v24
	v_cvt_i32_f32_e32 v26, v26
	s_delay_alu instid0(VALU_DEP_2) | instskip(NEXT) | instid1(VALU_DEP_1)
	v_add_f32_e32 v25, v25, v27
	v_exp_f32_e32 v25, v25
	s_delay_alu instid0(TRANS32_DEP_1) | instskip(SKIP_1) | instid1(VALU_DEP_1)
	v_ldexp_f32 v25, v25, v26
	s_wait_alu 0xfffd
	v_cndmask_b32_e32 v25, 0, v25, vcc_lo
	v_cmp_nlt_f32_e32 vcc_lo, 0x42b17218, v24
	s_wait_alu 0xfffd
	s_delay_alu instid0(VALU_DEP_2) | instskip(NEXT) | instid1(VALU_DEP_1)
	v_cndmask_b32_e32 v24, 0x7f800000, v25, vcc_lo
	v_add_f32_e32 v24, 1.0, v24
	s_delay_alu instid0(VALU_DEP_1) | instskip(NEXT) | instid1(TRANS32_DEP_1)
	v_rcp_f32_e32 v24, v24
	v_fma_f32 v129, v24, -2.0, 1.0
.LBB25_282:                             ;   in Loop: Header=BB25_9 Depth=1
	s_wait_alu 0xfffe
	s_and_not1_saveexec_b32 s0, s0
	s_cbranch_execz .LBB25_284
; %bb.283:                              ;   in Loop: Header=BB25_9 Depth=1
	v_mul_f32_e32 v24, v17, v17
	s_delay_alu instid0(VALU_DEP_1) | instskip(NEXT) | instid1(VALU_DEP_1)
	v_fmaak_f32 v25, s39, v24, 0x3ca908c9
	v_fmaak_f32 v25, v24, v25, 0xbd5c1c4e
	s_delay_alu instid0(VALU_DEP_1) | instskip(NEXT) | instid1(VALU_DEP_1)
	v_fmaak_f32 v25, v24, v25, 0x3e088382
	v_fmaak_f32 v25, v24, v25, 0xbeaaaa99
	s_delay_alu instid0(VALU_DEP_1) | instskip(NEXT) | instid1(VALU_DEP_1)
	v_mul_f32_e64 v25, |v17|, v25
	v_fma_f32 v129, v24, v25, |v17|
.LBB25_284:                             ;   in Loop: Header=BB25_9 Depth=1
	s_wait_alu 0xfffe
	s_or_b32 exec_lo, exec_lo, s0
	v_cmp_ngt_f32_e64 s0, 0x3f200000, |v18|
                                        ; implicit-def: $vgpr130
	s_and_saveexec_b32 s1, s0
	s_wait_alu 0xfffe
	s_xor_b32 s0, exec_lo, s1
	s_cbranch_execz .LBB25_286
; %bb.285:                              ;   in Loop: Header=BB25_9 Depth=1
	v_add_f32_e64 v24, |v18|, |v18|
	s_delay_alu instid0(VALU_DEP_1) | instskip(SKIP_1) | instid1(VALU_DEP_2)
	v_mul_f32_e32 v25, 0x3fb8aa3b, v24
	v_cmp_ngt_f32_e32 vcc_lo, 0xc2ce8ed0, v24
	v_rndne_f32_e32 v26, v25
	v_fma_f32 v27, 0x3fb8aa3b, v24, -v25
	s_delay_alu instid0(VALU_DEP_2) | instskip(NEXT) | instid1(VALU_DEP_2)
	v_sub_f32_e32 v25, v25, v26
	v_fmac_f32_e32 v27, 0x32a5705f, v24
	v_cvt_i32_f32_e32 v26, v26
	s_delay_alu instid0(VALU_DEP_2) | instskip(NEXT) | instid1(VALU_DEP_1)
	v_add_f32_e32 v25, v25, v27
	v_exp_f32_e32 v25, v25
	s_delay_alu instid0(TRANS32_DEP_1) | instskip(SKIP_1) | instid1(VALU_DEP_1)
	v_ldexp_f32 v25, v25, v26
	s_wait_alu 0xfffd
	v_cndmask_b32_e32 v25, 0, v25, vcc_lo
	v_cmp_nlt_f32_e32 vcc_lo, 0x42b17218, v24
	s_wait_alu 0xfffd
	s_delay_alu instid0(VALU_DEP_2) | instskip(NEXT) | instid1(VALU_DEP_1)
	v_cndmask_b32_e32 v24, 0x7f800000, v25, vcc_lo
	v_add_f32_e32 v24, 1.0, v24
	s_delay_alu instid0(VALU_DEP_1) | instskip(NEXT) | instid1(TRANS32_DEP_1)
	v_rcp_f32_e32 v24, v24
	v_fma_f32 v130, v24, -2.0, 1.0
.LBB25_286:                             ;   in Loop: Header=BB25_9 Depth=1
	s_wait_alu 0xfffe
	s_and_not1_saveexec_b32 s0, s0
	s_cbranch_execz .LBB25_288
; %bb.287:                              ;   in Loop: Header=BB25_9 Depth=1
	v_mul_f32_e32 v24, v18, v18
	s_delay_alu instid0(VALU_DEP_1) | instskip(NEXT) | instid1(VALU_DEP_1)
	v_fmaak_f32 v25, s39, v24, 0x3ca908c9
	v_fmaak_f32 v25, v24, v25, 0xbd5c1c4e
	s_delay_alu instid0(VALU_DEP_1) | instskip(NEXT) | instid1(VALU_DEP_1)
	v_fmaak_f32 v25, v24, v25, 0x3e088382
	v_fmaak_f32 v25, v24, v25, 0xbeaaaa99
	s_delay_alu instid0(VALU_DEP_1) | instskip(NEXT) | instid1(VALU_DEP_1)
	v_mul_f32_e64 v25, |v18|, v25
	v_fma_f32 v130, v24, v25, |v18|
.LBB25_288:                             ;   in Loop: Header=BB25_9 Depth=1
	s_wait_alu 0xfffe
	s_or_b32 exec_lo, exec_lo, s0
	v_cmp_ngt_f32_e64 s0, 0x3f200000, |v19|
                                        ; implicit-def: $vgpr131
	s_and_saveexec_b32 s1, s0
	s_wait_alu 0xfffe
	s_xor_b32 s0, exec_lo, s1
	s_cbranch_execz .LBB25_290
; %bb.289:                              ;   in Loop: Header=BB25_9 Depth=1
	v_add_f32_e64 v24, |v19|, |v19|
	s_delay_alu instid0(VALU_DEP_1) | instskip(SKIP_1) | instid1(VALU_DEP_2)
	v_mul_f32_e32 v25, 0x3fb8aa3b, v24
	v_cmp_ngt_f32_e32 vcc_lo, 0xc2ce8ed0, v24
	v_rndne_f32_e32 v26, v25
	v_fma_f32 v27, 0x3fb8aa3b, v24, -v25
	s_delay_alu instid0(VALU_DEP_2) | instskip(NEXT) | instid1(VALU_DEP_2)
	v_sub_f32_e32 v25, v25, v26
	v_fmac_f32_e32 v27, 0x32a5705f, v24
	v_cvt_i32_f32_e32 v26, v26
	s_delay_alu instid0(VALU_DEP_2) | instskip(NEXT) | instid1(VALU_DEP_1)
	v_add_f32_e32 v25, v25, v27
	v_exp_f32_e32 v25, v25
	s_delay_alu instid0(TRANS32_DEP_1) | instskip(SKIP_1) | instid1(VALU_DEP_1)
	v_ldexp_f32 v25, v25, v26
	s_wait_alu 0xfffd
	v_cndmask_b32_e32 v25, 0, v25, vcc_lo
	v_cmp_nlt_f32_e32 vcc_lo, 0x42b17218, v24
	s_wait_alu 0xfffd
	s_delay_alu instid0(VALU_DEP_2) | instskip(NEXT) | instid1(VALU_DEP_1)
	v_cndmask_b32_e32 v24, 0x7f800000, v25, vcc_lo
	v_add_f32_e32 v24, 1.0, v24
	s_delay_alu instid0(VALU_DEP_1) | instskip(NEXT) | instid1(TRANS32_DEP_1)
	v_rcp_f32_e32 v24, v24
	v_fma_f32 v131, v24, -2.0, 1.0
.LBB25_290:                             ;   in Loop: Header=BB25_9 Depth=1
	s_wait_alu 0xfffe
	s_and_not1_saveexec_b32 s0, s0
	s_cbranch_execz .LBB25_292
; %bb.291:                              ;   in Loop: Header=BB25_9 Depth=1
	v_mul_f32_e32 v24, v19, v19
	s_delay_alu instid0(VALU_DEP_1) | instskip(NEXT) | instid1(VALU_DEP_1)
	v_fmaak_f32 v25, s39, v24, 0x3ca908c9
	v_fmaak_f32 v25, v24, v25, 0xbd5c1c4e
	s_delay_alu instid0(VALU_DEP_1) | instskip(NEXT) | instid1(VALU_DEP_1)
	v_fmaak_f32 v25, v24, v25, 0x3e088382
	v_fmaak_f32 v25, v24, v25, 0xbeaaaa99
	s_delay_alu instid0(VALU_DEP_1) | instskip(NEXT) | instid1(VALU_DEP_1)
	v_mul_f32_e64 v25, |v19|, v25
	v_fma_f32 v131, v24, v25, |v19|
.LBB25_292:                             ;   in Loop: Header=BB25_9 Depth=1
	s_wait_alu 0xfffe
	s_or_b32 exec_lo, exec_lo, s0
	v_cmp_ngt_f32_e64 s0, 0x3f200000, |v20|
                                        ; implicit-def: $vgpr132
	s_and_saveexec_b32 s1, s0
	s_wait_alu 0xfffe
	s_xor_b32 s0, exec_lo, s1
	s_cbranch_execz .LBB25_294
; %bb.293:                              ;   in Loop: Header=BB25_9 Depth=1
	v_add_f32_e64 v24, |v20|, |v20|
	s_delay_alu instid0(VALU_DEP_1) | instskip(SKIP_1) | instid1(VALU_DEP_2)
	v_mul_f32_e32 v25, 0x3fb8aa3b, v24
	v_cmp_ngt_f32_e32 vcc_lo, 0xc2ce8ed0, v24
	v_rndne_f32_e32 v26, v25
	v_fma_f32 v27, 0x3fb8aa3b, v24, -v25
	s_delay_alu instid0(VALU_DEP_2) | instskip(NEXT) | instid1(VALU_DEP_2)
	v_sub_f32_e32 v25, v25, v26
	v_fmac_f32_e32 v27, 0x32a5705f, v24
	v_cvt_i32_f32_e32 v26, v26
	s_delay_alu instid0(VALU_DEP_2) | instskip(NEXT) | instid1(VALU_DEP_1)
	v_add_f32_e32 v25, v25, v27
	v_exp_f32_e32 v25, v25
	s_delay_alu instid0(TRANS32_DEP_1) | instskip(SKIP_1) | instid1(VALU_DEP_1)
	v_ldexp_f32 v25, v25, v26
	s_wait_alu 0xfffd
	v_cndmask_b32_e32 v25, 0, v25, vcc_lo
	v_cmp_nlt_f32_e32 vcc_lo, 0x42b17218, v24
	s_wait_alu 0xfffd
	s_delay_alu instid0(VALU_DEP_2) | instskip(NEXT) | instid1(VALU_DEP_1)
	v_cndmask_b32_e32 v24, 0x7f800000, v25, vcc_lo
	v_add_f32_e32 v24, 1.0, v24
	s_delay_alu instid0(VALU_DEP_1) | instskip(NEXT) | instid1(TRANS32_DEP_1)
	v_rcp_f32_e32 v24, v24
	v_fma_f32 v132, v24, -2.0, 1.0
.LBB25_294:                             ;   in Loop: Header=BB25_9 Depth=1
	s_wait_alu 0xfffe
	s_and_not1_saveexec_b32 s0, s0
	s_cbranch_execz .LBB25_296
; %bb.295:                              ;   in Loop: Header=BB25_9 Depth=1
	v_mul_f32_e32 v24, v20, v20
	s_delay_alu instid0(VALU_DEP_1) | instskip(NEXT) | instid1(VALU_DEP_1)
	v_fmaak_f32 v25, s39, v24, 0x3ca908c9
	v_fmaak_f32 v25, v24, v25, 0xbd5c1c4e
	s_delay_alu instid0(VALU_DEP_1) | instskip(NEXT) | instid1(VALU_DEP_1)
	v_fmaak_f32 v25, v24, v25, 0x3e088382
	v_fmaak_f32 v25, v24, v25, 0xbeaaaa99
	s_delay_alu instid0(VALU_DEP_1) | instskip(NEXT) | instid1(VALU_DEP_1)
	v_mul_f32_e64 v25, |v20|, v25
	v_fma_f32 v132, v24, v25, |v20|
.LBB25_296:                             ;   in Loop: Header=BB25_9 Depth=1
	s_wait_alu 0xfffe
	s_or_b32 exec_lo, exec_lo, s0
	v_cmp_ngt_f32_e64 s0, 0x3f200000, |v21|
                                        ; implicit-def: $vgpr133
	s_and_saveexec_b32 s1, s0
	s_wait_alu 0xfffe
	s_xor_b32 s0, exec_lo, s1
	s_cbranch_execz .LBB25_298
; %bb.297:                              ;   in Loop: Header=BB25_9 Depth=1
	v_add_f32_e64 v24, |v21|, |v21|
	s_delay_alu instid0(VALU_DEP_1) | instskip(SKIP_1) | instid1(VALU_DEP_2)
	v_mul_f32_e32 v25, 0x3fb8aa3b, v24
	v_cmp_ngt_f32_e32 vcc_lo, 0xc2ce8ed0, v24
	v_rndne_f32_e32 v26, v25
	v_fma_f32 v27, 0x3fb8aa3b, v24, -v25
	s_delay_alu instid0(VALU_DEP_2) | instskip(NEXT) | instid1(VALU_DEP_2)
	v_sub_f32_e32 v25, v25, v26
	v_fmac_f32_e32 v27, 0x32a5705f, v24
	v_cvt_i32_f32_e32 v26, v26
	s_delay_alu instid0(VALU_DEP_2) | instskip(NEXT) | instid1(VALU_DEP_1)
	v_add_f32_e32 v25, v25, v27
	v_exp_f32_e32 v25, v25
	s_delay_alu instid0(TRANS32_DEP_1) | instskip(SKIP_1) | instid1(VALU_DEP_1)
	v_ldexp_f32 v25, v25, v26
	s_wait_alu 0xfffd
	v_cndmask_b32_e32 v25, 0, v25, vcc_lo
	v_cmp_nlt_f32_e32 vcc_lo, 0x42b17218, v24
	s_wait_alu 0xfffd
	s_delay_alu instid0(VALU_DEP_2) | instskip(NEXT) | instid1(VALU_DEP_1)
	v_cndmask_b32_e32 v24, 0x7f800000, v25, vcc_lo
	v_add_f32_e32 v24, 1.0, v24
	s_delay_alu instid0(VALU_DEP_1) | instskip(NEXT) | instid1(TRANS32_DEP_1)
	v_rcp_f32_e32 v24, v24
	v_fma_f32 v133, v24, -2.0, 1.0
.LBB25_298:                             ;   in Loop: Header=BB25_9 Depth=1
	s_wait_alu 0xfffe
	s_and_not1_saveexec_b32 s0, s0
	s_cbranch_execz .LBB25_300
; %bb.299:                              ;   in Loop: Header=BB25_9 Depth=1
	v_mul_f32_e32 v24, v21, v21
	s_delay_alu instid0(VALU_DEP_1) | instskip(NEXT) | instid1(VALU_DEP_1)
	v_fmaak_f32 v25, s39, v24, 0x3ca908c9
	v_fmaak_f32 v25, v24, v25, 0xbd5c1c4e
	s_delay_alu instid0(VALU_DEP_1) | instskip(NEXT) | instid1(VALU_DEP_1)
	v_fmaak_f32 v25, v24, v25, 0x3e088382
	v_fmaak_f32 v25, v24, v25, 0xbeaaaa99
	s_delay_alu instid0(VALU_DEP_1) | instskip(NEXT) | instid1(VALU_DEP_1)
	v_mul_f32_e64 v25, |v21|, v25
	v_fma_f32 v133, v24, v25, |v21|
.LBB25_300:                             ;   in Loop: Header=BB25_9 Depth=1
	s_wait_alu 0xfffe
	s_or_b32 exec_lo, exec_lo, s0
	v_cmp_ngt_f32_e64 s0, 0x3f200000, |v22|
                                        ; implicit-def: $vgpr134
	s_and_saveexec_b32 s1, s0
	s_wait_alu 0xfffe
	s_xor_b32 s0, exec_lo, s1
	s_cbranch_execz .LBB25_302
; %bb.301:                              ;   in Loop: Header=BB25_9 Depth=1
	v_add_f32_e64 v24, |v22|, |v22|
	s_delay_alu instid0(VALU_DEP_1) | instskip(SKIP_1) | instid1(VALU_DEP_2)
	v_mul_f32_e32 v25, 0x3fb8aa3b, v24
	v_cmp_ngt_f32_e32 vcc_lo, 0xc2ce8ed0, v24
	v_rndne_f32_e32 v26, v25
	v_fma_f32 v27, 0x3fb8aa3b, v24, -v25
	s_delay_alu instid0(VALU_DEP_2) | instskip(NEXT) | instid1(VALU_DEP_2)
	v_sub_f32_e32 v25, v25, v26
	v_fmac_f32_e32 v27, 0x32a5705f, v24
	v_cvt_i32_f32_e32 v26, v26
	s_delay_alu instid0(VALU_DEP_2) | instskip(NEXT) | instid1(VALU_DEP_1)
	v_add_f32_e32 v25, v25, v27
	v_exp_f32_e32 v25, v25
	s_delay_alu instid0(TRANS32_DEP_1) | instskip(SKIP_1) | instid1(VALU_DEP_1)
	v_ldexp_f32 v25, v25, v26
	s_wait_alu 0xfffd
	v_cndmask_b32_e32 v25, 0, v25, vcc_lo
	v_cmp_nlt_f32_e32 vcc_lo, 0x42b17218, v24
	s_wait_alu 0xfffd
	s_delay_alu instid0(VALU_DEP_2) | instskip(NEXT) | instid1(VALU_DEP_1)
	v_cndmask_b32_e32 v24, 0x7f800000, v25, vcc_lo
	v_add_f32_e32 v24, 1.0, v24
	s_delay_alu instid0(VALU_DEP_1) | instskip(NEXT) | instid1(TRANS32_DEP_1)
	v_rcp_f32_e32 v24, v24
	v_fma_f32 v134, v24, -2.0, 1.0
.LBB25_302:                             ;   in Loop: Header=BB25_9 Depth=1
	s_wait_alu 0xfffe
	s_and_not1_saveexec_b32 s0, s0
	s_cbranch_execz .LBB25_304
; %bb.303:                              ;   in Loop: Header=BB25_9 Depth=1
	v_mul_f32_e32 v24, v22, v22
	s_delay_alu instid0(VALU_DEP_1) | instskip(NEXT) | instid1(VALU_DEP_1)
	v_fmaak_f32 v25, s39, v24, 0x3ca908c9
	v_fmaak_f32 v25, v24, v25, 0xbd5c1c4e
	s_delay_alu instid0(VALU_DEP_1) | instskip(NEXT) | instid1(VALU_DEP_1)
	v_fmaak_f32 v25, v24, v25, 0x3e088382
	v_fmaak_f32 v25, v24, v25, 0xbeaaaa99
	s_delay_alu instid0(VALU_DEP_1) | instskip(NEXT) | instid1(VALU_DEP_1)
	v_mul_f32_e64 v25, |v22|, v25
	v_fma_f32 v134, v24, v25, |v22|
.LBB25_304:                             ;   in Loop: Header=BB25_9 Depth=1
	s_wait_alu 0xfffe
	s_or_b32 exec_lo, exec_lo, s0
	v_cmp_ngt_f32_e64 s0, 0x3f200000, |v23|
                                        ; implicit-def: $vgpr135
	s_and_saveexec_b32 s1, s0
	s_wait_alu 0xfffe
	s_xor_b32 s0, exec_lo, s1
	s_cbranch_execz .LBB25_306
; %bb.305:                              ;   in Loop: Header=BB25_9 Depth=1
	v_add_f32_e64 v24, |v23|, |v23|
	s_delay_alu instid0(VALU_DEP_1) | instskip(SKIP_1) | instid1(VALU_DEP_2)
	v_mul_f32_e32 v25, 0x3fb8aa3b, v24
	v_cmp_ngt_f32_e32 vcc_lo, 0xc2ce8ed0, v24
	v_rndne_f32_e32 v26, v25
	v_fma_f32 v27, 0x3fb8aa3b, v24, -v25
	s_delay_alu instid0(VALU_DEP_2) | instskip(NEXT) | instid1(VALU_DEP_2)
	v_sub_f32_e32 v25, v25, v26
	v_fmac_f32_e32 v27, 0x32a5705f, v24
	v_cvt_i32_f32_e32 v26, v26
	s_delay_alu instid0(VALU_DEP_2) | instskip(NEXT) | instid1(VALU_DEP_1)
	v_add_f32_e32 v25, v25, v27
	v_exp_f32_e32 v25, v25
	s_delay_alu instid0(TRANS32_DEP_1) | instskip(SKIP_1) | instid1(VALU_DEP_1)
	v_ldexp_f32 v25, v25, v26
	s_wait_alu 0xfffd
	v_cndmask_b32_e32 v25, 0, v25, vcc_lo
	v_cmp_nlt_f32_e32 vcc_lo, 0x42b17218, v24
	s_wait_alu 0xfffd
	s_delay_alu instid0(VALU_DEP_2) | instskip(NEXT) | instid1(VALU_DEP_1)
	v_cndmask_b32_e32 v24, 0x7f800000, v25, vcc_lo
	v_add_f32_e32 v24, 1.0, v24
	s_delay_alu instid0(VALU_DEP_1) | instskip(NEXT) | instid1(TRANS32_DEP_1)
	v_rcp_f32_e32 v24, v24
	v_fma_f32 v135, v24, -2.0, 1.0
.LBB25_306:                             ;   in Loop: Header=BB25_9 Depth=1
	s_wait_alu 0xfffe
	s_and_not1_saveexec_b32 s0, s0
	s_cbranch_execz .LBB25_308
; %bb.307:                              ;   in Loop: Header=BB25_9 Depth=1
	v_mul_f32_e32 v24, v23, v23
	s_delay_alu instid0(VALU_DEP_1) | instskip(NEXT) | instid1(VALU_DEP_1)
	v_fmaak_f32 v25, s39, v24, 0x3ca908c9
	v_fmaak_f32 v25, v24, v25, 0xbd5c1c4e
	s_delay_alu instid0(VALU_DEP_1) | instskip(NEXT) | instid1(VALU_DEP_1)
	v_fmaak_f32 v25, v24, v25, 0x3e088382
	v_fmaak_f32 v25, v24, v25, 0xbeaaaa99
	s_delay_alu instid0(VALU_DEP_1) | instskip(NEXT) | instid1(VALU_DEP_1)
	v_mul_f32_e64 v25, |v23|, v25
	v_fma_f32 v135, v24, v25, |v23|
.LBB25_308:                             ;   in Loop: Header=BB25_9 Depth=1
	s_wait_alu 0xfffe
	s_or_b32 exec_lo, exec_lo, s0
	v_wmma_f32_16x16x16_f16 v[24:31], v[124:127], v[92:95], 0
	s_delay_alu instid0(VALU_DEP_1) | instskip(NEXT) | instid1(VALU_DEP_1)
	v_wmma_f32_16x16x16_f16 v[24:31], v[120:123], v[88:91], v[24:31]
	v_wmma_f32_16x16x16_f16 v[24:31], v[116:119], v[84:87], v[24:31]
	s_delay_alu instid0(VALU_DEP_1) | instskip(NEXT) | instid1(VALU_DEP_1)
	v_wmma_f32_16x16x16_f16 v[24:31], v[112:115], v[80:83], v[24:31]
	v_wmma_f32_16x16x16_f16 v[24:31], v[108:111], v[76:79], v[24:31]
	s_delay_alu instid0(VALU_DEP_1) | instskip(NEXT) | instid1(VALU_DEP_1)
	v_wmma_f32_16x16x16_f16 v[24:31], v[104:107], v[72:75], v[24:31]
	v_wmma_f32_16x16x16_f16 v[24:31], v[100:103], v[68:71], v[24:31]
	s_delay_alu instid0(VALU_DEP_1) | instskip(NEXT) | instid1(VALU_DEP_1)
	v_wmma_f32_16x16x16_f16 v[24:31], v[96:99], v[64:67], v[24:31]
                                        ; implicit-def: $vgpr64
	v_cmp_ngt_f32_e64 s0, 0x3f200000, |v24|
	s_and_saveexec_b32 s1, s0
	s_wait_alu 0xfffe
	s_xor_b32 s0, exec_lo, s1
	s_cbranch_execz .LBB25_310
; %bb.309:                              ;   in Loop: Header=BB25_9 Depth=1
	v_add_f32_e64 v64, |v24|, |v24|
	s_delay_alu instid0(VALU_DEP_1) | instskip(SKIP_1) | instid1(VALU_DEP_2)
	v_mul_f32_e32 v65, 0x3fb8aa3b, v64
	v_cmp_ngt_f32_e32 vcc_lo, 0xc2ce8ed0, v64
	v_rndne_f32_e32 v66, v65
	v_fma_f32 v67, 0x3fb8aa3b, v64, -v65
	s_delay_alu instid0(VALU_DEP_2) | instskip(NEXT) | instid1(VALU_DEP_2)
	v_sub_f32_e32 v65, v65, v66
	v_fmac_f32_e32 v67, 0x32a5705f, v64
	v_cvt_i32_f32_e32 v66, v66
	s_delay_alu instid0(VALU_DEP_2) | instskip(NEXT) | instid1(VALU_DEP_1)
	v_add_f32_e32 v65, v65, v67
	v_exp_f32_e32 v65, v65
	s_delay_alu instid0(TRANS32_DEP_1) | instskip(SKIP_1) | instid1(VALU_DEP_1)
	v_ldexp_f32 v65, v65, v66
	s_wait_alu 0xfffd
	v_cndmask_b32_e32 v65, 0, v65, vcc_lo
	v_cmp_nlt_f32_e32 vcc_lo, 0x42b17218, v64
	s_wait_alu 0xfffd
	s_delay_alu instid0(VALU_DEP_2) | instskip(NEXT) | instid1(VALU_DEP_1)
	v_cndmask_b32_e32 v64, 0x7f800000, v65, vcc_lo
	v_add_f32_e32 v64, 1.0, v64
	s_delay_alu instid0(VALU_DEP_1) | instskip(NEXT) | instid1(TRANS32_DEP_1)
	v_rcp_f32_e32 v64, v64
	v_fma_f32 v64, v64, -2.0, 1.0
.LBB25_310:                             ;   in Loop: Header=BB25_9 Depth=1
	s_wait_alu 0xfffe
	s_and_not1_saveexec_b32 s0, s0
	s_cbranch_execz .LBB25_312
; %bb.311:                              ;   in Loop: Header=BB25_9 Depth=1
	v_mul_f32_e32 v64, v24, v24
	s_delay_alu instid0(VALU_DEP_1) | instskip(NEXT) | instid1(VALU_DEP_1)
	v_fmaak_f32 v65, s39, v64, 0x3ca908c9
	v_fmaak_f32 v65, v64, v65, 0xbd5c1c4e
	s_delay_alu instid0(VALU_DEP_1) | instskip(NEXT) | instid1(VALU_DEP_1)
	v_fmaak_f32 v65, v64, v65, 0x3e088382
	v_fmaak_f32 v65, v64, v65, 0xbeaaaa99
	s_delay_alu instid0(VALU_DEP_1) | instskip(NEXT) | instid1(VALU_DEP_1)
	v_mul_f32_e64 v65, |v24|, v65
	v_fma_f32 v64, v64, v65, |v24|
.LBB25_312:                             ;   in Loop: Header=BB25_9 Depth=1
	s_wait_alu 0xfffe
	s_or_b32 exec_lo, exec_lo, s0
	v_cmp_ngt_f32_e64 s0, 0x3f200000, |v25|
                                        ; implicit-def: $vgpr65
	s_and_saveexec_b32 s1, s0
	s_wait_alu 0xfffe
	s_xor_b32 s0, exec_lo, s1
	s_cbranch_execz .LBB25_314
; %bb.313:                              ;   in Loop: Header=BB25_9 Depth=1
	v_add_f32_e64 v65, |v25|, |v25|
	s_delay_alu instid0(VALU_DEP_1) | instskip(SKIP_1) | instid1(VALU_DEP_2)
	v_mul_f32_e32 v66, 0x3fb8aa3b, v65
	v_cmp_ngt_f32_e32 vcc_lo, 0xc2ce8ed0, v65
	v_rndne_f32_e32 v67, v66
	v_fma_f32 v68, 0x3fb8aa3b, v65, -v66
	s_delay_alu instid0(VALU_DEP_2) | instskip(NEXT) | instid1(VALU_DEP_2)
	v_sub_f32_e32 v66, v66, v67
	v_fmac_f32_e32 v68, 0x32a5705f, v65
	v_cvt_i32_f32_e32 v67, v67
	s_delay_alu instid0(VALU_DEP_2) | instskip(NEXT) | instid1(VALU_DEP_1)
	v_add_f32_e32 v66, v66, v68
	v_exp_f32_e32 v66, v66
	s_delay_alu instid0(TRANS32_DEP_1) | instskip(SKIP_1) | instid1(VALU_DEP_1)
	v_ldexp_f32 v66, v66, v67
	s_wait_alu 0xfffd
	v_cndmask_b32_e32 v66, 0, v66, vcc_lo
	v_cmp_nlt_f32_e32 vcc_lo, 0x42b17218, v65
	s_wait_alu 0xfffd
	s_delay_alu instid0(VALU_DEP_2) | instskip(NEXT) | instid1(VALU_DEP_1)
	v_cndmask_b32_e32 v65, 0x7f800000, v66, vcc_lo
	v_add_f32_e32 v65, 1.0, v65
	s_delay_alu instid0(VALU_DEP_1) | instskip(NEXT) | instid1(TRANS32_DEP_1)
	v_rcp_f32_e32 v65, v65
	v_fma_f32 v65, v65, -2.0, 1.0
.LBB25_314:                             ;   in Loop: Header=BB25_9 Depth=1
	s_wait_alu 0xfffe
	s_and_not1_saveexec_b32 s0, s0
	s_cbranch_execz .LBB25_316
; %bb.315:                              ;   in Loop: Header=BB25_9 Depth=1
	v_mul_f32_e32 v65, v25, v25
	s_delay_alu instid0(VALU_DEP_1) | instskip(NEXT) | instid1(VALU_DEP_1)
	v_fmaak_f32 v66, s39, v65, 0x3ca908c9
	v_fmaak_f32 v66, v65, v66, 0xbd5c1c4e
	s_delay_alu instid0(VALU_DEP_1) | instskip(NEXT) | instid1(VALU_DEP_1)
	v_fmaak_f32 v66, v65, v66, 0x3e088382
	v_fmaak_f32 v66, v65, v66, 0xbeaaaa99
	s_delay_alu instid0(VALU_DEP_1) | instskip(NEXT) | instid1(VALU_DEP_1)
	v_mul_f32_e64 v66, |v25|, v66
	v_fma_f32 v65, v65, v66, |v25|
.LBB25_316:                             ;   in Loop: Header=BB25_9 Depth=1
	s_wait_alu 0xfffe
	s_or_b32 exec_lo, exec_lo, s0
	v_cmp_ngt_f32_e64 s0, 0x3f200000, |v26|
                                        ; implicit-def: $vgpr66
	s_and_saveexec_b32 s1, s0
	s_wait_alu 0xfffe
	s_xor_b32 s0, exec_lo, s1
	s_cbranch_execz .LBB25_318
; %bb.317:                              ;   in Loop: Header=BB25_9 Depth=1
	v_add_f32_e64 v66, |v26|, |v26|
	s_delay_alu instid0(VALU_DEP_1) | instskip(SKIP_1) | instid1(VALU_DEP_2)
	v_mul_f32_e32 v67, 0x3fb8aa3b, v66
	v_cmp_ngt_f32_e32 vcc_lo, 0xc2ce8ed0, v66
	v_rndne_f32_e32 v68, v67
	v_fma_f32 v69, 0x3fb8aa3b, v66, -v67
	s_delay_alu instid0(VALU_DEP_2) | instskip(NEXT) | instid1(VALU_DEP_2)
	v_sub_f32_e32 v67, v67, v68
	v_fmac_f32_e32 v69, 0x32a5705f, v66
	v_cvt_i32_f32_e32 v68, v68
	s_delay_alu instid0(VALU_DEP_2) | instskip(NEXT) | instid1(VALU_DEP_1)
	v_add_f32_e32 v67, v67, v69
	v_exp_f32_e32 v67, v67
	s_delay_alu instid0(TRANS32_DEP_1) | instskip(SKIP_1) | instid1(VALU_DEP_1)
	v_ldexp_f32 v67, v67, v68
	s_wait_alu 0xfffd
	v_cndmask_b32_e32 v67, 0, v67, vcc_lo
	v_cmp_nlt_f32_e32 vcc_lo, 0x42b17218, v66
	s_wait_alu 0xfffd
	s_delay_alu instid0(VALU_DEP_2) | instskip(NEXT) | instid1(VALU_DEP_1)
	v_cndmask_b32_e32 v66, 0x7f800000, v67, vcc_lo
	v_add_f32_e32 v66, 1.0, v66
	s_delay_alu instid0(VALU_DEP_1) | instskip(NEXT) | instid1(TRANS32_DEP_1)
	v_rcp_f32_e32 v66, v66
	v_fma_f32 v66, v66, -2.0, 1.0
.LBB25_318:                             ;   in Loop: Header=BB25_9 Depth=1
	s_wait_alu 0xfffe
	s_and_not1_saveexec_b32 s0, s0
	s_cbranch_execz .LBB25_320
; %bb.319:                              ;   in Loop: Header=BB25_9 Depth=1
	v_mul_f32_e32 v66, v26, v26
	s_delay_alu instid0(VALU_DEP_1) | instskip(NEXT) | instid1(VALU_DEP_1)
	v_fmaak_f32 v67, s39, v66, 0x3ca908c9
	v_fmaak_f32 v67, v66, v67, 0xbd5c1c4e
	s_delay_alu instid0(VALU_DEP_1) | instskip(NEXT) | instid1(VALU_DEP_1)
	v_fmaak_f32 v67, v66, v67, 0x3e088382
	v_fmaak_f32 v67, v66, v67, 0xbeaaaa99
	s_delay_alu instid0(VALU_DEP_1) | instskip(NEXT) | instid1(VALU_DEP_1)
	v_mul_f32_e64 v67, |v26|, v67
	v_fma_f32 v66, v66, v67, |v26|
.LBB25_320:                             ;   in Loop: Header=BB25_9 Depth=1
	s_wait_alu 0xfffe
	s_or_b32 exec_lo, exec_lo, s0
	v_cmp_ngt_f32_e64 s0, 0x3f200000, |v27|
                                        ; implicit-def: $vgpr67
	s_and_saveexec_b32 s1, s0
	s_wait_alu 0xfffe
	s_xor_b32 s0, exec_lo, s1
	s_cbranch_execz .LBB25_322
; %bb.321:                              ;   in Loop: Header=BB25_9 Depth=1
	v_add_f32_e64 v67, |v27|, |v27|
	s_delay_alu instid0(VALU_DEP_1) | instskip(SKIP_1) | instid1(VALU_DEP_2)
	v_mul_f32_e32 v68, 0x3fb8aa3b, v67
	v_cmp_ngt_f32_e32 vcc_lo, 0xc2ce8ed0, v67
	v_rndne_f32_e32 v69, v68
	v_fma_f32 v70, 0x3fb8aa3b, v67, -v68
	s_delay_alu instid0(VALU_DEP_2) | instskip(NEXT) | instid1(VALU_DEP_2)
	v_sub_f32_e32 v68, v68, v69
	v_fmac_f32_e32 v70, 0x32a5705f, v67
	v_cvt_i32_f32_e32 v69, v69
	s_delay_alu instid0(VALU_DEP_2) | instskip(NEXT) | instid1(VALU_DEP_1)
	v_add_f32_e32 v68, v68, v70
	v_exp_f32_e32 v68, v68
	s_delay_alu instid0(TRANS32_DEP_1) | instskip(SKIP_1) | instid1(VALU_DEP_1)
	v_ldexp_f32 v68, v68, v69
	s_wait_alu 0xfffd
	v_cndmask_b32_e32 v68, 0, v68, vcc_lo
	v_cmp_nlt_f32_e32 vcc_lo, 0x42b17218, v67
	s_wait_alu 0xfffd
	s_delay_alu instid0(VALU_DEP_2) | instskip(NEXT) | instid1(VALU_DEP_1)
	v_cndmask_b32_e32 v67, 0x7f800000, v68, vcc_lo
	v_add_f32_e32 v67, 1.0, v67
	s_delay_alu instid0(VALU_DEP_1) | instskip(NEXT) | instid1(TRANS32_DEP_1)
	v_rcp_f32_e32 v67, v67
	v_fma_f32 v67, v67, -2.0, 1.0
.LBB25_322:                             ;   in Loop: Header=BB25_9 Depth=1
	s_wait_alu 0xfffe
	s_and_not1_saveexec_b32 s0, s0
	s_cbranch_execz .LBB25_324
; %bb.323:                              ;   in Loop: Header=BB25_9 Depth=1
	v_mul_f32_e32 v67, v27, v27
	s_delay_alu instid0(VALU_DEP_1) | instskip(NEXT) | instid1(VALU_DEP_1)
	v_fmaak_f32 v68, s39, v67, 0x3ca908c9
	v_fmaak_f32 v68, v67, v68, 0xbd5c1c4e
	s_delay_alu instid0(VALU_DEP_1) | instskip(NEXT) | instid1(VALU_DEP_1)
	v_fmaak_f32 v68, v67, v68, 0x3e088382
	v_fmaak_f32 v68, v67, v68, 0xbeaaaa99
	s_delay_alu instid0(VALU_DEP_1) | instskip(NEXT) | instid1(VALU_DEP_1)
	v_mul_f32_e64 v68, |v27|, v68
	v_fma_f32 v67, v67, v68, |v27|
.LBB25_324:                             ;   in Loop: Header=BB25_9 Depth=1
	s_wait_alu 0xfffe
	s_or_b32 exec_lo, exec_lo, s0
	v_cmp_ngt_f32_e64 s0, 0x3f200000, |v28|
                                        ; implicit-def: $vgpr68
	s_and_saveexec_b32 s1, s0
	s_wait_alu 0xfffe
	s_xor_b32 s0, exec_lo, s1
	s_cbranch_execz .LBB25_326
; %bb.325:                              ;   in Loop: Header=BB25_9 Depth=1
	v_add_f32_e64 v68, |v28|, |v28|
	s_delay_alu instid0(VALU_DEP_1) | instskip(SKIP_1) | instid1(VALU_DEP_2)
	v_mul_f32_e32 v69, 0x3fb8aa3b, v68
	v_cmp_ngt_f32_e32 vcc_lo, 0xc2ce8ed0, v68
	v_rndne_f32_e32 v70, v69
	v_fma_f32 v71, 0x3fb8aa3b, v68, -v69
	s_delay_alu instid0(VALU_DEP_2) | instskip(NEXT) | instid1(VALU_DEP_2)
	v_sub_f32_e32 v69, v69, v70
	v_fmac_f32_e32 v71, 0x32a5705f, v68
	v_cvt_i32_f32_e32 v70, v70
	s_delay_alu instid0(VALU_DEP_2) | instskip(NEXT) | instid1(VALU_DEP_1)
	v_add_f32_e32 v69, v69, v71
	v_exp_f32_e32 v69, v69
	s_delay_alu instid0(TRANS32_DEP_1) | instskip(SKIP_1) | instid1(VALU_DEP_1)
	v_ldexp_f32 v69, v69, v70
	s_wait_alu 0xfffd
	v_cndmask_b32_e32 v69, 0, v69, vcc_lo
	v_cmp_nlt_f32_e32 vcc_lo, 0x42b17218, v68
	s_wait_alu 0xfffd
	s_delay_alu instid0(VALU_DEP_2) | instskip(NEXT) | instid1(VALU_DEP_1)
	v_cndmask_b32_e32 v68, 0x7f800000, v69, vcc_lo
	v_add_f32_e32 v68, 1.0, v68
	s_delay_alu instid0(VALU_DEP_1) | instskip(NEXT) | instid1(TRANS32_DEP_1)
	v_rcp_f32_e32 v68, v68
	v_fma_f32 v68, v68, -2.0, 1.0
.LBB25_326:                             ;   in Loop: Header=BB25_9 Depth=1
	s_wait_alu 0xfffe
	s_and_not1_saveexec_b32 s0, s0
	s_cbranch_execz .LBB25_328
; %bb.327:                              ;   in Loop: Header=BB25_9 Depth=1
	v_mul_f32_e32 v68, v28, v28
	s_delay_alu instid0(VALU_DEP_1) | instskip(NEXT) | instid1(VALU_DEP_1)
	v_fmaak_f32 v69, s39, v68, 0x3ca908c9
	v_fmaak_f32 v69, v68, v69, 0xbd5c1c4e
	s_delay_alu instid0(VALU_DEP_1) | instskip(NEXT) | instid1(VALU_DEP_1)
	v_fmaak_f32 v69, v68, v69, 0x3e088382
	v_fmaak_f32 v69, v68, v69, 0xbeaaaa99
	s_delay_alu instid0(VALU_DEP_1) | instskip(NEXT) | instid1(VALU_DEP_1)
	v_mul_f32_e64 v69, |v28|, v69
	v_fma_f32 v68, v68, v69, |v28|
.LBB25_328:                             ;   in Loop: Header=BB25_9 Depth=1
	s_wait_alu 0xfffe
	s_or_b32 exec_lo, exec_lo, s0
	v_cmp_ngt_f32_e64 s0, 0x3f200000, |v29|
                                        ; implicit-def: $vgpr69
	s_and_saveexec_b32 s1, s0
	s_wait_alu 0xfffe
	s_xor_b32 s0, exec_lo, s1
	s_cbranch_execz .LBB25_330
; %bb.329:                              ;   in Loop: Header=BB25_9 Depth=1
	v_add_f32_e64 v69, |v29|, |v29|
	s_delay_alu instid0(VALU_DEP_1) | instskip(SKIP_1) | instid1(VALU_DEP_2)
	v_mul_f32_e32 v70, 0x3fb8aa3b, v69
	v_cmp_ngt_f32_e32 vcc_lo, 0xc2ce8ed0, v69
	v_rndne_f32_e32 v71, v70
	v_fma_f32 v72, 0x3fb8aa3b, v69, -v70
	s_delay_alu instid0(VALU_DEP_2) | instskip(NEXT) | instid1(VALU_DEP_2)
	v_sub_f32_e32 v70, v70, v71
	v_fmac_f32_e32 v72, 0x32a5705f, v69
	v_cvt_i32_f32_e32 v71, v71
	s_delay_alu instid0(VALU_DEP_2) | instskip(NEXT) | instid1(VALU_DEP_1)
	v_add_f32_e32 v70, v70, v72
	v_exp_f32_e32 v70, v70
	s_delay_alu instid0(TRANS32_DEP_1) | instskip(SKIP_1) | instid1(VALU_DEP_1)
	v_ldexp_f32 v70, v70, v71
	s_wait_alu 0xfffd
	v_cndmask_b32_e32 v70, 0, v70, vcc_lo
	v_cmp_nlt_f32_e32 vcc_lo, 0x42b17218, v69
	s_wait_alu 0xfffd
	s_delay_alu instid0(VALU_DEP_2) | instskip(NEXT) | instid1(VALU_DEP_1)
	v_cndmask_b32_e32 v69, 0x7f800000, v70, vcc_lo
	v_add_f32_e32 v69, 1.0, v69
	s_delay_alu instid0(VALU_DEP_1) | instskip(NEXT) | instid1(TRANS32_DEP_1)
	v_rcp_f32_e32 v69, v69
	v_fma_f32 v69, v69, -2.0, 1.0
.LBB25_330:                             ;   in Loop: Header=BB25_9 Depth=1
	s_wait_alu 0xfffe
	s_and_not1_saveexec_b32 s0, s0
	s_cbranch_execz .LBB25_332
; %bb.331:                              ;   in Loop: Header=BB25_9 Depth=1
	v_mul_f32_e32 v69, v29, v29
	s_delay_alu instid0(VALU_DEP_1) | instskip(NEXT) | instid1(VALU_DEP_1)
	v_fmaak_f32 v70, s39, v69, 0x3ca908c9
	v_fmaak_f32 v70, v69, v70, 0xbd5c1c4e
	s_delay_alu instid0(VALU_DEP_1) | instskip(NEXT) | instid1(VALU_DEP_1)
	v_fmaak_f32 v70, v69, v70, 0x3e088382
	v_fmaak_f32 v70, v69, v70, 0xbeaaaa99
	s_delay_alu instid0(VALU_DEP_1) | instskip(NEXT) | instid1(VALU_DEP_1)
	v_mul_f32_e64 v70, |v29|, v70
	v_fma_f32 v69, v69, v70, |v29|
.LBB25_332:                             ;   in Loop: Header=BB25_9 Depth=1
	s_wait_alu 0xfffe
	s_or_b32 exec_lo, exec_lo, s0
	v_cmp_ngt_f32_e64 s0, 0x3f200000, |v30|
                                        ; implicit-def: $vgpr70
	s_and_saveexec_b32 s1, s0
	s_wait_alu 0xfffe
	s_xor_b32 s0, exec_lo, s1
	s_cbranch_execz .LBB25_334
; %bb.333:                              ;   in Loop: Header=BB25_9 Depth=1
	v_add_f32_e64 v70, |v30|, |v30|
	s_delay_alu instid0(VALU_DEP_1) | instskip(SKIP_1) | instid1(VALU_DEP_2)
	v_mul_f32_e32 v71, 0x3fb8aa3b, v70
	v_cmp_ngt_f32_e32 vcc_lo, 0xc2ce8ed0, v70
	v_rndne_f32_e32 v72, v71
	v_fma_f32 v73, 0x3fb8aa3b, v70, -v71
	s_delay_alu instid0(VALU_DEP_2) | instskip(NEXT) | instid1(VALU_DEP_2)
	v_sub_f32_e32 v71, v71, v72
	v_fmac_f32_e32 v73, 0x32a5705f, v70
	v_cvt_i32_f32_e32 v72, v72
	s_delay_alu instid0(VALU_DEP_2) | instskip(NEXT) | instid1(VALU_DEP_1)
	v_add_f32_e32 v71, v71, v73
	v_exp_f32_e32 v71, v71
	s_delay_alu instid0(TRANS32_DEP_1) | instskip(SKIP_1) | instid1(VALU_DEP_1)
	v_ldexp_f32 v71, v71, v72
	s_wait_alu 0xfffd
	v_cndmask_b32_e32 v71, 0, v71, vcc_lo
	v_cmp_nlt_f32_e32 vcc_lo, 0x42b17218, v70
	s_wait_alu 0xfffd
	s_delay_alu instid0(VALU_DEP_2) | instskip(NEXT) | instid1(VALU_DEP_1)
	v_cndmask_b32_e32 v70, 0x7f800000, v71, vcc_lo
	v_add_f32_e32 v70, 1.0, v70
	s_delay_alu instid0(VALU_DEP_1) | instskip(NEXT) | instid1(TRANS32_DEP_1)
	v_rcp_f32_e32 v70, v70
	v_fma_f32 v70, v70, -2.0, 1.0
.LBB25_334:                             ;   in Loop: Header=BB25_9 Depth=1
	s_wait_alu 0xfffe
	s_and_not1_saveexec_b32 s0, s0
	s_cbranch_execz .LBB25_336
; %bb.335:                              ;   in Loop: Header=BB25_9 Depth=1
	v_mul_f32_e32 v70, v30, v30
	s_delay_alu instid0(VALU_DEP_1) | instskip(NEXT) | instid1(VALU_DEP_1)
	v_fmaak_f32 v71, s39, v70, 0x3ca908c9
	v_fmaak_f32 v71, v70, v71, 0xbd5c1c4e
	s_delay_alu instid0(VALU_DEP_1) | instskip(NEXT) | instid1(VALU_DEP_1)
	v_fmaak_f32 v71, v70, v71, 0x3e088382
	v_fmaak_f32 v71, v70, v71, 0xbeaaaa99
	s_delay_alu instid0(VALU_DEP_1) | instskip(NEXT) | instid1(VALU_DEP_1)
	v_mul_f32_e64 v71, |v30|, v71
	v_fma_f32 v70, v70, v71, |v30|
.LBB25_336:                             ;   in Loop: Header=BB25_9 Depth=1
	s_wait_alu 0xfffe
	s_or_b32 exec_lo, exec_lo, s0
	v_cmp_ngt_f32_e64 s0, 0x3f200000, |v31|
                                        ; implicit-def: $vgpr71
	s_and_saveexec_b32 s1, s0
	s_wait_alu 0xfffe
	s_xor_b32 s0, exec_lo, s1
	s_cbranch_execz .LBB25_338
; %bb.337:                              ;   in Loop: Header=BB25_9 Depth=1
	v_add_f32_e64 v71, |v31|, |v31|
	s_delay_alu instid0(VALU_DEP_1) | instskip(SKIP_1) | instid1(VALU_DEP_2)
	v_mul_f32_e32 v72, 0x3fb8aa3b, v71
	v_cmp_ngt_f32_e32 vcc_lo, 0xc2ce8ed0, v71
	v_rndne_f32_e32 v73, v72
	v_fma_f32 v74, 0x3fb8aa3b, v71, -v72
	s_delay_alu instid0(VALU_DEP_2) | instskip(NEXT) | instid1(VALU_DEP_2)
	v_sub_f32_e32 v72, v72, v73
	v_fmac_f32_e32 v74, 0x32a5705f, v71
	v_cvt_i32_f32_e32 v73, v73
	s_delay_alu instid0(VALU_DEP_2) | instskip(NEXT) | instid1(VALU_DEP_1)
	v_add_f32_e32 v72, v72, v74
	v_exp_f32_e32 v72, v72
	s_delay_alu instid0(TRANS32_DEP_1) | instskip(SKIP_1) | instid1(VALU_DEP_1)
	v_ldexp_f32 v72, v72, v73
	s_wait_alu 0xfffd
	v_cndmask_b32_e32 v72, 0, v72, vcc_lo
	v_cmp_nlt_f32_e32 vcc_lo, 0x42b17218, v71
	s_wait_alu 0xfffd
	s_delay_alu instid0(VALU_DEP_2) | instskip(NEXT) | instid1(VALU_DEP_1)
	v_cndmask_b32_e32 v71, 0x7f800000, v72, vcc_lo
	v_add_f32_e32 v71, 1.0, v71
	s_delay_alu instid0(VALU_DEP_1) | instskip(NEXT) | instid1(TRANS32_DEP_1)
	v_rcp_f32_e32 v71, v71
	v_fma_f32 v71, v71, -2.0, 1.0
.LBB25_338:                             ;   in Loop: Header=BB25_9 Depth=1
	s_wait_alu 0xfffe
	s_and_not1_saveexec_b32 s0, s0
	s_cbranch_execz .LBB25_340
; %bb.339:                              ;   in Loop: Header=BB25_9 Depth=1
	v_mul_f32_e32 v71, v31, v31
	s_delay_alu instid0(VALU_DEP_1) | instskip(NEXT) | instid1(VALU_DEP_1)
	v_fmaak_f32 v72, s39, v71, 0x3ca908c9
	v_fmaak_f32 v72, v71, v72, 0xbd5c1c4e
	s_delay_alu instid0(VALU_DEP_1) | instskip(NEXT) | instid1(VALU_DEP_1)
	v_fmaak_f32 v72, v71, v72, 0x3e088382
	v_fmaak_f32 v72, v71, v72, 0xbeaaaa99
	s_delay_alu instid0(VALU_DEP_1) | instskip(NEXT) | instid1(VALU_DEP_1)
	v_mul_f32_e64 v72, |v31|, v72
	v_fma_f32 v71, v71, v72, |v31|
.LBB25_340:                             ;   in Loop: Header=BB25_9 Depth=1
	s_wait_alu 0xfffe
	s_or_b32 exec_lo, exec_lo, s0
	v_bfi_b32 v72, 0x7fffffff, v176, v0
	v_add_nc_u32_e32 v0, 0x4400, v202
	v_bfi_b32 v73, 0x7fffffff, v178, v1
	v_bfi_b32 v74, 0x7fffffff, v180, v2
	v_add_nc_u32_e32 v2, 0x4400, v197
	v_bfi_b32 v75, 0x7fffffff, v181, v3
	ds_load_2addr_b32 v[0:1], v0 offset1:1
	v_bfi_b32 v24, 0x7fffffff, v64, v24
	ds_load_2addr_b32 v[2:3], v2 offset1:1
	ds_load_b32 v64, v194 offset:17408
	v_bfi_b32 v7, 0x7fffffff, v185, v7
	v_bfi_b32 v25, 0x7fffffff, v65, v25
	;; [unrolled: 1-line block ×16, first 2 shown]
	s_wait_dscnt 0x2
	v_fma_mix_f32 v90, s7, v72, v0 op_sel_hi:[0,0,1]
	v_fma_mix_f32 v91, s7, v73, v0 op_sel:[0,0,1] op_sel_hi:[0,0,1]
	v_fma_mix_f32 v92, s7, v74, v1 op_sel_hi:[0,0,1]
	v_fma_mix_f32 v93, s7, v75, v1 op_sel:[0,0,1] op_sel_hi:[0,0,1]
	s_wait_dscnt 0x0
	v_fma_mix_f32 v94, s7, v7, v64 op_sel:[0,0,1] op_sel_hi:[0,0,1]
	v_dual_add_f32 v0, 0x40051340, v90 :: v_dual_add_f32 v1, 0x40051340, v91
	v_fma_mix_f32 v95, s7, v6, v64 op_sel_hi:[0,0,1]
	v_add_f32_e32 v65, 0x40051340, v93
	v_fma_mix_f32 v83, s7, v9, v2 op_sel:[0,0,1] op_sel_hi:[0,0,1]
	v_fma_mix_f32 v82, s7, v8, v2 op_sel_hi:[0,0,1]
	v_max3_num_f32 v0, v179, v0, v1
	v_add_f32_e32 v1, 0x40051340, v92
	v_fma_mix_f32 v85, s7, v11, v3 op_sel:[0,0,1] op_sel_hi:[0,0,1]
	v_fma_mix_f32 v84, s7, v10, v3 op_sel_hi:[0,0,1]
	v_add_nc_u32_e32 v6, 0x4400, v203
	v_bfi_b32 v18, 0x7fffffff, v130, v18
	v_max3_num_f32 v0, v0, v1, v65
	ds_load_b32 v1, v202 offset:17416
	v_bfi_b32 v21, 0x7fffffff, v133, v21
	v_bfi_b32 v23, 0x7fffffff, v135, v23
	;; [unrolled: 1-line block ×10, first 2 shown]
	s_mul_u64 s[0:1], s[4:5], s[26:27]
	v_add_f32_e32 v2, 0x40051340, v83
	s_wait_alu 0xfffe
	s_lshl_b64 s[0:1], s[0:1], 2
	s_cmp_lg_u64 s[74:75], 0
	s_wait_alu 0xfffe
	s_add_nc_u64 s[0:1], s[76:77], s[0:1]
	s_wait_dscnt 0x0
	v_fma_mix_f32 v97, s7, v4, v1 op_sel_hi:[0,0,1]
	v_fma_mix_f32 v96, s7, v5, v1 op_sel:[0,0,1] op_sel_hi:[0,0,1]
	s_delay_alu instid0(VALU_DEP_1) | instskip(NEXT) | instid1(VALU_DEP_1)
	v_dual_add_f32 v1, 0x40051340, v97 :: v_dual_add_f32 v4, 0x40051340, v96
	v_max3_num_f32 v0, v0, v1, v4
	v_dual_add_f32 v1, 0x40051340, v95 :: v_dual_add_f32 v4, 0x40051340, v94
	s_delay_alu instid0(VALU_DEP_1) | instskip(SKIP_2) | instid1(VALU_DEP_2)
	v_max3_num_f32 v0, v0, v1, v4
	v_add_f32_e32 v1, 0x40051340, v82
	v_add_nc_u32_e32 v4, 0x4400, v198
	v_max3_num_f32 v0, v0, v1, v2
	v_dual_add_f32 v1, 0x40051340, v84 :: v_dual_add_f32 v2, 0x40051340, v85
	s_delay_alu instid0(VALU_DEP_1)
	v_max3_num_f32 v8, v0, v1, v2
	v_add_nc_u32_e32 v0, 0x4400, v196
	v_add_nc_u32_e32 v2, 0x4400, v199
	ds_load_2addr_b32 v[0:1], v0 offset1:1
	ds_load_2addr_b32 v[2:3], v2 offset1:1
	ds_load_2addr_b32 v[4:5], v4 offset1:1
	ds_load_2addr_b32 v[6:7], v6 offset1:1
	s_wait_dscnt 0x2
	v_fma_mix_f32 v75, s7, v17, v2 op_sel:[0,0,1] op_sel_hi:[0,0,1]
	v_fma_mix_f32 v89, s7, v12, v0 op_sel_hi:[0,0,1]
	v_fma_mix_f32 v88, s7, v13, v0 op_sel:[0,0,1] op_sel_hi:[0,0,1]
	v_fma_mix_f32 v87, s7, v14, v1 op_sel_hi:[0,0,1]
	v_fma_mix_f32 v86, s7, v15, v1 op_sel:[0,0,1] op_sel_hi:[0,0,1]
	v_fma_mix_f32 v74, s7, v16, v2 op_sel_hi:[0,0,1]
	s_delay_alu instid0(VALU_DEP_4)
	v_dual_add_f32 v0, 0x40051340, v89 :: v_dual_add_f32 v1, 0x40051340, v88
	v_add_f32_e32 v2, 0x40051340, v75
	v_fma_mix_f32 v77, s7, v19, v3 op_sel:[0,0,1] op_sel_hi:[0,0,1]
	v_fma_mix_f32 v76, s7, v18, v3 op_sel_hi:[0,0,1]
	s_wait_dscnt 0x1
	v_fma_mix_f32 v80, s7, v21, v4 op_sel:[0,0,1] op_sel_hi:[0,0,1]
	v_max3_num_f32 v0, v8, v0, v1
	v_dual_add_f32 v1, 0x40051340, v87 :: v_dual_add_f32 v8, 0x40051340, v86
	v_fma_mix_f32 v81, s7, v20, v4 op_sel_hi:[0,0,1]
	v_fma_mix_f32 v78, s7, v23, v5 op_sel:[0,0,1] op_sel_hi:[0,0,1]
	v_fma_mix_f32 v79, s7, v22, v5 op_sel_hi:[0,0,1]
	s_wait_dscnt 0x0
	v_fma_mix_f32 v67, s7, v25, v6 op_sel:[0,0,1] op_sel_hi:[0,0,1]
	v_max3_num_f32 v0, v0, v1, v8
	v_add_f32_e32 v1, 0x40051340, v74
	v_fma_mix_f32 v66, s7, v24, v6 op_sel_hi:[0,0,1]
	v_fma_mix_f32 v69, s7, v27, v7 op_sel:[0,0,1] op_sel_hi:[0,0,1]
	v_fma_mix_f32 v68, s7, v26, v7 op_sel_hi:[0,0,1]
	s_delay_alu instid0(VALU_DEP_4) | instskip(SKIP_1) | instid1(VALU_DEP_1)
	v_max3_num_f32 v0, v0, v1, v2
	v_dual_add_f32 v1, 0x40051340, v76 :: v_dual_add_f32 v2, 0x40051340, v77
	v_max3_num_f32 v0, v0, v1, v2
	v_dual_add_f32 v1, 0x40051340, v81 :: v_dual_add_f32 v2, 0x40051340, v80
	s_delay_alu instid0(VALU_DEP_1) | instskip(SKIP_1) | instid1(VALU_DEP_1)
	v_max3_num_f32 v0, v0, v1, v2
	v_dual_add_f32 v1, 0x40051340, v79 :: v_dual_add_f32 v2, 0x40051340, v78
	v_max3_num_f32 v0, v0, v1, v2
	v_dual_add_f32 v1, 0x40051340, v66 :: v_dual_add_f32 v2, 0x40051340, v67
	s_delay_alu instid0(VALU_DEP_1) | instskip(SKIP_1) | instid1(VALU_DEP_1)
	v_max3_num_f32 v0, v0, v1, v2
	v_dual_add_f32 v1, 0x40051340, v68 :: v_dual_add_f32 v2, 0x40051340, v69
	v_max3_num_f32 v2, v0, v1, v2
	v_add_nc_u32_e32 v0, 0x4400, v204
	ds_load_2addr_b32 v[0:1], v0 offset1:1
	s_wait_dscnt 0x0
	v_fma_mix_f32 v73, s7, v28, v0 op_sel_hi:[0,0,1]
	v_fma_mix_f32 v72, s7, v29, v0 op_sel:[0,0,1] op_sel_hi:[0,0,1]
	v_fma_mix_f32 v71, s7, v30, v1 op_sel_hi:[0,0,1]
	v_fma_mix_f32 v70, s7, v31, v1 op_sel:[0,0,1] op_sel_hi:[0,0,1]
	s_delay_alu instid0(VALU_DEP_3) | instskip(NEXT) | instid1(VALU_DEP_1)
	v_dual_add_f32 v0, 0x40051340, v73 :: v_dual_add_f32 v1, 0x40051340, v72
	v_max3_num_f32 v0, v2, v0, v1
	s_delay_alu instid0(VALU_DEP_3) | instskip(NEXT) | instid1(VALU_DEP_1)
	v_dual_add_f32 v1, 0x40051340, v71 :: v_dual_add_f32 v2, 0x40051340, v70
	v_max3_num_f32 v0, v0, v1, v2
	v_mbcnt_lo_u32_b32 v2, -1, 0
	s_delay_alu instid0(VALU_DEP_1) | instskip(NEXT) | instid1(VALU_DEP_1)
	v_xor_b32_e32 v1, 16, v2
	v_cmp_gt_i32_e32 vcc_lo, 32, v1
	s_wait_alu 0xfffd
	v_cndmask_b32_e32 v1, v2, v1, vcc_lo
	s_delay_alu instid0(VALU_DEP_1) | instskip(SKIP_3) | instid1(VALU_DEP_1)
	v_lshlrev_b32_e32 v65, 2, v1
	ds_bpermute_b32 v1, v65, v0
	s_wait_dscnt 0x0
	v_max_num_f32_e32 v1, v1, v1
	v_max_num_f32_e32 v64, v0, v1
	s_delay_alu instid0(VALU_DEP_1) | instskip(NEXT) | instid1(VALU_DEP_1)
	v_sub_f32_e32 v0, v179, v64
	v_mul_f32_e32 v1, 0x3fb8aa3b, v0
	v_cmp_ngt_f32_e32 vcc_lo, 0xc2ce8ed0, v0
	s_delay_alu instid0(VALU_DEP_2) | instskip(SKIP_1) | instid1(VALU_DEP_1)
	v_fma_f32 v2, 0x3fb8aa3b, v0, -v1
	v_rndne_f32_e32 v3, v1
	v_dual_fmac_f32 v2, 0x32a5705f, v0 :: v_dual_sub_f32 v1, v1, v3
	s_delay_alu instid0(VALU_DEP_1) | instskip(SKIP_1) | instid1(VALU_DEP_2)
	v_add_f32_e32 v1, v1, v2
	v_cvt_i32_f32_e32 v2, v3
	v_exp_f32_e32 v1, v1
	s_delay_alu instid0(TRANS32_DEP_1) | instskip(SKIP_1) | instid1(VALU_DEP_1)
	v_ldexp_f32 v1, v1, v2
	s_wait_alu 0xfffd
	v_cndmask_b32_e32 v1, 0, v1, vcc_lo
	v_cmp_nlt_f32_e32 vcc_lo, 0x42b17218, v0
	s_wait_alu 0xfffd
	s_delay_alu instid0(VALU_DEP_2) | instskip(SKIP_2) | instid1(VALU_DEP_2)
	v_cndmask_b32_e32 v1, 0x7f800000, v1, vcc_lo
	v_cmp_le_f32_e32 vcc_lo, 0xc1a00000, v0
	s_wait_alu 0xfffd
	v_cndmask_b32_e32 v98, 0, v1, vcc_lo
	s_delay_alu instid0(VALU_DEP_1) | instskip(NEXT) | instid1(VALU_DEP_1)
	v_cvt_f16_f32_e32 v0, v98
	v_and_b32_e32 v0, 0xffff, v0
	s_delay_alu instid0(VALU_DEP_1) | instskip(NEXT) | instid1(VALU_DEP_1)
	v_mul_u32_u24_e32 v31, 0x10001, v0
	v_pk_mul_f16 v28, v32, v31
	s_wait_alu 0xfffe
	v_add_co_u32 v32, vcc_lo, s0, v208
	v_pk_mul_f16 v29, v33, v31
	s_wait_alu 0xfffd
	v_add_co_ci_u32_e64 v33, null, s1, v209, vcc_lo
	s_delay_alu instid0(VALU_DEP_3) | instskip(SKIP_2) | instid1(VALU_DEP_3)
	v_add_co_u32 v32, vcc_lo, v32, v240
	v_pk_mul_f16 v30, v34, v31
	s_wait_alu 0xfffd
	v_add_co_ci_u32_e64 v33, null, 0, v33, vcc_lo
	v_add_co_u32 v34, vcc_lo, s0, v210
	v_pk_mul_f16 v0, v60, v31
	v_pk_mul_f16 v1, v61, v31
	;; [unrolled: 1-line block ×29, first 2 shown]
	s_wait_alu 0xfffd
	v_add_co_ci_u32_e64 v35, null, s1, v211, vcc_lo
	v_add_co_u32 v36, vcc_lo, v34, v240
	v_add_nc_u32_e32 v63, 0x400, v238
	s_wait_alu 0xfffd
	s_delay_alu instid0(VALU_DEP_3)
	v_add_co_ci_u32_e64 v37, null, 0, v35, vcc_lo
	s_clause 0x1
	global_load_b128 v[32:35], v[32:33], off
	global_load_b128 v[36:39], v[36:37], off
	s_wait_loadcnt 0x1
	ds_store_b128 v201, v[32:35]
	s_wait_loadcnt 0x0
	ds_store_b128 v188, v[36:39]
	v_add_co_u32 v32, vcc_lo, s0, v229
	s_wait_alu 0xfffd
	v_add_co_ci_u32_e64 v33, null, s1, v230, vcc_lo
	s_delay_alu instid0(VALU_DEP_2) | instskip(SKIP_1) | instid1(VALU_DEP_2)
	v_add_co_u32 v32, vcc_lo, v32, v240
	s_wait_alu 0xfffd
	v_add_co_ci_u32_e64 v33, null, 0, v33, vcc_lo
	v_add_co_u32 v34, vcc_lo, s0, v231
	s_wait_alu 0xfffd
	v_add_co_ci_u32_e64 v35, null, s1, v232, vcc_lo
	s_delay_alu instid0(VALU_DEP_2) | instskip(SKIP_1) | instid1(VALU_DEP_2)
	v_add_co_u32 v36, vcc_lo, v34, v240
	s_wait_alu 0xfffd
	v_add_co_ci_u32_e64 v37, null, 0, v35, vcc_lo
	s_clause 0x1
	global_load_b128 v[32:35], v[32:33], off
	global_load_b128 v[36:39], v[36:37], off
	s_wait_loadcnt 0x1
	ds_store_b128 v189, v[32:35]
	s_wait_loadcnt 0x0
	ds_store_b128 v191, v[36:39]
	v_add_co_u32 v32, vcc_lo, s0, v233
	s_wait_alu 0xfffd
	v_add_co_ci_u32_e64 v33, null, s1, v234, vcc_lo
	s_delay_alu instid0(VALU_DEP_2) | instskip(SKIP_1) | instid1(VALU_DEP_2)
	v_add_co_u32 v32, vcc_lo, v32, v240
	s_wait_alu 0xfffd
	v_add_co_ci_u32_e64 v33, null, 0, v33, vcc_lo
	v_add_co_u32 v34, vcc_lo, s0, v235
	s_wait_alu 0xfffd
	v_add_co_ci_u32_e64 v35, null, s1, v236, vcc_lo
	s_delay_alu instid0(VALU_DEP_2) | instskip(SKIP_1) | instid1(VALU_DEP_2)
	v_add_co_u32 v36, vcc_lo, v34, v240
	s_wait_alu 0xfffd
	;; [unrolled: 21-line block ×3, first 2 shown]
	v_add_co_ci_u32_e64 v37, null, 0, v35, vcc_lo
	s_clause 0x1
	global_load_b128 v[32:35], v[32:33], off
	global_load_b128 v[36:39], v[36:37], off
	s_wait_loadcnt 0x1
	ds_store_b128 v192, v[32:35]
	s_wait_loadcnt 0x0
	ds_store_b128 v195, v[36:39]
	v_sub_f32_e32 v32, v97, v64
	s_wait_dscnt 0x0
	s_barrier_signal -1
	s_barrier_wait -1
	global_inv scope:SCOPE_SE
	v_mul_f32_e32 v33, 0x3fb8aa3b, v32
	v_cmp_ngt_f32_e64 s5, 0xc2ce8ed0, v32
	ds_load_2addr_b32 v[48:49], v63 offset0:16 offset1:32
	ds_load_2addr_b32 v[51:52], v239 offset1:16
	ds_load_2addr_b32 v[53:54], v241 offset1:16
	ds_load_2addr_b32 v[55:56], v63 offset0:84 offset1:100
	ds_load_2addr_b32 v[57:58], v238 offset0:136 offset1:152
	;; [unrolled: 1-line block ×3, first 2 shown]
	v_fma_f32 v34, 0x3fb8aa3b, v32, -v33
	v_rndne_f32_e32 v35, v33
	s_delay_alu instid0(VALU_DEP_1) | instskip(SKIP_1) | instid1(VALU_DEP_2)
	v_dual_fmac_f32 v34, 0x32a5705f, v32 :: v_dual_sub_f32 v33, v33, v35
	v_cvt_i32_f32_e32 v35, v35
	v_dual_add_f32 v33, v33, v34 :: v_dual_sub_f32 v34, v96, v64
	s_delay_alu instid0(VALU_DEP_1) | instskip(NEXT) | instid1(VALU_DEP_1)
	v_exp_f32_e32 v33, v33
	v_mul_f32_e32 v36, 0x3fb8aa3b, v34
	s_wait_dscnt 0x2
	v_perm_b32 v50, v56, v49, 0x5040100
	s_delay_alu instid0(VALU_DEP_2) | instskip(SKIP_1) | instid1(TRANS32_DEP_1)
	v_fma_f32 v37, 0x3fb8aa3b, v34, -v36
	v_rndne_f32_e32 v38, v36
	v_ldexp_f32 v33, v33, v35
	s_delay_alu instid0(VALU_DEP_3) | instskip(NEXT) | instid1(VALU_DEP_3)
	v_fmac_f32_e32 v37, 0x32a5705f, v34
	v_sub_f32_e32 v36, v36, v38
	s_wait_alu 0xf1ff
	s_delay_alu instid0(VALU_DEP_3) | instskip(SKIP_1) | instid1(VALU_DEP_3)
	v_cndmask_b32_e64 v33, 0, v33, s5
	v_cmp_nlt_f32_e64 s5, 0x42b17218, v32
	v_dual_add_f32 v36, v36, v37 :: v_dual_sub_f32 v37, v95, v64
	v_add_nc_u32_e32 v95, 0x1000, v238
	s_delay_alu instid0(VALU_DEP_2) | instskip(SKIP_2) | instid1(VALU_DEP_3)
	v_mul_f32_e32 v39, 0x3fb8aa3b, v37
	v_cmp_ngt_f32_e32 vcc_lo, 0xc2ce8ed0, v34
	v_cmp_ngt_f32_e64 s3, 0xc2ce8ed0, v37
	v_fma_f32 v40, 0x3fb8aa3b, v37, -v39
	v_rndne_f32_e32 v41, v39
	s_delay_alu instid0(VALU_DEP_2) | instskip(NEXT) | instid1(VALU_DEP_2)
	v_fmac_f32_e32 v40, 0x32a5705f, v37
	v_sub_f32_e32 v39, v39, v41
	s_delay_alu instid0(VALU_DEP_1)
	v_add_f32_e32 v39, v39, v40
	v_sub_f32_e32 v40, v94, v64
	v_exp_f32_e32 v35, v36
	v_cvt_i32_f32_e32 v36, v38
	v_cvt_i32_f32_e32 v38, v41
	v_add_nc_u32_e32 v94, 0x1000, v241
	v_mul_f32_e32 v42, 0x3fb8aa3b, v40
	v_cmp_ngt_f32_e64 s4, 0xc2ce8ed0, v40
	s_delay_alu instid0(VALU_DEP_2) | instskip(SKIP_1) | instid1(TRANS32_DEP_1)
	v_fma_f32 v43, 0x3fb8aa3b, v40, -v42
	v_rndne_f32_e32 v44, v42
	v_ldexp_f32 v35, v35, v36
	v_exp_f32_e32 v36, v39
	s_delay_alu instid0(VALU_DEP_3) | instskip(NEXT) | instid1(VALU_DEP_3)
	v_fmac_f32_e32 v43, 0x32a5705f, v40
	v_cvt_i32_f32_e32 v39, v44
	s_wait_alu 0xfffd
	v_cndmask_b32_e32 v35, 0, v35, vcc_lo
	v_cmp_nlt_f32_e32 vcc_lo, 0x42b17218, v34
	v_sub_f32_e32 v42, v42, v44
	s_wait_alu 0xf1ff
	v_cndmask_b32_e64 v34, 0x7f800000, v33, s5
	s_wait_alu 0xfffd
	v_cndmask_b32_e32 v35, 0x7f800000, v35, vcc_lo
	v_add_f32_e32 v42, v42, v43
	v_ldexp_f32 v36, v36, v38
	s_delay_alu instid0(VALU_DEP_2) | instskip(NEXT) | instid1(VALU_DEP_1)
	v_exp_f32_e32 v38, v42
	v_cndmask_b32_e64 v36, 0, v36, s3
	v_cmp_nlt_f32_e64 s3, 0x42b17218, v37
	s_wait_alu 0xf1ff
	s_delay_alu instid0(VALU_DEP_1) | instskip(SKIP_1) | instid1(TRANS32_DEP_1)
	v_cndmask_b32_e64 v32, 0x7f800000, v36, s3
	v_cvt_f16_f32_e32 v36, v34
	v_ldexp_f32 v38, v38, v39
	v_cvt_f16_f32_e32 v39, v35
	s_delay_alu instid0(VALU_DEP_2) | instskip(SKIP_1) | instid1(VALU_DEP_3)
	v_cndmask_b32_e64 v37, 0, v38, s4
	v_cmp_nlt_f32_e64 s4, 0x42b17218, v40
	v_pack_b32_f16 v42, v36, v39
	v_sub_f32_e32 v36, v93, v64
	s_wait_alu 0xf1ff
	s_delay_alu instid0(VALU_DEP_3) | instskip(SKIP_1) | instid1(VALU_DEP_2)
	v_cndmask_b32_e64 v33, 0x7f800000, v37, s4
	v_cvt_f16_f32_e32 v37, v32
	v_cvt_f16_f32_e32 v38, v33
	s_delay_alu instid0(VALU_DEP_1) | instskip(SKIP_1) | instid1(VALU_DEP_1)
	v_pack_b32_f16 v43, v37, v38
	v_mul_f32_e32 v37, 0x3fb8aa3b, v36
	v_fma_f32 v38, 0x3fb8aa3b, v36, -v37
	v_rndne_f32_e32 v39, v37
	s_delay_alu instid0(VALU_DEP_1) | instskip(SKIP_1) | instid1(VALU_DEP_2)
	v_dual_fmac_f32 v38, 0x32a5705f, v36 :: v_dual_sub_f32 v37, v37, v39
	v_cvt_i32_f32_e32 v39, v39
	v_dual_add_f32 v37, v37, v38 :: v_dual_sub_f32 v38, v92, v64
	s_delay_alu instid0(VALU_DEP_1) | instskip(NEXT) | instid1(VALU_DEP_1)
	v_exp_f32_e32 v37, v37
	v_mul_f32_e32 v40, 0x3fb8aa3b, v38
	s_delay_alu instid0(VALU_DEP_1) | instskip(SKIP_1) | instid1(TRANS32_DEP_1)
	v_fma_f32 v41, 0x3fb8aa3b, v38, -v40
	v_rndne_f32_e32 v44, v40
	v_ldexp_f32 v37, v37, v39
	s_delay_alu instid0(VALU_DEP_2) | instskip(SKIP_1) | instid1(VALU_DEP_2)
	v_dual_fmac_f32 v41, 0x32a5705f, v38 :: v_dual_sub_f32 v40, v40, v44
	v_cmp_ngt_f32_e32 vcc_lo, 0xc2ce8ed0, v36
	v_add_f32_e32 v40, v40, v41
	s_wait_alu 0xfffd
	v_cndmask_b32_e32 v37, 0, v37, vcc_lo
	v_cmp_nlt_f32_e32 vcc_lo, 0x42b17218, v36
	s_delay_alu instid0(VALU_DEP_3)
	v_exp_f32_e32 v39, v40
	v_cvt_i32_f32_e32 v40, v44
	s_wait_alu 0xfffd
	v_cndmask_b32_e32 v37, 0x7f800000, v37, vcc_lo
	v_cmp_ngt_f32_e64 s3, 0xc2ce8ed0, v38
	s_delay_alu instid0(TRANS32_DEP_1) | instid1(VALU_DEP_3)
	v_ldexp_f32 v39, v39, v40
	s_wait_alu 0xf1ff
	s_delay_alu instid0(VALU_DEP_1) | instskip(SKIP_3) | instid1(VALU_DEP_2)
	v_cndmask_b32_e64 v36, 0, v39, s3
	v_cmp_nlt_f32_e64 s3, 0x42b17218, v38
	v_cvt_f16_f32_e32 v39, v37
	s_wait_alu 0xf1ff
	v_cndmask_b32_e64 v36, 0x7f800000, v36, s3
	s_delay_alu instid0(VALU_DEP_1) | instskip(NEXT) | instid1(VALU_DEP_1)
	v_cvt_f16_f32_e32 v38, v36
	v_pack_b32_f16 v41, v38, v39
	v_sub_f32_e32 v38, v91, v64
	s_delay_alu instid0(VALU_DEP_1) | instskip(NEXT) | instid1(VALU_DEP_1)
	v_mul_f32_e32 v39, 0x3fb8aa3b, v38
	v_fma_f32 v40, 0x3fb8aa3b, v38, -v39
	v_rndne_f32_e32 v44, v39
	s_delay_alu instid0(VALU_DEP_1) | instskip(SKIP_1) | instid1(VALU_DEP_2)
	v_dual_fmac_f32 v40, 0x32a5705f, v38 :: v_dual_sub_f32 v39, v39, v44
	v_cvt_i32_f32_e32 v44, v44
	v_add_f32_e32 v39, v39, v40
	v_sub_f32_e32 v40, v90, v64
	ds_load_2addr_b32 v[61:62], v238 offset1:16
	ds_load_2addr_b32 v[90:91], v238 offset0:68 offset1:84
	v_exp_f32_e32 v39, v39
	v_mul_f32_e32 v45, 0x3fb8aa3b, v40
	s_delay_alu instid0(VALU_DEP_1) | instskip(SKIP_1) | instid1(TRANS32_DEP_1)
	v_fma_f32 v46, 0x3fb8aa3b, v40, -v45
	v_rndne_f32_e32 v47, v45
	v_ldexp_f32 v39, v39, v44
	s_delay_alu instid0(VALU_DEP_2) | instskip(SKIP_1) | instid1(VALU_DEP_2)
	v_dual_fmac_f32 v46, 0x32a5705f, v40 :: v_dual_sub_f32 v45, v45, v47
	v_cmp_ngt_f32_e32 vcc_lo, 0xc2ce8ed0, v38
	v_add_f32_e32 v45, v45, v46
	v_cmp_ngt_f32_e64 s3, 0xc2ce8ed0, v40
	s_wait_alu 0xfffd
	v_cndmask_b32_e32 v39, 0, v39, vcc_lo
	v_cmp_nlt_f32_e32 vcc_lo, 0x42b17218, v38
	v_perm_b32 v46, v55, v48, 0x5040100
	v_exp_f32_e32 v44, v45
	v_cvt_i32_f32_e32 v45, v47
	v_perm_b32 v47, v53, v51, 0x5040100
	s_wait_alu 0xfffd
	v_cndmask_b32_e32 v39, 0x7f800000, v39, vcc_lo
	s_delay_alu instid0(TRANS32_DEP_1) | instid1(VALU_DEP_3)
	v_ldexp_f32 v44, v44, v45
	s_wait_dscnt 0x2
	v_perm_b32 v45, v59, v57, 0x5040100
	s_wait_alu 0xf1ff
	s_delay_alu instid0(VALU_DEP_2) | instskip(SKIP_3) | instid1(VALU_DEP_2)
	v_cndmask_b32_e64 v38, 0, v44, s3
	v_cmp_nlt_f32_e64 s3, 0x42b17218, v40
	v_cvt_f16_f32_e32 v44, v39
	s_wait_alu 0xf1ff
	v_cndmask_b32_e64 v38, 0x7f800000, v38, s3
	s_delay_alu instid0(VALU_DEP_1) | instskip(NEXT) | instid1(VALU_DEP_1)
	v_cvt_f16_f32_e32 v40, v38
	v_pack_b32_f16 v40, v40, v44
	s_wait_dscnt 0x0
	v_perm_b32 v44, v90, v61, 0x5040100
	s_delay_alu instid0(VALU_DEP_1)
	v_wmma_f16_16x16x16_f16 v[0:3], v[44:47], v[40:43], v[0:3]
	v_perm_b32 v44, v90, v61, 0x7060302
	v_perm_b32 v45, v59, v57, 0x7060302
	;; [unrolled: 1-line block ×6, first 2 shown]
	s_delay_alu instid0(VALU_DEP_3)
	v_wmma_f16_16x16x16_f16 v[8:11], v[44:47], v[40:43], v[8:11]
	v_perm_b32 v46, v56, v49, 0x7060302
	v_perm_b32 v49, v60, v58, 0x5040100
	;; [unrolled: 1-line block ×5, first 2 shown]
	s_delay_alu instid0(VALU_DEP_4)
	v_wmma_f16_16x16x16_f16 v[4:7], v[48:51], v[40:43], v[4:7]
	ds_load_2addr_b32 v[51:52], v63 offset0:48 offset1:64
	ds_load_2addr_b32 v[54:55], v63 offset0:116 offset1:132
	;; [unrolled: 1-line block ×4, first 2 shown]
	v_wmma_f16_16x16x16_f16 v[16:19], v[44:47], v[40:43], v[16:19]
	s_wait_dscnt 0x2
	v_perm_b32 v62, v55, v52, 0x5040100
	v_perm_b32 v50, v54, v51, 0x7060302
	s_wait_dscnt 0x0
	v_perm_b32 v49, v60, v58, 0x7060302
	v_perm_b32 v53, v60, v58, 0x5040100
	;; [unrolled: 1-line block ×4, first 2 shown]
	ds_load_2addr_b32 v[59:60], v238 offset0:32 offset1:48
	ds_load_2addr_b32 v[90:91], v238 offset0:100 offset1:116
	v_perm_b32 v58, v55, v52, 0x7060302
	v_perm_b32 v54, v54, v51, 0x5040100
	s_wait_dscnt 0x0
	v_perm_b32 v48, v90, v59, 0x7060302
	v_perm_b32 v52, v90, v59, 0x5040100
	;; [unrolled: 1-line block ×4, first 2 shown]
	ds_load_2addr_b32 v[90:91], v239 offset0:32 offset1:48
	ds_load_2addr_b32 v[92:93], v241 offset0:32 offset1:48
	s_wait_dscnt 0x0
	v_perm_b32 v55, v92, v90, 0x5040100
	v_perm_b32 v51, v92, v90, 0x7060302
	;; [unrolled: 1-line block ×4, first 2 shown]
	v_add_nc_u32_e32 v93, 0x1000, v239
	v_wmma_f16_16x16x16_f16 v[12:15], v[52:55], v[40:43], v[12:15]
	v_wmma_f16_16x16x16_f16 v[24:27], v[48:51], v[40:43], v[24:27]
	;; [unrolled: 1-line block ×4, first 2 shown]
	v_sub_f32_e32 v40, v89, v64
	v_add_f32_e32 v38, v38, v39
	v_add_nc_u32_e32 v92, 0x1400, v238
	s_delay_alu instid0(VALU_DEP_3) | instskip(SKIP_1) | instid1(VALU_DEP_4)
	v_mul_f32_e32 v41, 0x3fb8aa3b, v40
	v_cmp_ngt_f32_e64 s5, 0xc2ce8ed0, v40
	v_add_f32_e32 v36, v36, v38
	s_delay_alu instid0(VALU_DEP_3) | instskip(SKIP_1) | instid1(VALU_DEP_3)
	v_fma_f32 v42, 0x3fb8aa3b, v40, -v41
	v_rndne_f32_e32 v43, v41
	v_add_f32_e32 v36, v37, v36
	s_delay_alu instid0(VALU_DEP_2) | instskip(SKIP_1) | instid1(VALU_DEP_2)
	v_dual_fmac_f32 v42, 0x32a5705f, v40 :: v_dual_sub_f32 v41, v41, v43
	v_cvt_i32_f32_e32 v43, v43
	v_dual_add_f32 v34, v34, v36 :: v_dual_add_f32 v41, v41, v42
	v_sub_f32_e32 v42, v88, v64
	s_delay_alu instid0(VALU_DEP_2) | instskip(NEXT) | instid1(VALU_DEP_3)
	v_add_f32_e32 v34, v35, v34
	v_exp_f32_e32 v41, v41
	s_delay_alu instid0(VALU_DEP_2) | instskip(SKIP_1) | instid1(VALU_DEP_3)
	v_mul_f32_e32 v44, 0x3fb8aa3b, v42
	v_cmp_ngt_f32_e32 vcc_lo, 0xc2ce8ed0, v42
	v_add_f32_e32 v32, v32, v34
	s_delay_alu instid0(VALU_DEP_3) | instskip(SKIP_1) | instid1(VALU_DEP_3)
	v_fma_f32 v45, 0x3fb8aa3b, v42, -v44
	v_rndne_f32_e32 v46, v44
	v_add_f32_e32 v32, v33, v32
	s_delay_alu instid0(TRANS32_DEP_1) | instskip(NEXT) | instid1(VALU_DEP_4)
	v_ldexp_f32 v41, v41, v43
	v_fmac_f32_e32 v45, 0x32a5705f, v42
	s_delay_alu instid0(VALU_DEP_4) | instskip(SKIP_1) | instid1(VALU_DEP_3)
	v_sub_f32_e32 v44, v44, v46
	s_wait_alu 0xf1ff
	v_cndmask_b32_e64 v41, 0, v41, s5
	v_cmp_nlt_f32_e64 s5, 0x42b17218, v40
	s_delay_alu instid0(VALU_DEP_3) | instskip(NEXT) | instid1(VALU_DEP_1)
	v_add_f32_e32 v44, v44, v45
	v_exp_f32_e32 v43, v44
	v_cvt_i32_f32_e32 v44, v46
	s_delay_alu instid0(TRANS32_DEP_1) | instid1(VALU_DEP_1)
	v_ldexp_f32 v43, v43, v44
	s_wait_alu 0xfffd
	s_delay_alu instid0(VALU_DEP_1) | instskip(SKIP_2) | instid1(VALU_DEP_3)
	v_dual_sub_f32 v44, v87, v64 :: v_dual_cndmask_b32 v43, 0, v43
	v_cmp_nlt_f32_e32 vcc_lo, 0x42b17218, v42
	v_sub_f32_e32 v42, v86, v64
	v_mul_f32_e32 v45, 0x3fb8aa3b, v44
	v_cmp_ngt_f32_e64 s3, 0xc2ce8ed0, v44
	s_wait_alu 0xfffd
	v_cndmask_b32_e32 v43, 0x7f800000, v43, vcc_lo
	v_cmp_ngt_f32_e64 s4, 0xc2ce8ed0, v42
	v_fma_f32 v46, 0x3fb8aa3b, v44, -v45
	v_rndne_f32_e32 v47, v45
	s_delay_alu instid0(VALU_DEP_1) | instskip(SKIP_1) | instid1(VALU_DEP_2)
	v_dual_fmac_f32 v46, 0x32a5705f, v44 :: v_dual_sub_f32 v45, v45, v47
	v_cvt_i32_f32_e32 v47, v47
	v_add_f32_e32 v45, v45, v46
	v_mul_f32_e32 v46, 0x3fb8aa3b, v42
	s_delay_alu instid0(VALU_DEP_1) | instskip(SKIP_1) | instid1(VALU_DEP_2)
	v_fma_f32 v48, 0x3fb8aa3b, v42, -v46
	v_rndne_f32_e32 v49, v46
	v_fmac_f32_e32 v48, 0x32a5705f, v42
	s_delay_alu instid0(VALU_DEP_2) | instskip(SKIP_1) | instid1(VALU_DEP_1)
	v_sub_f32_e32 v46, v46, v49
	v_exp_f32_e32 v45, v45
	v_add_f32_e32 v46, v46, v48
	s_delay_alu instid0(VALU_DEP_1) | instskip(NEXT) | instid1(TRANS32_DEP_2)
	v_exp_f32_e32 v46, v46
	v_ldexp_f32 v45, v45, v47
	v_cvt_i32_f32_e32 v47, v49
	s_wait_alu 0xf1ff
	s_delay_alu instid0(VALU_DEP_2)
	v_cndmask_b32_e64 v45, 0, v45, s3
	v_cmp_nlt_f32_e64 s3, 0x42b17218, v44
	s_delay_alu instid0(TRANS32_DEP_1) | instid1(VALU_DEP_3)
	v_ldexp_f32 v46, v46, v47
	v_cvt_f16_f32_e32 v47, v43
	s_wait_alu 0xf1ff
	s_delay_alu instid0(VALU_DEP_3) | instskip(NEXT) | instid1(VALU_DEP_3)
	v_cndmask_b32_e64 v40, 0x7f800000, v45, s3
	v_cndmask_b32_e64 v44, 0, v46, s4
	v_cmp_nlt_f32_e64 s4, 0x42b17218, v42
	v_cndmask_b32_e64 v42, 0x7f800000, v41, s5
	s_delay_alu instid0(VALU_DEP_4) | instskip(SKIP_1) | instid1(VALU_DEP_3)
	v_cvt_f16_f32_e32 v45, v40
	s_wait_alu 0xf1ff
	v_cndmask_b32_e64 v41, 0x7f800000, v44, s4
	s_delay_alu instid0(VALU_DEP_3) | instskip(NEXT) | instid1(VALU_DEP_2)
	v_cvt_f16_f32_e32 v44, v42
	v_cvt_f16_f32_e32 v46, v41
	s_delay_alu instid0(VALU_DEP_2) | instskip(SKIP_1) | instid1(VALU_DEP_3)
	v_pack_b32_f16 v50, v44, v47
	v_sub_f32_e32 v44, v85, v64
	v_pack_b32_f16 v51, v45, v46
	s_delay_alu instid0(VALU_DEP_2) | instskip(NEXT) | instid1(VALU_DEP_1)
	v_mul_f32_e32 v45, 0x3fb8aa3b, v44
	v_fma_f32 v46, 0x3fb8aa3b, v44, -v45
	v_rndne_f32_e32 v47, v45
	s_delay_alu instid0(VALU_DEP_1) | instskip(SKIP_1) | instid1(VALU_DEP_2)
	v_dual_fmac_f32 v46, 0x32a5705f, v44 :: v_dual_sub_f32 v45, v45, v47
	v_cvt_i32_f32_e32 v47, v47
	v_dual_add_f32 v45, v45, v46 :: v_dual_sub_f32 v46, v84, v64
	s_delay_alu instid0(VALU_DEP_1) | instskip(NEXT) | instid1(VALU_DEP_1)
	v_exp_f32_e32 v45, v45
	v_mul_f32_e32 v48, 0x3fb8aa3b, v46
	v_cmp_ngt_f32_e64 s3, 0xc2ce8ed0, v46
	s_delay_alu instid0(VALU_DEP_2) | instskip(SKIP_1) | instid1(TRANS32_DEP_1)
	v_fma_f32 v49, 0x3fb8aa3b, v46, -v48
	v_rndne_f32_e32 v52, v48
	v_ldexp_f32 v45, v45, v47
	s_delay_alu instid0(VALU_DEP_3) | instskip(SKIP_2) | instid1(VALU_DEP_3)
	v_fmac_f32_e32 v49, 0x32a5705f, v46
	v_cmp_ngt_f32_e32 vcc_lo, 0xc2ce8ed0, v44
	s_wait_alu 0xfffd
	v_cndmask_b32_e32 v45, 0, v45, vcc_lo
	v_cmp_nlt_f32_e32 vcc_lo, 0x42b17218, v44
	s_wait_alu 0xfffd
	s_delay_alu instid0(VALU_DEP_2) | instskip(NEXT) | instid1(VALU_DEP_1)
	v_dual_sub_f32 v48, v48, v52 :: v_dual_cndmask_b32 v45, 0x7f800000, v45
	v_add_f32_e32 v48, v48, v49
	s_delay_alu instid0(VALU_DEP_1)
	v_exp_f32_e32 v47, v48
	v_cvt_i32_f32_e32 v48, v52
	s_delay_alu instid0(TRANS32_DEP_1) | instid1(VALU_DEP_1)
	v_ldexp_f32 v47, v47, v48
	s_wait_alu 0xf1ff
	s_delay_alu instid0(VALU_DEP_1) | instskip(SKIP_3) | instid1(VALU_DEP_2)
	v_cndmask_b32_e64 v44, 0, v47, s3
	v_cmp_nlt_f32_e64 s3, 0x42b17218, v46
	v_cvt_f16_f32_e32 v47, v45
	s_wait_alu 0xf1ff
	v_cndmask_b32_e64 v44, 0x7f800000, v44, s3
	s_delay_alu instid0(VALU_DEP_1) | instskip(NEXT) | instid1(VALU_DEP_1)
	v_cvt_f16_f32_e32 v46, v44
	v_pack_b32_f16 v49, v46, v47
	v_sub_f32_e32 v46, v83, v64
	s_delay_alu instid0(VALU_DEP_1) | instskip(NEXT) | instid1(VALU_DEP_1)
	v_mul_f32_e32 v47, 0x3fb8aa3b, v46
	v_fma_f32 v48, 0x3fb8aa3b, v46, -v47
	v_rndne_f32_e32 v52, v47
	s_delay_alu instid0(VALU_DEP_1) | instskip(SKIP_1) | instid1(VALU_DEP_2)
	v_dual_fmac_f32 v48, 0x32a5705f, v46 :: v_dual_sub_f32 v47, v47, v52
	v_cvt_i32_f32_e32 v52, v52
	v_add_f32_e32 v47, v47, v48
	v_sub_f32_e32 v48, v82, v64
	ds_load_2addr_b32 v[56:57], v92 offset0:80 offset1:96
	ds_load_2addr_b32 v[59:60], v93 offset0:64 offset1:80
	;; [unrolled: 1-line block ×8, first 2 shown]
	v_exp_f32_e32 v47, v47
	v_mul_f32_e32 v53, 0x3fb8aa3b, v48
	s_delay_alu instid0(VALU_DEP_1) | instskip(SKIP_1) | instid1(TRANS32_DEP_1)
	v_fma_f32 v54, 0x3fb8aa3b, v48, -v53
	v_rndne_f32_e32 v55, v53
	v_ldexp_f32 v47, v47, v52
	s_delay_alu instid0(VALU_DEP_2)
	v_sub_f32_e32 v53, v53, v55
	v_cmp_ngt_f32_e32 vcc_lo, 0xc2ce8ed0, v46
	v_fmac_f32_e32 v54, 0x32a5705f, v48
	s_wait_dscnt 0x4
	v_perm_b32 v58, v83, v57, 0x5040100
	s_wait_alu 0xfffd
	v_cndmask_b32_e32 v47, 0, v47, vcc_lo
	v_add_f32_e32 v53, v53, v54
	v_cmp_ngt_f32_e64 s3, 0xc2ce8ed0, v48
	v_cmp_nlt_f32_e32 vcc_lo, 0x42b17218, v46
	v_perm_b32 v54, v82, v56, 0x5040100
	s_delay_alu instid0(VALU_DEP_4)
	v_exp_f32_e32 v52, v53
	v_cvt_i32_f32_e32 v53, v55
	s_wait_alu 0xfffd
	v_cndmask_b32_e32 v47, 0x7f800000, v47, vcc_lo
	v_perm_b32 v55, v61, v59, 0x5040100
	s_delay_alu instid0(TRANS32_DEP_1) | instid1(VALU_DEP_3)
	v_ldexp_f32 v52, v52, v53
	s_wait_dscnt 0x2
	v_perm_b32 v53, v86, v84, 0x5040100
	s_wait_alu 0xf1ff
	s_delay_alu instid0(VALU_DEP_2) | instskip(SKIP_3) | instid1(VALU_DEP_2)
	v_cndmask_b32_e64 v46, 0, v52, s3
	v_cmp_nlt_f32_e64 s3, 0x42b17218, v48
	v_cvt_f16_f32_e32 v52, v47
	s_wait_alu 0xf1ff
	v_cndmask_b32_e64 v46, 0x7f800000, v46, s3
	s_delay_alu instid0(VALU_DEP_1) | instskip(SKIP_1) | instid1(VALU_DEP_2)
	v_cvt_f16_f32_e32 v48, v46
	v_add_f32_e32 v32, v46, v32
	v_pack_b32_f16 v48, v48, v52
	s_wait_dscnt 0x0
	v_perm_b32 v52, v90, v88, 0x5040100
	s_delay_alu instid0(VALU_DEP_1)
	v_wmma_f16_16x16x16_f16 v[0:3], v[52:55], v[48:51], v[0:3]
	v_perm_b32 v52, v90, v88, 0x7060302
	v_perm_b32 v53, v86, v84, 0x7060302
	;; [unrolled: 1-line block ×6, first 2 shown]
	s_delay_alu instid0(VALU_DEP_3)
	v_wmma_f16_16x16x16_f16 v[8:11], v[52:55], v[48:51], v[8:11]
	v_perm_b32 v54, v83, v57, 0x7060302
	v_perm_b32 v57, v87, v85, 0x5040100
	;; [unrolled: 1-line block ×5, first 2 shown]
	s_delay_alu instid0(VALU_DEP_4)
	v_wmma_f16_16x16x16_f16 v[4:7], v[56:59], v[48:51], v[4:7]
	ds_load_2addr_b32 v[59:60], v92 offset0:44 offset1:60
	ds_load_2addr_b32 v[62:63], v92 offset0:112 offset1:128
	;; [unrolled: 1-line block ×4, first 2 shown]
	v_wmma_f16_16x16x16_f16 v[16:19], v[52:55], v[48:51], v[16:19]
	s_wait_dscnt 0x1
	v_perm_b32 v58, v84, v62, 0x7060302
	s_wait_dscnt 0x0
	v_perm_b32 v57, v59, v86, 0x7060302
	v_perm_b32 v62, v84, v62, 0x5040100
	;; [unrolled: 1-line block ×5, first 2 shown]
	ds_load_2addr_b32 v[85:86], v95 offset0:96 offset1:112
	ds_load_2addr_b32 v[89:90], v95 offset0:164 offset1:180
	v_perm_b32 v83, v60, v87, 0x7060302
	v_perm_b32 v87, v60, v87, 0x5040100
	v_add_nc_u32_e32 v95, 0x2000, v238
	s_wait_dscnt 0x0
	v_perm_b32 v56, v89, v85, 0x7060302
	v_perm_b32 v60, v89, v85, 0x5040100
	;; [unrolled: 1-line block ×4, first 2 shown]
	ds_load_2addr_b32 v[89:90], v93 offset0:96 offset1:112
	ds_load_2addr_b32 v[91:92], v94 offset0:96 offset1:112
	v_add_nc_u32_e32 v93, 0x2000, v239
	v_add_nc_u32_e32 v94, 0x2000, v241
	s_wait_dscnt 0x0
	v_perm_b32 v63, v91, v89, 0x5040100
	v_perm_b32 v59, v91, v89, 0x7060302
	;; [unrolled: 1-line block ×4, first 2 shown]
	s_delay_alu instid0(VALU_DEP_4) | instskip(NEXT) | instid1(VALU_DEP_4)
	v_wmma_f16_16x16x16_f16 v[12:15], v[60:63], v[48:51], v[12:15]
	v_wmma_f16_16x16x16_f16 v[24:27], v[56:59], v[48:51], v[24:27]
	s_delay_alu instid0(VALU_DEP_4) | instskip(NEXT) | instid1(VALU_DEP_4)
	v_wmma_f16_16x16x16_f16 v[20:23], v[86:89], v[48:51], v[20:23]
	v_wmma_f16_16x16x16_f16 v[28:31], v[82:85], v[48:51], v[28:31]
	v_sub_f32_e32 v48, v81, v64
	v_add_nc_u32_e32 v84, 0x2400, v238
	v_add_f32_e32 v32, v47, v32
	s_delay_alu instid0(VALU_DEP_3) | instskip(SKIP_1) | instid1(VALU_DEP_3)
	v_mul_f32_e32 v49, 0x3fb8aa3b, v48
	v_cmp_ngt_f32_e64 s5, 0xc2ce8ed0, v48
	v_add_f32_e32 v32, v44, v32
	s_delay_alu instid0(VALU_DEP_3) | instskip(SKIP_1) | instid1(VALU_DEP_3)
	v_fma_f32 v50, 0x3fb8aa3b, v48, -v49
	v_rndne_f32_e32 v51, v49
	v_add_f32_e32 v32, v45, v32
	s_delay_alu instid0(VALU_DEP_2) | instskip(SKIP_1) | instid1(VALU_DEP_2)
	v_dual_fmac_f32 v50, 0x32a5705f, v48 :: v_dual_sub_f32 v49, v49, v51
	v_cvt_i32_f32_e32 v51, v51
	v_dual_add_f32 v32, v42, v32 :: v_dual_add_f32 v49, v49, v50
	v_sub_f32_e32 v50, v80, v64
	s_delay_alu instid0(VALU_DEP_2) | instskip(NEXT) | instid1(VALU_DEP_3)
	v_add_f32_e32 v32, v43, v32
	v_exp_f32_e32 v49, v49
	s_delay_alu instid0(VALU_DEP_2) | instskip(SKIP_1) | instid1(VALU_DEP_3)
	v_mul_f32_e32 v52, 0x3fb8aa3b, v50
	v_cmp_ngt_f32_e32 vcc_lo, 0xc2ce8ed0, v50
	v_add_f32_e32 v32, v40, v32
	s_delay_alu instid0(VALU_DEP_3) | instskip(SKIP_1) | instid1(VALU_DEP_3)
	v_fma_f32 v53, 0x3fb8aa3b, v50, -v52
	v_rndne_f32_e32 v54, v52
	v_add_f32_e32 v32, v41, v32
	s_delay_alu instid0(TRANS32_DEP_1) | instskip(NEXT) | instid1(VALU_DEP_4)
	v_ldexp_f32 v49, v49, v51
	v_fmac_f32_e32 v53, 0x32a5705f, v50
	s_delay_alu instid0(VALU_DEP_4) | instskip(SKIP_1) | instid1(VALU_DEP_3)
	v_sub_f32_e32 v52, v52, v54
	s_wait_alu 0xf1ff
	v_cndmask_b32_e64 v49, 0, v49, s5
	v_cmp_nlt_f32_e64 s5, 0x42b17218, v48
	s_delay_alu instid0(VALU_DEP_3) | instskip(SKIP_1) | instid1(VALU_DEP_2)
	v_add_f32_e32 v52, v52, v53
	s_wait_alu 0xf1ff
	v_cndmask_b32_e64 v85, 0x7f800000, v49, s5
	s_delay_alu instid0(VALU_DEP_2) | instskip(SKIP_1) | instid1(VALU_DEP_2)
	v_exp_f32_e32 v51, v52
	v_cvt_i32_f32_e32 v52, v54
	v_cvt_f16_f32_e32 v48, v85
	s_delay_alu instid0(TRANS32_DEP_1) | instid1(VALU_DEP_2)
	v_ldexp_f32 v51, v51, v52
	s_wait_alu 0xfffd
	s_delay_alu instid0(VALU_DEP_1) | instskip(SKIP_2) | instid1(VALU_DEP_3)
	v_dual_sub_f32 v52, v79, v64 :: v_dual_cndmask_b32 v51, 0, v51
	v_cmp_nlt_f32_e32 vcc_lo, 0x42b17218, v50
	v_sub_f32_e32 v50, v78, v64
	v_mul_f32_e32 v53, 0x3fb8aa3b, v52
	v_cmp_ngt_f32_e64 s3, 0xc2ce8ed0, v52
	s_wait_alu 0xfffd
	v_cndmask_b32_e32 v88, 0x7f800000, v51, vcc_lo
	v_cmp_ngt_f32_e64 s4, 0xc2ce8ed0, v50
	v_fma_f32 v54, 0x3fb8aa3b, v52, -v53
	v_rndne_f32_e32 v55, v53
	s_delay_alu instid0(VALU_DEP_1) | instskip(SKIP_1) | instid1(VALU_DEP_2)
	v_dual_fmac_f32 v54, 0x32a5705f, v52 :: v_dual_sub_f32 v53, v53, v55
	v_cvt_i32_f32_e32 v55, v55
	v_add_f32_e32 v53, v53, v54
	v_mul_f32_e32 v54, 0x3fb8aa3b, v50
	s_delay_alu instid0(VALU_DEP_1) | instskip(SKIP_1) | instid1(VALU_DEP_2)
	v_fma_f32 v56, 0x3fb8aa3b, v50, -v54
	v_rndne_f32_e32 v57, v54
	v_fmac_f32_e32 v56, 0x32a5705f, v50
	s_delay_alu instid0(VALU_DEP_2) | instskip(SKIP_1) | instid1(VALU_DEP_1)
	v_sub_f32_e32 v54, v54, v57
	v_exp_f32_e32 v53, v53
	v_add_f32_e32 v54, v54, v56
	s_delay_alu instid0(VALU_DEP_1) | instskip(NEXT) | instid1(TRANS32_DEP_2)
	v_exp_f32_e32 v54, v54
	v_ldexp_f32 v53, v53, v55
	v_cvt_i32_f32_e32 v55, v57
	s_wait_alu 0xf1ff
	s_delay_alu instid0(VALU_DEP_2)
	v_cndmask_b32_e64 v53, 0, v53, s3
	v_cmp_nlt_f32_e64 s3, 0x42b17218, v52
	s_delay_alu instid0(TRANS32_DEP_1) | instid1(VALU_DEP_3)
	v_ldexp_f32 v54, v54, v55
	s_wait_alu 0xf1ff
	s_delay_alu instid0(VALU_DEP_2) | instskip(NEXT) | instid1(VALU_DEP_2)
	v_cndmask_b32_e64 v86, 0x7f800000, v53, s3
	v_cndmask_b32_e64 v52, 0, v54, s4
	v_cmp_nlt_f32_e64 s4, 0x42b17218, v50
	s_delay_alu instid0(VALU_DEP_3) | instskip(SKIP_1) | instid1(VALU_DEP_2)
	v_cvt_f16_f32_e32 v49, v86
	s_wait_alu 0xf1ff
	v_cndmask_b32_e64 v87, 0x7f800000, v52, s4
	v_cvt_f16_f32_e32 v52, v88
	s_delay_alu instid0(VALU_DEP_2) | instskip(NEXT) | instid1(VALU_DEP_1)
	v_cvt_f16_f32_e32 v50, v87
	v_pack_b32_f16 v51, v49, v50
	s_delay_alu instid0(VALU_DEP_3) | instskip(SKIP_1) | instid1(VALU_DEP_1)
	v_pack_b32_f16 v50, v48, v52
	v_sub_f32_e32 v48, v77, v64
	v_mul_f32_e32 v49, 0x3fb8aa3b, v48
	v_cmp_ngt_f32_e32 vcc_lo, 0xc2ce8ed0, v48
	s_delay_alu instid0(VALU_DEP_2) | instskip(SKIP_1) | instid1(VALU_DEP_1)
	v_fma_f32 v52, 0x3fb8aa3b, v48, -v49
	v_rndne_f32_e32 v53, v49
	v_dual_fmac_f32 v52, 0x32a5705f, v48 :: v_dual_sub_f32 v49, v49, v53
	v_cvt_i32_f32_e32 v53, v53
	s_delay_alu instid0(VALU_DEP_2) | instskip(SKIP_1) | instid1(VALU_DEP_2)
	v_add_f32_e32 v49, v49, v52
	v_sub_f32_e32 v52, v76, v64
	v_exp_f32_e32 v49, v49
	s_delay_alu instid0(VALU_DEP_1) | instskip(SKIP_1) | instid1(VALU_DEP_2)
	v_mul_f32_e32 v54, 0x3fb8aa3b, v52
	v_cmp_ngt_f32_e64 s3, 0xc2ce8ed0, v52
	v_fma_f32 v55, 0x3fb8aa3b, v52, -v54
	v_rndne_f32_e32 v56, v54
	s_delay_alu instid0(TRANS32_DEP_1) | instskip(NEXT) | instid1(VALU_DEP_3)
	v_ldexp_f32 v49, v49, v53
	v_fmac_f32_e32 v55, 0x32a5705f, v52
	s_wait_alu 0xfffd
	s_delay_alu instid0(VALU_DEP_2) | instskip(SKIP_1) | instid1(VALU_DEP_2)
	v_dual_sub_f32 v54, v54, v56 :: v_dual_cndmask_b32 v49, 0, v49
	v_cmp_nlt_f32_e32 vcc_lo, 0x42b17218, v48
	v_add_f32_e32 v54, v54, v55
	s_wait_alu 0xfffd
	s_delay_alu instid0(VALU_DEP_3) | instskip(NEXT) | instid1(VALU_DEP_2)
	v_cndmask_b32_e32 v90, 0x7f800000, v49, vcc_lo
	v_exp_f32_e32 v53, v54
	v_cvt_i32_f32_e32 v54, v56
	s_delay_alu instid0(VALU_DEP_2)
	v_cvt_f16_f32_e32 v49, v90
	s_delay_alu instid0(TRANS32_DEP_1) | instid1(VALU_DEP_2)
	v_ldexp_f32 v53, v53, v54
	s_wait_alu 0xf1ff
	s_delay_alu instid0(VALU_DEP_1) | instskip(SKIP_2) | instid1(VALU_DEP_1)
	v_cndmask_b32_e64 v48, 0, v53, s3
	v_cmp_nlt_f32_e64 s3, 0x42b17218, v52
	s_wait_alu 0xf1ff
	v_cndmask_b32_e64 v89, 0x7f800000, v48, s3
	s_delay_alu instid0(VALU_DEP_1) | instskip(NEXT) | instid1(VALU_DEP_1)
	v_cvt_f16_f32_e32 v48, v89
	v_pack_b32_f16 v49, v48, v49
	v_sub_f32_e32 v48, v75, v64
	s_delay_alu instid0(VALU_DEP_1) | instskip(SKIP_1) | instid1(VALU_DEP_2)
	v_mul_f32_e32 v52, 0x3fb8aa3b, v48
	v_cmp_ngt_f32_e32 vcc_lo, 0xc2ce8ed0, v48
	v_fma_f32 v53, 0x3fb8aa3b, v48, -v52
	v_rndne_f32_e32 v54, v52
	s_delay_alu instid0(VALU_DEP_1) | instskip(SKIP_1) | instid1(VALU_DEP_2)
	v_dual_fmac_f32 v53, 0x32a5705f, v48 :: v_dual_sub_f32 v52, v52, v54
	v_cvt_i32_f32_e32 v54, v54
	v_dual_add_f32 v52, v52, v53 :: v_dual_sub_f32 v53, v74, v64
	s_delay_alu instid0(VALU_DEP_1) | instskip(SKIP_1) | instid1(VALU_DEP_2)
	v_mul_f32_e32 v55, 0x3fb8aa3b, v53
	v_cmp_ngt_f32_e64 s3, 0xc2ce8ed0, v53
	v_fma_f32 v56, 0x3fb8aa3b, v53, -v55
	v_rndne_f32_e32 v57, v55
	s_delay_alu instid0(VALU_DEP_2) | instskip(NEXT) | instid1(VALU_DEP_2)
	v_fmac_f32_e32 v56, 0x32a5705f, v53
	v_sub_f32_e32 v55, v55, v57
	s_delay_alu instid0(VALU_DEP_1) | instskip(SKIP_1) | instid1(TRANS32_DEP_1)
	v_add_f32_e32 v55, v55, v56
	v_exp_f32_e32 v52, v52
	v_ldexp_f32 v52, v52, v54
	s_delay_alu instid0(VALU_DEP_2)
	v_exp_f32_e32 v54, v55
	v_cvt_i32_f32_e32 v55, v57
	ds_load_2addr_b32 v[56:57], v84 offset0:144 offset1:160
	ds_load_2addr_b32 v[59:60], v93 offset0:128 offset1:144
	;; [unrolled: 1-line block ×8, first 2 shown]
	s_wait_alu 0xfffd
	v_cndmask_b32_e32 v52, 0, v52, vcc_lo
	v_cmp_nlt_f32_e32 vcc_lo, 0x42b17218, v48
	v_ldexp_f32 v54, v54, v55
	s_wait_alu 0xfffd
	s_delay_alu instid0(VALU_DEP_3) | instskip(SKIP_1) | instid1(VALU_DEP_2)
	v_cndmask_b32_e32 v92, 0x7f800000, v52, vcc_lo
	s_wait_alu 0xf1ff
	v_cndmask_b32_e64 v48, 0, v54, s3
	v_cmp_nlt_f32_e64 s3, 0x42b17218, v53
	s_delay_alu instid0(VALU_DEP_3) | instskip(SKIP_1) | instid1(VALU_DEP_2)
	v_cvt_f16_f32_e32 v52, v92
	s_wait_alu 0xf1ff
	v_cndmask_b32_e64 v91, 0x7f800000, v48, s3
	s_wait_dscnt 0x5
	v_perm_b32 v55, v61, v59, 0x5040100
	s_wait_dscnt 0x4
	v_perm_b32 v54, v74, v56, 0x5040100
	;; [unrolled: 2-line block ×3, first 2 shown]
	v_perm_b32 v58, v75, v57, 0x5040100
	v_cvt_f16_f32_e32 v48, v91
	v_add_f32_e32 v32, v91, v32
	s_delay_alu instid0(VALU_DEP_2) | instskip(SKIP_2) | instid1(VALU_DEP_1)
	v_pack_b32_f16 v48, v48, v52
	s_wait_dscnt 0x0
	v_perm_b32 v52, v82, v80, 0x5040100
	v_wmma_f16_16x16x16_f16 v[0:3], v[52:55], v[48:51], v[0:3]
	v_perm_b32 v52, v82, v80, 0x7060302
	v_perm_b32 v53, v78, v76, 0x7060302
	;; [unrolled: 1-line block ×6, first 2 shown]
	s_delay_alu instid0(VALU_DEP_3)
	v_wmma_f16_16x16x16_f16 v[8:11], v[52:55], v[48:51], v[8:11]
	v_perm_b32 v54, v75, v57, 0x7060302
	v_perm_b32 v57, v79, v77, 0x5040100
	;; [unrolled: 1-line block ×5, first 2 shown]
	s_delay_alu instid0(VALU_DEP_4)
	v_wmma_f16_16x16x16_f16 v[4:7], v[56:59], v[48:51], v[4:7]
	v_add_nc_u32_e32 v56, 0x2600, v238
	ds_load_2addr_b32 v[59:60], v56 offset0:116 offset1:132
	ds_load_2addr_b32 v[62:63], v84 offset0:40 offset1:56
	;; [unrolled: 1-line block ×4, first 2 shown]
	v_wmma_f16_16x16x16_f16 v[16:19], v[52:55], v[48:51], v[16:19]
	s_wait_dscnt 0x1
	v_perm_b32 v58, v59, v76, 0x5040100
	s_wait_dscnt 0x0
	v_perm_b32 v57, v78, v62, 0x5040100
	v_perm_b32 v61, v78, v62, 0x7060302
	;; [unrolled: 1-line block ×5, first 2 shown]
	ds_load_2addr_b32 v[77:78], v95 offset0:160 offset1:176
	ds_load_2addr_b32 v[81:82], v95 offset0:228 offset1:244
	v_perm_b32 v75, v79, v63, 0x7060302
	v_perm_b32 v79, v79, v63, 0x5040100
	s_wait_dscnt 0x0
	v_perm_b32 v60, v81, v77, 0x7060302
	v_perm_b32 v56, v81, v77, 0x5040100
	;; [unrolled: 1-line block ×4, first 2 shown]
	ds_load_2addr_b32 v[81:82], v93 offset0:160 offset1:176
	ds_load_2addr_b32 v[83:84], v94 offset0:160 offset1:176
	v_add_nc_u32_e32 v93, 0x3800, v238
	v_add_nc_u32_e32 v94, 0x3000, v238
	s_wait_dscnt 0x0
	v_perm_b32 v59, v83, v81, 0x5040100
	v_perm_b32 v63, v83, v81, 0x7060302
	;; [unrolled: 1-line block ×4, first 2 shown]
	s_delay_alu instid0(VALU_DEP_4) | instskip(NEXT) | instid1(VALU_DEP_4)
	v_wmma_f16_16x16x16_f16 v[12:15], v[56:59], v[48:51], v[12:15]
	v_wmma_f16_16x16x16_f16 v[24:27], v[60:63], v[48:51], v[24:27]
	s_delay_alu instid0(VALU_DEP_4) | instskip(NEXT) | instid1(VALU_DEP_4)
	v_wmma_f16_16x16x16_f16 v[20:23], v[78:81], v[48:51], v[20:23]
	v_wmma_f16_16x16x16_f16 v[28:31], v[74:77], v[48:51], v[28:31]
	v_dual_sub_f32 v48, v73, v64 :: v_dual_add_nc_u32 v75, 0x3000, v239
	v_add_nc_u32_e32 v74, 0x3400, v238
	v_add_nc_u32_e32 v76, 0x3000, v241
	s_delay_alu instid0(VALU_DEP_3) | instskip(NEXT) | instid1(VALU_DEP_1)
	v_mul_f32_e32 v49, 0x3fb8aa3b, v48
	v_fma_f32 v50, 0x3fb8aa3b, v48, -v49
	v_rndne_f32_e32 v51, v49
	s_delay_alu instid0(VALU_DEP_1) | instskip(SKIP_1) | instid1(VALU_DEP_2)
	v_dual_fmac_f32 v50, 0x32a5705f, v48 :: v_dual_sub_f32 v49, v49, v51
	v_cvt_i32_f32_e32 v51, v51
	v_dual_add_f32 v49, v49, v50 :: v_dual_sub_f32 v50, v72, v64
	s_delay_alu instid0(VALU_DEP_1) | instskip(NEXT) | instid1(VALU_DEP_1)
	v_exp_f32_e32 v49, v49
	v_mul_f32_e32 v52, 0x3fb8aa3b, v50
	v_cmp_ngt_f32_e32 vcc_lo, 0xc2ce8ed0, v50
	s_delay_alu instid0(VALU_DEP_2) | instskip(SKIP_1) | instid1(TRANS32_DEP_1)
	v_fma_f32 v53, 0x3fb8aa3b, v50, -v52
	v_rndne_f32_e32 v54, v52
	v_ldexp_f32 v49, v49, v51
	s_delay_alu instid0(VALU_DEP_3) | instskip(NEXT) | instid1(VALU_DEP_3)
	v_fmac_f32_e32 v53, 0x32a5705f, v50
	v_sub_f32_e32 v52, v52, v54
	s_delay_alu instid0(VALU_DEP_1) | instskip(NEXT) | instid1(VALU_DEP_1)
	v_add_f32_e32 v52, v52, v53
	v_exp_f32_e32 v51, v52
	v_cvt_i32_f32_e32 v52, v54
	s_delay_alu instid0(TRANS32_DEP_1) | instid1(VALU_DEP_1)
	v_ldexp_f32 v51, v51, v52
	s_wait_alu 0xfffd
	s_delay_alu instid0(VALU_DEP_1) | instskip(NEXT) | instid1(VALU_DEP_1)
	v_dual_sub_f32 v52, v71, v64 :: v_dual_cndmask_b32 v51, 0, v51
	v_mul_f32_e32 v53, 0x3fb8aa3b, v52
	v_cmp_nlt_f32_e32 vcc_lo, 0x42b17218, v50
	v_cmp_ngt_f32_e64 s3, 0xc2ce8ed0, v52
	s_delay_alu instid0(VALU_DEP_3) | instskip(SKIP_3) | instid1(VALU_DEP_2)
	v_fma_f32 v54, 0x3fb8aa3b, v52, -v53
	v_rndne_f32_e32 v55, v53
	s_wait_alu 0xfffd
	v_cndmask_b32_e32 v80, 0x7f800000, v51, vcc_lo
	v_dual_fmac_f32 v54, 0x32a5705f, v52 :: v_dual_sub_f32 v53, v53, v55
	s_delay_alu instid0(VALU_DEP_1) | instskip(NEXT) | instid1(VALU_DEP_1)
	v_dual_add_f32 v53, v53, v54 :: v_dual_sub_f32 v54, v70, v64
	v_exp_f32_e32 v50, v53
	s_delay_alu instid0(VALU_DEP_1) | instskip(SKIP_2) | instid1(VALU_DEP_3)
	v_mul_f32_e32 v56, 0x3fb8aa3b, v54
	v_cvt_i32_f32_e32 v53, v55
	v_cmp_ngt_f32_e64 s4, 0xc2ce8ed0, v54
	v_fma_f32 v57, 0x3fb8aa3b, v54, -v56
	v_rndne_f32_e32 v58, v56
	s_delay_alu instid0(TRANS32_DEP_1) | instid1(VALU_DEP_4)
	v_ldexp_f32 v50, v50, v53
	s_delay_alu instid0(VALU_DEP_3) | instskip(NEXT) | instid1(VALU_DEP_3)
	v_fmac_f32_e32 v57, 0x32a5705f, v54
	v_sub_f32_e32 v56, v56, v58
	v_cvt_i32_f32_e32 v55, v58
	v_cmp_ngt_f32_e64 s5, 0xc2ce8ed0, v48
	s_wait_alu 0xf1ff
	v_cndmask_b32_e64 v50, 0, v50, s3
	v_cmp_nlt_f32_e64 s3, 0x42b17218, v52
	v_add_f32_e32 v56, v56, v57
	v_cndmask_b32_e64 v49, 0, v49, s5
	v_cmp_nlt_f32_e64 s5, 0x42b17218, v48
	s_wait_alu 0xf1ff
	v_cndmask_b32_e64 v78, 0x7f800000, v50, s3
	v_exp_f32_e32 v53, v56
	s_delay_alu instid0(VALU_DEP_2) | instskip(NEXT) | instid1(VALU_DEP_2)
	v_cndmask_b32_e64 v77, 0x7f800000, v49, s5
	v_cvt_f16_f32_e32 v49, v78
	s_delay_alu instid0(VALU_DEP_2) | instskip(NEXT) | instid1(TRANS32_DEP_1)
	v_cvt_f16_f32_e32 v48, v77
	v_ldexp_f32 v53, v53, v55
	s_delay_alu instid0(VALU_DEP_1) | instskip(SKIP_2) | instid1(VALU_DEP_1)
	v_cndmask_b32_e64 v52, 0, v53, s4
	v_cmp_nlt_f32_e64 s4, 0x42b17218, v54
	s_wait_alu 0xf1ff
	v_cndmask_b32_e64 v79, 0x7f800000, v52, s4
	v_cvt_f16_f32_e32 v52, v80
	s_delay_alu instid0(VALU_DEP_2) | instskip(NEXT) | instid1(VALU_DEP_1)
	v_cvt_f16_f32_e32 v50, v79
	v_pack_b32_f16 v51, v49, v50
	s_delay_alu instid0(VALU_DEP_3) | instskip(SKIP_1) | instid1(VALU_DEP_1)
	v_pack_b32_f16 v50, v48, v52
	v_sub_f32_e32 v48, v69, v64
	v_mul_f32_e32 v49, 0x3fb8aa3b, v48
	v_cmp_ngt_f32_e32 vcc_lo, 0xc2ce8ed0, v48
	s_delay_alu instid0(VALU_DEP_2) | instskip(SKIP_1) | instid1(VALU_DEP_1)
	v_fma_f32 v52, 0x3fb8aa3b, v48, -v49
	v_rndne_f32_e32 v53, v49
	v_dual_fmac_f32 v52, 0x32a5705f, v48 :: v_dual_sub_f32 v49, v49, v53
	v_cvt_i32_f32_e32 v53, v53
	v_add_f32_e32 v32, v92, v32
	s_delay_alu instid0(VALU_DEP_3) | instskip(SKIP_1) | instid1(VALU_DEP_3)
	v_add_f32_e32 v49, v49, v52
	v_sub_f32_e32 v52, v68, v64
	v_add_f32_e32 v32, v89, v32
	s_delay_alu instid0(VALU_DEP_3) | instskip(NEXT) | instid1(VALU_DEP_2)
	v_exp_f32_e32 v49, v49
	v_mul_f32_e32 v54, 0x3fb8aa3b, v52
	v_cmp_ngt_f32_e64 s3, 0xc2ce8ed0, v52
	s_delay_alu instid0(VALU_DEP_3) | instskip(NEXT) | instid1(VALU_DEP_3)
	v_add_f32_e32 v32, v90, v32
	v_fma_f32 v55, 0x3fb8aa3b, v52, -v54
	v_rndne_f32_e32 v56, v54
	s_delay_alu instid0(VALU_DEP_3) | instskip(NEXT) | instid1(TRANS32_DEP_1)
	v_add_f32_e32 v32, v85, v32
	v_ldexp_f32 v49, v49, v53
	s_delay_alu instid0(VALU_DEP_4) | instskip(NEXT) | instid1(VALU_DEP_4)
	v_fmac_f32_e32 v55, 0x32a5705f, v52
	v_sub_f32_e32 v54, v54, v56
	s_wait_alu 0xfffd
	s_delay_alu instid0(VALU_DEP_3) | instskip(SKIP_1) | instid1(VALU_DEP_3)
	v_dual_add_f32 v32, v88, v32 :: v_dual_cndmask_b32 v49, 0, v49
	v_cmp_nlt_f32_e32 vcc_lo, 0x42b17218, v48
	v_add_f32_e32 v54, v54, v55
	s_delay_alu instid0(VALU_DEP_3) | instskip(SKIP_2) | instid1(VALU_DEP_3)
	v_add_f32_e32 v32, v86, v32
	s_wait_alu 0xfffd
	v_cndmask_b32_e32 v82, 0x7f800000, v49, vcc_lo
	v_exp_f32_e32 v53, v54
	v_cvt_i32_f32_e32 v54, v56
	v_add_f32_e32 v32, v87, v32
	s_delay_alu instid0(VALU_DEP_3)
	v_cvt_f16_f32_e32 v49, v82
	s_delay_alu instid0(TRANS32_DEP_1) | instid1(VALU_DEP_3)
	v_ldexp_f32 v53, v53, v54
	s_wait_alu 0xf1ff
	s_delay_alu instid0(VALU_DEP_1) | instskip(SKIP_2) | instid1(VALU_DEP_1)
	v_cndmask_b32_e64 v48, 0, v53, s3
	v_cmp_nlt_f32_e64 s3, 0x42b17218, v52
	s_wait_alu 0xf1ff
	v_cndmask_b32_e64 v81, 0x7f800000, v48, s3
	s_delay_alu instid0(VALU_DEP_1) | instskip(NEXT) | instid1(VALU_DEP_1)
	v_cvt_f16_f32_e32 v48, v81
	v_pack_b32_f16 v49, v48, v49
	v_sub_f32_e32 v48, v67, v64
	s_delay_alu instid0(VALU_DEP_1) | instskip(SKIP_1) | instid1(VALU_DEP_2)
	v_mul_f32_e32 v52, 0x3fb8aa3b, v48
	v_cmp_ngt_f32_e32 vcc_lo, 0xc2ce8ed0, v48
	v_fma_f32 v53, 0x3fb8aa3b, v48, -v52
	v_rndne_f32_e32 v54, v52
	s_delay_alu instid0(VALU_DEP_1) | instskip(SKIP_1) | instid1(VALU_DEP_2)
	v_dual_fmac_f32 v53, 0x32a5705f, v48 :: v_dual_sub_f32 v52, v52, v54
	v_cvt_i32_f32_e32 v54, v54
	v_dual_add_f32 v52, v52, v53 :: v_dual_sub_f32 v53, v66, v64
	ds_load_2addr_b32 v[58:59], v74 offset0:208 offset1:224
	ds_load_2addr_b32 v[60:61], v75 offset0:192 offset1:208
	;; [unrolled: 1-line block ×4, first 2 shown]
	v_exp_f32_e32 v52, v52
	v_mul_f32_e32 v55, 0x3fb8aa3b, v53
	v_cmp_ngt_f32_e64 s3, 0xc2ce8ed0, v53
	s_delay_alu instid0(VALU_DEP_2) | instskip(SKIP_1) | instid1(TRANS32_DEP_1)
	v_fma_f32 v56, 0x3fb8aa3b, v53, -v55
	v_rndne_f32_e32 v57, v55
	v_ldexp_f32 v52, v52, v54
	s_delay_alu instid0(VALU_DEP_3) | instskip(SKIP_1) | instid1(VALU_DEP_2)
	v_fmac_f32_e32 v56, 0x32a5705f, v53
	s_wait_alu 0xfffd
	v_dual_sub_f32 v55, v55, v57 :: v_dual_cndmask_b32 v52, 0, v52
	v_cmp_nlt_f32_e32 vcc_lo, 0x42b17218, v48
	s_delay_alu instid0(VALU_DEP_2) | instskip(SKIP_1) | instid1(VALU_DEP_3)
	v_add_f32_e32 v55, v55, v56
	s_wait_alu 0xfffd
	v_cndmask_b32_e32 v84, 0x7f800000, v52, vcc_lo
	s_delay_alu instid0(VALU_DEP_2)
	v_exp_f32_e32 v54, v55
	v_cvt_i32_f32_e32 v55, v57
	ds_load_2addr_b32 v[56:57], v74 offset0:72 offset1:88
	ds_load_2addr_b32 v[68:69], v74 offset0:140 offset1:156
	;; [unrolled: 1-line block ×4, first 2 shown]
	v_cvt_f16_f32_e32 v52, v84
	v_ldexp_f32 v54, v54, v55
	s_wait_dscnt 0x5
	v_perm_b32 v55, v62, v60, 0x5040100
	s_wait_alu 0xf1ff
	s_delay_alu instid0(VALU_DEP_2) | instskip(SKIP_4) | instid1(VALU_DEP_2)
	v_cndmask_b32_e64 v48, 0, v54, s3
	v_cmp_nlt_f32_e64 s3, 0x42b17218, v53
	s_wait_dscnt 0x4
	v_perm_b32 v54, v66, v58, 0x5040100
	s_wait_alu 0xf1ff
	v_cndmask_b32_e64 v83, 0x7f800000, v48, s3
	s_wait_dscnt 0x2
	v_perm_b32 v53, v68, v56, 0x5040100
	s_delay_alu instid0(VALU_DEP_2) | instskip(SKIP_1) | instid1(VALU_DEP_2)
	v_cvt_f16_f32_e32 v48, v83
	v_add_f32_e32 v32, v83, v32
	v_pack_b32_f16 v48, v48, v52
	s_wait_dscnt 0x0
	v_perm_b32 v52, v72, v70, 0x5040100
	s_delay_alu instid0(VALU_DEP_3) | instskip(NEXT) | instid1(VALU_DEP_2)
	v_add_f32_e32 v32, v84, v32
	v_wmma_f16_16x16x16_f16 v[0:3], v[52:55], v[48:51], v[0:3]
	v_perm_b32 v52, v72, v70, 0x7060302
	v_perm_b32 v53, v68, v56, 0x7060302
	v_perm_b32 v54, v66, v58, 0x7060302
	v_perm_b32 v55, v62, v60, 0x7060302
	v_perm_b32 v56, v73, v71, 0x5040100
	v_perm_b32 v58, v67, v59, 0x5040100
	v_add_f32_e32 v32, v81, v32
	s_delay_alu instid0(VALU_DEP_4)
	v_wmma_f16_16x16x16_f16 v[8:11], v[52:55], v[48:51], v[8:11]
	v_perm_b32 v53, v69, v57, 0x7060302
	v_perm_b32 v57, v69, v57, 0x5040100
	v_perm_b32 v54, v67, v59, 0x7060302
	v_perm_b32 v59, v63, v61, 0x5040100
	v_perm_b32 v52, v73, v71, 0x7060302
	v_perm_b32 v55, v63, v61, 0x7060302
	v_add_f32_e32 v32, v82, v32
	s_delay_alu instid0(VALU_DEP_4)
	v_wmma_f16_16x16x16_f16 v[4:7], v[56:59], v[48:51], v[4:7]
	v_add_nc_u32_e32 v56, 0x3600, v238
	ds_load_2addr_b32 v[59:60], v56 offset0:112 offset1:128
	ds_load_2addr_b32 v[62:63], v93 offset0:52 offset1:68
	;; [unrolled: 1-line block ×4, first 2 shown]
	v_add_f32_e32 v32, v77, v32
	v_wmma_f16_16x16x16_f16 v[16:19], v[52:55], v[48:51], v[16:19]
	s_delay_alu instid0(VALU_DEP_2) | instskip(NEXT) | instid1(VALU_DEP_1)
	v_add_f32_e32 v32, v80, v32
	v_add_f32_e32 v32, v78, v32
	s_delay_alu instid0(VALU_DEP_1)
	v_add_f32_e32 v32, v79, v32
	s_wait_dscnt 0x2
	v_perm_b32 v72, v63, v60, 0x5040100
	v_perm_b32 v58, v62, v59, 0x7060302
	s_wait_dscnt 0x0
	v_perm_b32 v57, v70, v68, 0x7060302
	v_perm_b32 v61, v70, v68, 0x5040100
	;; [unrolled: 1-line block ×4, first 2 shown]
	ds_load_2addr_b32 v[69:70], v94 offset0:224 offset1:240
	ds_load_2addr_b32 v[73:74], v74 offset0:36 offset1:52
	v_perm_b32 v68, v63, v60, 0x7060302
	v_fmac_f32_e32 v32, v250, v98
	v_perm_b32 v62, v62, v59, 0x5040100
	ds_bpermute_b32 v33, v65, v32
	s_wait_dscnt 0x1
	v_perm_b32 v56, v73, v69, 0x7060302
	v_perm_b32 v60, v73, v69, 0x5040100
	v_perm_b32 v66, v74, v70, 0x7060302
	v_perm_b32 v70, v74, v70, 0x5040100
	ds_load_2addr_b32 v[73:74], v75 offset0:224 offset1:240
	ds_load_2addr_b32 v[75:76], v76 offset0:224 offset1:240
	s_wait_loadcnt_dscnt 0x0
	s_barrier_signal -1
	s_barrier_wait -1
	global_inv scope:SCOPE_SE
	v_perm_b32 v63, v75, v73, 0x5040100
	v_perm_b32 v59, v75, v73, 0x7060302
	;; [unrolled: 1-line block ×4, first 2 shown]
	s_delay_alu instid0(VALU_DEP_4) | instskip(NEXT) | instid1(VALU_DEP_4)
	v_wmma_f16_16x16x16_f16 v[12:15], v[60:63], v[48:51], v[12:15]
	v_wmma_f16_16x16x16_f16 v[24:27], v[56:59], v[48:51], v[24:27]
	s_delay_alu instid0(VALU_DEP_4) | instskip(NEXT) | instid1(VALU_DEP_4)
	v_wmma_f16_16x16x16_f16 v[20:23], v[70:73], v[48:51], v[20:23]
	v_wmma_f16_16x16x16_f16 v[28:31], v[66:69], v[48:51], v[28:31]
	v_add_f32_e32 v50, v32, v33
	s_cbranch_scc0 .LBB25_866
; %bb.341:                              ;   in Loop: Header=BB25_9 Depth=1
	scratch_load_b32 v32, off, off offset:200 ; 4-byte Folded Reload
	v_max_num_f32_e32 v33, v64, v64
	s_wait_loadcnt 0x0
	v_lshlrev_b32_e32 v32, 2, v32
	global_load_b32 v32, v32, s[74:75]
	s_wait_loadcnt 0x0
	v_max_num_f32_e32 v34, v32, v32
	s_delay_alu instid0(VALU_DEP_1) | instskip(NEXT) | instid1(VALU_DEP_1)
	v_max_num_f32_e32 v48, v33, v34
	v_sub_f32_e32 v33, v64, v48
	s_delay_alu instid0(VALU_DEP_1) | instskip(SKIP_1) | instid1(VALU_DEP_2)
	v_mul_f32_e32 v34, 0x3fb8aa3b, v33
	v_cmp_ngt_f32_e32 vcc_lo, 0xc2ce8ed0, v33
	v_fma_f32 v35, 0x3fb8aa3b, v33, -v34
	v_rndne_f32_e32 v36, v34
	s_delay_alu instid0(VALU_DEP_1) | instskip(SKIP_1) | instid1(VALU_DEP_2)
	v_dual_fmac_f32 v35, 0x32a5705f, v33 :: v_dual_sub_f32 v34, v34, v36
	v_cvt_i32_f32_e32 v36, v36
	v_add_f32_e32 v34, v34, v35
	s_delay_alu instid0(VALU_DEP_1) | instskip(NEXT) | instid1(TRANS32_DEP_1)
	v_exp_f32_e32 v34, v34
	v_ldexp_f32 v34, v34, v36
	s_wait_alu 0xfffd
	s_delay_alu instid0(VALU_DEP_1) | instskip(SKIP_2) | instid1(VALU_DEP_2)
	v_cndmask_b32_e32 v34, 0, v34, vcc_lo
	v_cmp_nlt_f32_e32 vcc_lo, 0x42b17218, v33
	s_wait_alu 0xfffd
	v_cndmask_b32_e32 v34, 0x7f800000, v34, vcc_lo
	v_cmp_le_f32_e32 vcc_lo, 0xc1a00000, v33
	s_wait_alu 0xfffd
	s_delay_alu instid0(VALU_DEP_2) | instskip(NEXT) | instid1(VALU_DEP_1)
	v_dual_sub_f32 v32, v32, v48 :: v_dual_cndmask_b32 v33, 0, v34
	v_mul_f32_e32 v35, 0x3fb8aa3b, v32
	v_cmp_ngt_f32_e32 vcc_lo, 0xc2ce8ed0, v32
	s_delay_alu instid0(VALU_DEP_2) | instskip(SKIP_1) | instid1(VALU_DEP_2)
	v_fma_f32 v37, 0x3fb8aa3b, v32, -v35
	v_rndne_f32_e32 v38, v35
	v_fmac_f32_e32 v37, 0x32a5705f, v32
	s_delay_alu instid0(VALU_DEP_2) | instskip(SKIP_1) | instid1(VALU_DEP_2)
	v_sub_f32_e32 v35, v35, v38
	v_cvt_i32_f32_e32 v36, v38
	v_add_f32_e32 v35, v35, v37
	s_delay_alu instid0(VALU_DEP_1) | instskip(NEXT) | instid1(TRANS32_DEP_1)
	v_exp_f32_e32 v35, v35
	v_ldexp_f32 v34, v35, v36
	v_cvt_f16_f32_e32 v35, v33
	s_wait_alu 0xfffd
	s_delay_alu instid0(VALU_DEP_1) | instskip(SKIP_1) | instid1(VALU_DEP_2)
	v_dual_cndmask_b32 v34, 0, v34 :: v_dual_and_b32 v35, 0xffff, v35
	v_cmp_nlt_f32_e32 vcc_lo, 0x42b17218, v32
	v_mul_u32_u24_e32 v51, 0x10001, v35
	s_wait_alu 0xfffd
	s_delay_alu instid0(VALU_DEP_3) | instskip(NEXT) | instid1(VALU_DEP_2)
	v_cndmask_b32_e32 v49, 0x7f800000, v34, vcc_lo
	v_pk_mul_f16 v66, v0, v51
	s_delay_alu instid0(VALU_DEP_2)
	v_fmac_f32_e32 v49, v50, v33
	v_pk_mul_f16 v65, v1, v51
	v_pk_mul_f16 v63, v2, v51
	;; [unrolled: 1-line block ×31, first 2 shown]
	s_cbranch_execnz .LBB25_343
.LBB25_342:                             ;   in Loop: Header=BB25_9 Depth=1
	s_delay_alu instid0(VALU_DEP_2)
	v_dual_mov_b32 v35, v31 :: v_dual_mov_b32 v34, v30
	v_dual_mov_b32 v39, v27 :: v_dual_mov_b32 v38, v26
	;; [unrolled: 1-line block ×16, first 2 shown]
	v_mov_b32_e32 v65, v1
	v_mov_b32_e32 v63, v2
.LBB25_343:                             ;   in Loop: Header=BB25_9 Depth=1
	s_wait_loadcnt 0x0
	s_barrier_signal -1
	s_barrier_wait -1
	global_inv scope:SCOPE_SE
	s_and_saveexec_b32 s0, s2
	s_cbranch_execz .LBB25_345
; %bb.344:                              ;   in Loop: Header=BB25_9 Depth=1
	scratch_load_b64 v[0:1], off, off offset:384 ; 8-byte Folded Reload
	s_wait_loadcnt 0x0
	global_store_b64 v[0:1], v[48:49], off
.LBB25_345:                             ;   in Loop: Header=BB25_9 Depth=1
	s_wait_alu 0xfffe
	s_or_b32 exec_lo, exec_lo, s0
	scratch_load_b32 v8, off, off offset:120 ; 4-byte Folded Reload
	v_perm_b32 v0, v44, v66, 0x5040100
	v_perm_b32 v1, v44, v66, 0x7060302
	;; [unrolled: 1-line block ×16, first 2 shown]
	v_cmp_gt_i32_e64 s3, s24, v246
	v_cmp_gt_i32_e64 s4, s94, v177
	v_cmp_le_i32_e32 vcc_lo, s94, v177
	s_and_b32 s1, s3, s4
	s_wait_loadcnt 0x0
	v_add_nc_u32_e32 v8, v8, v207
	ds_store_2addr_b32 v8, v0, v1 offset1:1
	ds_store_2addr_b32 v8, v2, v3 offset0:2 offset1:3
	ds_store_2addr_b32 v8, v4, v5 offset0:4 offset1:5
	;; [unrolled: 1-line block ×7, first 2 shown]
	v_perm_b32 v0, v36, v60, 0x5040100
	v_perm_b32 v1, v36, v60, 0x7060302
	;; [unrolled: 1-line block ×16, first 2 shown]
	ds_store_2addr_b32 v8, v0, v1 offset0:32 offset1:33
	ds_store_2addr_b32 v8, v2, v3 offset0:34 offset1:35
	;; [unrolled: 1-line block ×8, first 2 shown]
	v_mov_b32_e32 v0, 50
	s_wait_storecnt_dscnt 0x0
	s_barrier_signal -1
	s_barrier_wait -1
	global_inv scope:SCOPE_SE
	s_mov_b32 s0, exec_lo
	s_clause 0x2
	scratch_load_b64 v[40:41], off, off offset:96
	scratch_load_b64 v[27:28], off, off offset:104
	scratch_load_b32 v30, off, off offset:148
	s_wait_alu 0xfffe
	s_and_b32 s1, s0, s1
	s_wait_alu 0xfffe
	s_mov_b32 exec_lo, s1
	s_cbranch_execz .LBB25_347
; %bb.346:                              ;   in Loop: Header=BB25_9 Depth=1
	ds_load_2addr_b32 v[0:1], v249 offset1:32
	s_wait_loadcnt 0x1
	v_mad_co_u64_u32 v[2:3], null, v246, s25, v[27:28]
	s_delay_alu instid0(VALU_DEP_1) | instskip(NEXT) | instid1(VALU_DEP_1)
	v_lshl_add_u32 v2, v2, 6, v40
	v_ashrrev_i32_e32 v3, 31, v2
	s_delay_alu instid0(VALU_DEP_1)
	v_lshlrev_b64_e32 v[2:3], 3, v[2:3]
	s_wait_dscnt 0x0
	v_lshrrev_b32_e32 v4, 16, v0
	v_lshrrev_b32_e32 v5, 16, v1
	v_cvt_f32_f16_e32 v0, v0
	v_cvt_f32_f16_e32 v6, v1
	v_add_co_u32 v1, s3, s72, v2
	v_cvt_f32_f16_e32 v4, v4
	v_cvt_f32_f16_e32 v7, v5
	s_wait_alu 0xf1ff
	v_add_co_ci_u32_e64 v2, null, s73, v3, s3
	v_add_f32_e32 v3, 0, v0
	v_dual_add_f32 v5, 0, v6 :: v_dual_add_f32 v4, 0, v4
	v_mov_b32_e32 v0, 0
	v_add_f32_e32 v6, 0, v7
	s_clause 0x1
	global_store_b64 v[1:2], v[3:4], off
	global_store_b64 v[1:2], v[5:6], off offset:256
.LBB25_347:                             ;   in Loop: Header=BB25_9 Depth=1
	s_or_b32 exec_lo, exec_lo, s0
	s_wait_loadcnt 0x1
	s_clause 0x1
	scratch_load_b32 v28, off, off offset:116
	scratch_load_b64 v[32:33], off, off offset:184
	v_mov_b32_e32 v29, 0
	v_mbcnt_lo_u32_b32 v31, -1, 0
	s_mov_b32 s5, -1
	s_mov_b32 s0, exec_lo
	v_cmpx_gt_i32_e32 50, v0
; %bb.348:                              ;   in Loop: Header=BB25_9 Depth=1
	v_cmp_eq_u32_e64 s3, 0, v0
	s_or_not1_b32 s5, s3, exec_lo
; %bb.349:                              ;   in Loop: Header=BB25_9 Depth=1
	s_wait_alu 0xfffe
	s_or_b32 exec_lo, exec_lo, s0
	s_mov_b32 s0, 0
	s_mov_b32 s1, 0
                                        ; implicit-def: $vgpr1
                                        ; implicit-def: $vgpr2
	s_and_saveexec_b32 s4, s5
	s_cbranch_execz .LBB25_437
; %bb.350:                              ;   in Loop: Header=BB25_9 Depth=1
	v_cmp_gt_i32_e64 s3, s24, v206
	v_mov_b32_e32 v0, 50
	s_xor_b32 s5, vcc_lo, -1
	s_wait_alu 0xfffe
	s_and_b32 s3, s3, s5
	s_wait_alu 0xfffe
	s_and_saveexec_b32 s1, s3
	s_cbranch_execz .LBB25_352
; %bb.351:                              ;   in Loop: Header=BB25_9 Depth=1
	scratch_load_b32 v0, off, off offset:192 ; 4-byte Folded Reload
	s_wait_loadcnt 0x2
	v_mad_co_u64_u32 v[2:3], null, v206, s25, v[27:28]
	s_delay_alu instid0(VALU_DEP_1) | instskip(NEXT) | instid1(VALU_DEP_1)
	v_lshl_add_u32 v2, v2, 6, v40
	v_ashrrev_i32_e32 v3, 31, v2
	s_delay_alu instid0(VALU_DEP_1)
	v_lshlrev_b64_e32 v[2:3], 3, v[2:3]
	s_wait_loadcnt 0x0
	ds_load_2addr_b32 v[0:1], v0 offset1:32
	s_wait_dscnt 0x0
	v_lshrrev_b32_e32 v4, 16, v0
	v_lshrrev_b32_e32 v5, 16, v1
	v_cvt_f32_f16_e32 v0, v0
	v_cvt_f32_f16_e32 v6, v1
	v_add_co_u32 v1, vcc_lo, s72, v2
	v_cvt_f32_f16_e32 v4, v4
	v_cvt_f32_f16_e32 v7, v5
	s_wait_alu 0xfffd
	v_add_co_ci_u32_e64 v2, null, s73, v3, vcc_lo
	v_add_f32_e32 v3, 0, v0
	v_dual_add_f32 v5, 0, v6 :: v_dual_add_f32 v4, 0, v4
	v_mov_b32_e32 v0, 0
	v_add_f32_e32 v6, 0, v7
	s_clause 0x1
	global_store_b64 v[1:2], v[3:4], off
	global_store_b64 v[1:2], v[5:6], off offset:256
.LBB25_352:                             ;   in Loop: Header=BB25_9 Depth=1
	s_wait_alu 0xfffe
	s_or_b32 exec_lo, exec_lo, s1
	s_mov_b32 s6, -1
	s_mov_b32 s1, exec_lo
	v_cmpx_gt_i32_e32 50, v0
; %bb.353:                              ;   in Loop: Header=BB25_9 Depth=1
	v_cmp_eq_u32_e32 vcc_lo, 0, v0
	s_or_not1_b32 s6, vcc_lo, exec_lo
; %bb.354:                              ;   in Loop: Header=BB25_9 Depth=1
	s_wait_alu 0xfffe
	s_or_b32 exec_lo, exec_lo, s1
	s_mov_b32 s3, 0
                                        ; implicit-def: $vgpr1
                                        ; implicit-def: $vgpr2
	s_and_saveexec_b32 s1, s6
	s_cbranch_execz .LBB25_436
; %bb.355:                              ;   in Loop: Header=BB25_9 Depth=1
	scratch_load_b32 v2, off, off offset:196 ; 4-byte Folded Reload
	v_mov_b32_e32 v0, 50
	s_wait_loadcnt 0x0
	v_cmp_gt_i32_e32 vcc_lo, s24, v2
	s_and_b32 s6, vcc_lo, s5
	s_wait_alu 0xfffe
	s_and_saveexec_b32 s3, s6
	s_cbranch_execz .LBB25_357
; %bb.356:                              ;   in Loop: Header=BB25_9 Depth=1
	scratch_load_b32 v0, off, off offset:204 ; 4-byte Folded Reload
	v_mad_co_u64_u32 v[2:3], null, v2, s25, v[27:28]
	s_delay_alu instid0(VALU_DEP_1) | instskip(NEXT) | instid1(VALU_DEP_1)
	v_lshl_add_u32 v2, v2, 6, v40
	v_ashrrev_i32_e32 v3, 31, v2
	s_delay_alu instid0(VALU_DEP_1)
	v_lshlrev_b64_e32 v[2:3], 3, v[2:3]
	s_wait_loadcnt 0x0
	ds_load_2addr_b32 v[0:1], v0 offset1:32
	s_wait_dscnt 0x0
	v_lshrrev_b32_e32 v4, 16, v0
	v_lshrrev_b32_e32 v5, 16, v1
	v_cvt_f32_f16_e32 v0, v0
	v_cvt_f32_f16_e32 v6, v1
	v_add_co_u32 v1, vcc_lo, s72, v2
	v_cvt_f32_f16_e32 v4, v4
	v_cvt_f32_f16_e32 v7, v5
	s_wait_alu 0xfffd
	v_add_co_ci_u32_e64 v2, null, s73, v3, vcc_lo
	v_add_f32_e32 v3, 0, v0
	v_dual_add_f32 v5, 0, v6 :: v_dual_add_f32 v4, 0, v4
	v_mov_b32_e32 v0, 0
	v_add_f32_e32 v6, 0, v7
	s_clause 0x1
	global_store_b64 v[1:2], v[3:4], off
	global_store_b64 v[1:2], v[5:6], off offset:256
.LBB25_357:                             ;   in Loop: Header=BB25_9 Depth=1
	s_wait_alu 0xfffe
	s_or_b32 exec_lo, exec_lo, s3
	s_mov_b32 s40, -1
	s_mov_b32 s3, exec_lo
	v_cmpx_gt_i32_e32 50, v0
; %bb.358:                              ;   in Loop: Header=BB25_9 Depth=1
	v_cmp_eq_u32_e32 vcc_lo, 0, v0
	s_or_not1_b32 s40, vcc_lo, exec_lo
; %bb.359:                              ;   in Loop: Header=BB25_9 Depth=1
	s_wait_alu 0xfffe
	s_or_b32 exec_lo, exec_lo, s3
	s_mov_b32 s6, 0
                                        ; implicit-def: $vgpr1
                                        ; implicit-def: $vgpr2
	s_and_saveexec_b32 s3, s40
	s_cbranch_execz .LBB25_435
; %bb.360:                              ;   in Loop: Header=BB25_9 Depth=1
	v_cmp_gt_i32_e32 vcc_lo, s24, v254
	v_mov_b32_e32 v0, 50
	s_and_b32 s40, vcc_lo, s5
	s_wait_alu 0xfffe
	s_and_saveexec_b32 s6, s40
	s_cbranch_execz .LBB25_362
; %bb.361:                              ;   in Loop: Header=BB25_9 Depth=1
	scratch_load_b32 v0, off, off offset:212 ; 4-byte Folded Reload
	v_mad_co_u64_u32 v[2:3], null, v254, s25, v[27:28]
	s_delay_alu instid0(VALU_DEP_1) | instskip(NEXT) | instid1(VALU_DEP_1)
	v_lshl_add_u32 v2, v2, 6, v40
	v_ashrrev_i32_e32 v3, 31, v2
	s_delay_alu instid0(VALU_DEP_1)
	v_lshlrev_b64_e32 v[2:3], 3, v[2:3]
	s_wait_loadcnt 0x0
	ds_load_2addr_b32 v[0:1], v0 offset1:32
	s_wait_dscnt 0x0
	v_lshrrev_b32_e32 v4, 16, v0
	v_lshrrev_b32_e32 v5, 16, v1
	v_cvt_f32_f16_e32 v0, v0
	v_cvt_f32_f16_e32 v6, v1
	v_add_co_u32 v1, vcc_lo, s72, v2
	v_cvt_f32_f16_e32 v4, v4
	v_cvt_f32_f16_e32 v7, v5
	s_wait_alu 0xfffd
	v_add_co_ci_u32_e64 v2, null, s73, v3, vcc_lo
	v_add_f32_e32 v3, 0, v0
	v_dual_add_f32 v5, 0, v6 :: v_dual_add_f32 v4, 0, v4
	v_mov_b32_e32 v0, 0
	v_add_f32_e32 v6, 0, v7
	s_clause 0x1
	global_store_b64 v[1:2], v[3:4], off
	global_store_b64 v[1:2], v[5:6], off offset:256
.LBB25_362:                             ;   in Loop: Header=BB25_9 Depth=1
	s_wait_alu 0xfffe
	s_or_b32 exec_lo, exec_lo, s6
	s_mov_b32 s41, -1
	s_mov_b32 s6, exec_lo
	v_cmpx_gt_i32_e32 50, v0
; %bb.363:                              ;   in Loop: Header=BB25_9 Depth=1
	v_cmp_eq_u32_e32 vcc_lo, 0, v0
	s_or_not1_b32 s41, vcc_lo, exec_lo
; %bb.364:                              ;   in Loop: Header=BB25_9 Depth=1
	s_wait_alu 0xfffe
	s_or_b32 exec_lo, exec_lo, s6
	s_mov_b32 s40, 0
                                        ; implicit-def: $vgpr1
                                        ; implicit-def: $vgpr2
	s_and_saveexec_b32 s6, s41
	s_cbranch_execz .LBB25_434
; %bb.365:                              ;   in Loop: Header=BB25_9 Depth=1
	scratch_load_b32 v2, off, off offset:216 ; 4-byte Folded Reload
	v_mov_b32_e32 v0, 50
	s_wait_loadcnt 0x0
	v_cmp_gt_i32_e32 vcc_lo, s24, v2
	s_and_b32 s41, vcc_lo, s5
	s_wait_alu 0xfffe
	s_and_saveexec_b32 s40, s41
	s_cbranch_execz .LBB25_367
; %bb.366:                              ;   in Loop: Header=BB25_9 Depth=1
	scratch_load_b32 v0, off, off offset:644 ; 4-byte Folded Reload
	v_mad_co_u64_u32 v[2:3], null, v2, s25, v[27:28]
	s_delay_alu instid0(VALU_DEP_1) | instskip(NEXT) | instid1(VALU_DEP_1)
	v_lshl_add_u32 v2, v2, 6, v40
	v_ashrrev_i32_e32 v3, 31, v2
	s_delay_alu instid0(VALU_DEP_1)
	v_lshlrev_b64_e32 v[2:3], 3, v[2:3]
	s_wait_loadcnt 0x0
	ds_load_2addr_b32 v[0:1], v0 offset1:32
	s_wait_dscnt 0x0
	v_lshrrev_b32_e32 v4, 16, v0
	v_lshrrev_b32_e32 v5, 16, v1
	v_cvt_f32_f16_e32 v0, v0
	v_cvt_f32_f16_e32 v6, v1
	v_add_co_u32 v1, vcc_lo, s72, v2
	v_cvt_f32_f16_e32 v4, v4
	v_cvt_f32_f16_e32 v7, v5
	s_wait_alu 0xfffd
	v_add_co_ci_u32_e64 v2, null, s73, v3, vcc_lo
	v_add_f32_e32 v3, 0, v0
	v_dual_add_f32 v5, 0, v6 :: v_dual_add_f32 v4, 0, v4
	v_mov_b32_e32 v0, 0
	v_add_f32_e32 v6, 0, v7
	s_clause 0x1
	global_store_b64 v[1:2], v[3:4], off
	global_store_b64 v[1:2], v[5:6], off offset:256
.LBB25_367:                             ;   in Loop: Header=BB25_9 Depth=1
	s_wait_alu 0xfffe
	s_or_b32 exec_lo, exec_lo, s40
	s_mov_b32 s42, -1
	s_mov_b32 s40, exec_lo
	v_cmpx_gt_i32_e32 50, v0
; %bb.368:                              ;   in Loop: Header=BB25_9 Depth=1
	v_cmp_eq_u32_e32 vcc_lo, 0, v0
	s_or_not1_b32 s42, vcc_lo, exec_lo
; %bb.369:                              ;   in Loop: Header=BB25_9 Depth=1
	s_wait_alu 0xfffe
	s_or_b32 exec_lo, exec_lo, s40
	s_mov_b32 s41, 0
                                        ; implicit-def: $vgpr1
                                        ; implicit-def: $vgpr2
	s_and_saveexec_b32 s40, s42
	s_cbranch_execz .LBB25_433
; %bb.370:                              ;   in Loop: Header=BB25_9 Depth=1
	scratch_load_b32 v2, off, off offset:220 ; 4-byte Folded Reload
	v_mov_b32_e32 v0, 50
	s_wait_loadcnt 0x0
	v_cmp_gt_i32_e32 vcc_lo, s24, v2
	s_and_b32 s42, vcc_lo, s5
	s_wait_alu 0xfffe
	s_and_saveexec_b32 s41, s42
	s_cbranch_execz .LBB25_372
; %bb.371:                              ;   in Loop: Header=BB25_9 Depth=1
	scratch_load_b32 v0, off, off offset:652 ; 4-byte Folded Reload
	v_mad_co_u64_u32 v[2:3], null, v2, s25, v[27:28]
	s_delay_alu instid0(VALU_DEP_1) | instskip(NEXT) | instid1(VALU_DEP_1)
	v_lshl_add_u32 v2, v2, 6, v40
	v_ashrrev_i32_e32 v3, 31, v2
	s_delay_alu instid0(VALU_DEP_1)
	v_lshlrev_b64_e32 v[2:3], 3, v[2:3]
	s_wait_loadcnt 0x0
	ds_load_2addr_b32 v[0:1], v0 offset1:32
	s_wait_dscnt 0x0
	v_lshrrev_b32_e32 v4, 16, v0
	v_lshrrev_b32_e32 v5, 16, v1
	v_cvt_f32_f16_e32 v0, v0
	v_cvt_f32_f16_e32 v6, v1
	v_add_co_u32 v1, vcc_lo, s72, v2
	v_cvt_f32_f16_e32 v4, v4
	v_cvt_f32_f16_e32 v7, v5
	s_wait_alu 0xfffd
	v_add_co_ci_u32_e64 v2, null, s73, v3, vcc_lo
	v_add_f32_e32 v3, 0, v0
	v_dual_add_f32 v5, 0, v6 :: v_dual_add_f32 v4, 0, v4
	v_mov_b32_e32 v0, 0
	v_add_f32_e32 v6, 0, v7
	s_clause 0x1
	global_store_b64 v[1:2], v[3:4], off
	global_store_b64 v[1:2], v[5:6], off offset:256
.LBB25_372:                             ;   in Loop: Header=BB25_9 Depth=1
	s_wait_alu 0xfffe
	s_or_b32 exec_lo, exec_lo, s41
	s_mov_b32 s43, -1
	s_mov_b32 s41, exec_lo
	v_cmpx_gt_i32_e32 50, v0
; %bb.373:                              ;   in Loop: Header=BB25_9 Depth=1
	v_cmp_eq_u32_e32 vcc_lo, 0, v0
	s_or_not1_b32 s43, vcc_lo, exec_lo
; %bb.374:                              ;   in Loop: Header=BB25_9 Depth=1
	s_wait_alu 0xfffe
	s_or_b32 exec_lo, exec_lo, s41
	s_mov_b32 s42, 0
                                        ; implicit-def: $vgpr1
                                        ; implicit-def: $vgpr2
	s_and_saveexec_b32 s41, s43
	s_cbranch_execz .LBB25_432
; %bb.375:                              ;   in Loop: Header=BB25_9 Depth=1
	scratch_load_b32 v2, off, off offset:224 ; 4-byte Folded Reload
	v_mov_b32_e32 v0, 50
	s_wait_loadcnt 0x0
	v_cmp_gt_i32_e32 vcc_lo, s24, v2
	s_and_b32 s43, vcc_lo, s5
	s_wait_alu 0xfffe
	s_and_saveexec_b32 s42, s43
	s_cbranch_execz .LBB25_377
; %bb.376:                              ;   in Loop: Header=BB25_9 Depth=1
	scratch_load_b32 v0, off, off offset:660 ; 4-byte Folded Reload
	v_mad_co_u64_u32 v[2:3], null, v2, s25, v[27:28]
	s_delay_alu instid0(VALU_DEP_1) | instskip(NEXT) | instid1(VALU_DEP_1)
	v_lshl_add_u32 v2, v2, 6, v40
	v_ashrrev_i32_e32 v3, 31, v2
	s_delay_alu instid0(VALU_DEP_1)
	v_lshlrev_b64_e32 v[2:3], 3, v[2:3]
	s_wait_loadcnt 0x0
	ds_load_2addr_b32 v[0:1], v0 offset1:32
	s_wait_dscnt 0x0
	v_lshrrev_b32_e32 v4, 16, v0
	v_lshrrev_b32_e32 v5, 16, v1
	v_cvt_f32_f16_e32 v0, v0
	v_cvt_f32_f16_e32 v6, v1
	v_add_co_u32 v1, vcc_lo, s72, v2
	v_cvt_f32_f16_e32 v4, v4
	v_cvt_f32_f16_e32 v7, v5
	s_wait_alu 0xfffd
	v_add_co_ci_u32_e64 v2, null, s73, v3, vcc_lo
	v_add_f32_e32 v3, 0, v0
	v_dual_add_f32 v5, 0, v6 :: v_dual_add_f32 v4, 0, v4
	v_mov_b32_e32 v0, 0
	v_add_f32_e32 v6, 0, v7
	s_clause 0x1
	global_store_b64 v[1:2], v[3:4], off
	global_store_b64 v[1:2], v[5:6], off offset:256
.LBB25_377:                             ;   in Loop: Header=BB25_9 Depth=1
	s_wait_alu 0xfffe
	s_or_b32 exec_lo, exec_lo, s42
	s_mov_b32 s45, -1
	s_mov_b32 s42, exec_lo
	v_cmpx_gt_i32_e32 50, v0
; %bb.378:                              ;   in Loop: Header=BB25_9 Depth=1
	v_cmp_eq_u32_e32 vcc_lo, 0, v0
	s_or_not1_b32 s45, vcc_lo, exec_lo
; %bb.379:                              ;   in Loop: Header=BB25_9 Depth=1
	s_wait_alu 0xfffe
	s_or_b32 exec_lo, exec_lo, s42
	s_mov_b32 s43, 0
                                        ; implicit-def: $vgpr1
                                        ; implicit-def: $vgpr2
	s_and_saveexec_b32 s42, s45
	s_cbranch_execz .LBB25_431
; %bb.380:                              ;   in Loop: Header=BB25_9 Depth=1
	scratch_load_b32 v2, off, off offset:228 ; 4-byte Folded Reload
	v_mov_b32_e32 v0, 50
	s_wait_loadcnt 0x0
	v_cmp_gt_i32_e32 vcc_lo, s24, v2
	s_and_b32 s45, vcc_lo, s5
	s_wait_alu 0xfffe
	s_and_saveexec_b32 s43, s45
	s_cbranch_execz .LBB25_382
; %bb.381:                              ;   in Loop: Header=BB25_9 Depth=1
	scratch_load_b32 v0, off, off offset:668 ; 4-byte Folded Reload
	v_mad_co_u64_u32 v[2:3], null, v2, s25, v[27:28]
	s_delay_alu instid0(VALU_DEP_1) | instskip(NEXT) | instid1(VALU_DEP_1)
	v_lshl_add_u32 v2, v2, 6, v40
	v_ashrrev_i32_e32 v3, 31, v2
	s_delay_alu instid0(VALU_DEP_1)
	v_lshlrev_b64_e32 v[2:3], 3, v[2:3]
	s_wait_loadcnt 0x0
	ds_load_2addr_b32 v[0:1], v0 offset1:32
	s_wait_dscnt 0x0
	v_lshrrev_b32_e32 v4, 16, v0
	v_lshrrev_b32_e32 v5, 16, v1
	v_cvt_f32_f16_e32 v0, v0
	v_cvt_f32_f16_e32 v6, v1
	v_add_co_u32 v1, vcc_lo, s72, v2
	v_cvt_f32_f16_e32 v4, v4
	v_cvt_f32_f16_e32 v7, v5
	s_wait_alu 0xfffd
	v_add_co_ci_u32_e64 v2, null, s73, v3, vcc_lo
	v_add_f32_e32 v3, 0, v0
	v_dual_add_f32 v5, 0, v6 :: v_dual_add_f32 v4, 0, v4
	v_mov_b32_e32 v0, 0
	v_add_f32_e32 v6, 0, v7
	s_clause 0x1
	global_store_b64 v[1:2], v[3:4], off
	global_store_b64 v[1:2], v[5:6], off offset:256
.LBB25_382:                             ;   in Loop: Header=BB25_9 Depth=1
	s_wait_alu 0xfffe
	s_or_b32 exec_lo, exec_lo, s43
	s_mov_b32 s49, -1
	s_mov_b32 s43, exec_lo
	v_cmpx_gt_i32_e32 50, v0
; %bb.383:                              ;   in Loop: Header=BB25_9 Depth=1
	v_cmp_eq_u32_e32 vcc_lo, 0, v0
	s_or_not1_b32 s49, vcc_lo, exec_lo
; %bb.384:                              ;   in Loop: Header=BB25_9 Depth=1
	s_wait_alu 0xfffe
	s_or_b32 exec_lo, exec_lo, s43
	s_mov_b32 s45, 0
                                        ; implicit-def: $vgpr1
                                        ; implicit-def: $vgpr2
	s_and_saveexec_b32 s43, s49
	s_cbranch_execz .LBB25_430
; %bb.385:                              ;   in Loop: Header=BB25_9 Depth=1
	scratch_load_b32 v2, off, off offset:232 ; 4-byte Folded Reload
	v_mov_b32_e32 v0, 50
	s_wait_loadcnt 0x0
	v_cmp_gt_i32_e32 vcc_lo, s24, v2
	s_and_b32 s49, vcc_lo, s5
	s_wait_alu 0xfffe
	s_and_saveexec_b32 s45, s49
	s_cbranch_execz .LBB25_387
; %bb.386:                              ;   in Loop: Header=BB25_9 Depth=1
	scratch_load_b32 v0, off, off offset:676 ; 4-byte Folded Reload
	v_mad_co_u64_u32 v[2:3], null, v2, s25, v[27:28]
	s_delay_alu instid0(VALU_DEP_1) | instskip(NEXT) | instid1(VALU_DEP_1)
	v_lshl_add_u32 v2, v2, 6, v40
	v_ashrrev_i32_e32 v3, 31, v2
	s_delay_alu instid0(VALU_DEP_1)
	v_lshlrev_b64_e32 v[2:3], 3, v[2:3]
	s_wait_loadcnt 0x0
	ds_load_2addr_b32 v[0:1], v0 offset1:32
	s_wait_dscnt 0x0
	v_lshrrev_b32_e32 v4, 16, v0
	v_lshrrev_b32_e32 v5, 16, v1
	v_cvt_f32_f16_e32 v0, v0
	v_cvt_f32_f16_e32 v6, v1
	v_add_co_u32 v1, vcc_lo, s72, v2
	v_cvt_f32_f16_e32 v4, v4
	v_cvt_f32_f16_e32 v7, v5
	s_wait_alu 0xfffd
	v_add_co_ci_u32_e64 v2, null, s73, v3, vcc_lo
	v_add_f32_e32 v3, 0, v0
	v_dual_add_f32 v5, 0, v6 :: v_dual_add_f32 v4, 0, v4
	v_mov_b32_e32 v0, 0
	v_add_f32_e32 v6, 0, v7
	s_clause 0x1
	global_store_b64 v[1:2], v[3:4], off
	global_store_b64 v[1:2], v[5:6], off offset:256
.LBB25_387:                             ;   in Loop: Header=BB25_9 Depth=1
	s_wait_alu 0xfffe
	s_or_b32 exec_lo, exec_lo, s45
	s_mov_b32 s51, -1
	s_mov_b32 s45, exec_lo
	v_cmpx_gt_i32_e32 50, v0
; %bb.388:                              ;   in Loop: Header=BB25_9 Depth=1
	v_cmp_eq_u32_e32 vcc_lo, 0, v0
	s_or_not1_b32 s51, vcc_lo, exec_lo
; %bb.389:                              ;   in Loop: Header=BB25_9 Depth=1
	s_wait_alu 0xfffe
	s_or_b32 exec_lo, exec_lo, s45
	s_mov_b32 s49, 0
                                        ; implicit-def: $vgpr1
                                        ; implicit-def: $vgpr2
	s_and_saveexec_b32 s45, s51
	s_cbranch_execz .LBB25_429
; %bb.390:                              ;   in Loop: Header=BB25_9 Depth=1
	scratch_load_b32 v2, off, off offset:236 ; 4-byte Folded Reload
	v_mov_b32_e32 v0, 50
	s_wait_loadcnt 0x0
	v_cmp_gt_i32_e32 vcc_lo, s24, v2
	s_and_b32 s51, vcc_lo, s5
	s_delay_alu instid0(SALU_CYCLE_1)
	s_and_saveexec_b32 s49, s51
	s_cbranch_execz .LBB25_392
; %bb.391:                              ;   in Loop: Header=BB25_9 Depth=1
	scratch_load_b32 v0, off, off offset:684 ; 4-byte Folded Reload
	v_mad_co_u64_u32 v[2:3], null, v2, s25, v[27:28]
	s_delay_alu instid0(VALU_DEP_1) | instskip(NEXT) | instid1(VALU_DEP_1)
	v_lshl_add_u32 v2, v2, 6, v40
	v_ashrrev_i32_e32 v3, 31, v2
	s_delay_alu instid0(VALU_DEP_1)
	v_lshlrev_b64_e32 v[2:3], 3, v[2:3]
	s_wait_loadcnt 0x0
	ds_load_2addr_b32 v[0:1], v0 offset1:32
	s_wait_dscnt 0x0
	v_lshrrev_b32_e32 v4, 16, v0
	v_lshrrev_b32_e32 v5, 16, v1
	v_cvt_f32_f16_e32 v0, v0
	v_cvt_f32_f16_e32 v6, v1
	v_add_co_u32 v1, vcc_lo, s72, v2
	v_cvt_f32_f16_e32 v4, v4
	v_cvt_f32_f16_e32 v7, v5
	s_wait_alu 0xfffd
	v_add_co_ci_u32_e64 v2, null, s73, v3, vcc_lo
	v_add_f32_e32 v3, 0, v0
	v_dual_add_f32 v5, 0, v6 :: v_dual_add_f32 v4, 0, v4
	v_mov_b32_e32 v0, 0
	v_add_f32_e32 v6, 0, v7
	s_clause 0x1
	global_store_b64 v[1:2], v[3:4], off
	global_store_b64 v[1:2], v[5:6], off offset:256
.LBB25_392:                             ;   in Loop: Header=BB25_9 Depth=1
	s_wait_alu 0xfffe
	s_or_b32 exec_lo, exec_lo, s49
	s_mov_b32 s56, -1
	s_mov_b32 s49, exec_lo
	v_cmpx_gt_i32_e32 50, v0
; %bb.393:                              ;   in Loop: Header=BB25_9 Depth=1
	v_cmp_eq_u32_e32 vcc_lo, 0, v0
	s_or_not1_b32 s56, vcc_lo, exec_lo
; %bb.394:                              ;   in Loop: Header=BB25_9 Depth=1
	s_wait_alu 0xfffe
	s_or_b32 exec_lo, exec_lo, s49
	s_mov_b32 s51, 0
                                        ; implicit-def: $vgpr1
                                        ; implicit-def: $vgpr2
	s_and_saveexec_b32 s49, s56
	s_cbranch_execz .LBB25_428
; %bb.395:                              ;   in Loop: Header=BB25_9 Depth=1
	v_cmp_gt_i32_e32 vcc_lo, s24, v205
	v_mov_b32_e32 v0, 50
	s_and_b32 s56, vcc_lo, s5
	s_wait_alu 0xfffe
	s_and_saveexec_b32 s51, s56
	s_cbranch_execz .LBB25_397
; %bb.396:                              ;   in Loop: Header=BB25_9 Depth=1
	scratch_load_b32 v0, off, off offset:692 ; 4-byte Folded Reload
	v_mad_co_u64_u32 v[2:3], null, v205, s25, v[27:28]
	s_delay_alu instid0(VALU_DEP_1) | instskip(NEXT) | instid1(VALU_DEP_1)
	v_lshl_add_u32 v2, v2, 6, v40
	v_ashrrev_i32_e32 v3, 31, v2
	s_delay_alu instid0(VALU_DEP_1)
	v_lshlrev_b64_e32 v[2:3], 3, v[2:3]
	s_wait_loadcnt 0x0
	ds_load_2addr_b32 v[0:1], v0 offset1:32
	s_wait_dscnt 0x0
	v_lshrrev_b32_e32 v4, 16, v0
	v_lshrrev_b32_e32 v5, 16, v1
	v_cvt_f32_f16_e32 v0, v0
	v_cvt_f32_f16_e32 v6, v1
	v_add_co_u32 v1, vcc_lo, s72, v2
	v_cvt_f32_f16_e32 v4, v4
	v_cvt_f32_f16_e32 v7, v5
	s_wait_alu 0xfffd
	v_add_co_ci_u32_e64 v2, null, s73, v3, vcc_lo
	v_add_f32_e32 v3, 0, v0
	v_dual_add_f32 v5, 0, v6 :: v_dual_add_f32 v4, 0, v4
	v_mov_b32_e32 v0, 0
	v_add_f32_e32 v6, 0, v7
	s_clause 0x1
	global_store_b64 v[1:2], v[3:4], off
	global_store_b64 v[1:2], v[5:6], off offset:256
.LBB25_397:                             ;   in Loop: Header=BB25_9 Depth=1
	s_or_b32 exec_lo, exec_lo, s51
	s_mov_b32 s58, -1
	s_mov_b32 s51, exec_lo
	v_cmpx_gt_i32_e32 50, v0
; %bb.398:                              ;   in Loop: Header=BB25_9 Depth=1
	v_cmp_eq_u32_e32 vcc_lo, 0, v0
	s_or_not1_b32 s58, vcc_lo, exec_lo
; %bb.399:                              ;   in Loop: Header=BB25_9 Depth=1
	s_or_b32 exec_lo, exec_lo, s51
	s_mov_b32 s56, 0
                                        ; implicit-def: $vgpr1
                                        ; implicit-def: $vgpr2
	s_wait_alu 0xfffe
	s_and_saveexec_b32 s51, s58
	s_cbranch_execz .LBB25_427
; %bb.400:                              ;   in Loop: Header=BB25_9 Depth=1
	scratch_load_b32 v2, off, off offset:240 ; 4-byte Folded Reload
	v_mov_b32_e32 v0, 50
	s_wait_loadcnt 0x0
	v_cmp_gt_i32_e32 vcc_lo, s24, v2
	s_and_b32 s58, vcc_lo, s5
	s_wait_alu 0xfffe
	s_and_saveexec_b32 s56, s58
	s_cbranch_execz .LBB25_402
; %bb.401:                              ;   in Loop: Header=BB25_9 Depth=1
	scratch_load_b32 v0, off, off offset:700 ; 4-byte Folded Reload
	v_mad_co_u64_u32 v[2:3], null, v2, s25, v[27:28]
	s_delay_alu instid0(VALU_DEP_1) | instskip(NEXT) | instid1(VALU_DEP_1)
	v_lshl_add_u32 v2, v2, 6, v40
	v_ashrrev_i32_e32 v3, 31, v2
	s_delay_alu instid0(VALU_DEP_1)
	v_lshlrev_b64_e32 v[2:3], 3, v[2:3]
	s_wait_loadcnt 0x0
	ds_load_2addr_b32 v[0:1], v0 offset1:32
	s_wait_dscnt 0x0
	v_lshrrev_b32_e32 v4, 16, v0
	v_lshrrev_b32_e32 v5, 16, v1
	v_cvt_f32_f16_e32 v0, v0
	v_cvt_f32_f16_e32 v6, v1
	v_add_co_u32 v1, vcc_lo, s72, v2
	v_cvt_f32_f16_e32 v4, v4
	v_cvt_f32_f16_e32 v7, v5
	s_wait_alu 0xfffd
	v_add_co_ci_u32_e64 v2, null, s73, v3, vcc_lo
	v_add_f32_e32 v3, 0, v0
	v_dual_add_f32 v5, 0, v6 :: v_dual_add_f32 v4, 0, v4
	v_mov_b32_e32 v0, 0
	v_add_f32_e32 v6, 0, v7
	s_clause 0x1
	global_store_b64 v[1:2], v[3:4], off
	global_store_b64 v[1:2], v[5:6], off offset:256
.LBB25_402:                             ;   in Loop: Header=BB25_9 Depth=1
	s_wait_alu 0xfffe
	s_or_b32 exec_lo, exec_lo, s56
	s_mov_b32 s59, -1
	s_mov_b32 s56, exec_lo
	v_cmpx_gt_i32_e32 50, v0
; %bb.403:                              ;   in Loop: Header=BB25_9 Depth=1
	v_cmp_eq_u32_e32 vcc_lo, 0, v0
	s_or_not1_b32 s59, vcc_lo, exec_lo
; %bb.404:                              ;   in Loop: Header=BB25_9 Depth=1
	s_wait_alu 0xfffe
	s_or_b32 exec_lo, exec_lo, s56
	s_mov_b32 s58, 0
                                        ; implicit-def: $vgpr1
                                        ; implicit-def: $vgpr2
	s_and_saveexec_b32 s56, s59
	s_cbranch_execz .LBB25_426
; %bb.405:                              ;   in Loop: Header=BB25_9 Depth=1
	scratch_load_b32 v2, off, off offset:244 ; 4-byte Folded Reload
	v_mov_b32_e32 v0, 50
	s_wait_loadcnt 0x0
	v_cmp_gt_i32_e32 vcc_lo, s24, v2
	s_and_b32 s59, vcc_lo, s5
	s_wait_alu 0xfffe
	s_and_saveexec_b32 s58, s59
	s_cbranch_execz .LBB25_407
; %bb.406:                              ;   in Loop: Header=BB25_9 Depth=1
	scratch_load_b32 v0, off, off offset:708 ; 4-byte Folded Reload
	v_mad_co_u64_u32 v[2:3], null, v2, s25, v[27:28]
	s_delay_alu instid0(VALU_DEP_1) | instskip(NEXT) | instid1(VALU_DEP_1)
	v_lshl_add_u32 v2, v2, 6, v40
	v_ashrrev_i32_e32 v3, 31, v2
	s_delay_alu instid0(VALU_DEP_1)
	v_lshlrev_b64_e32 v[2:3], 3, v[2:3]
	s_wait_loadcnt 0x0
	ds_load_2addr_b32 v[0:1], v0 offset1:32
	s_wait_dscnt 0x0
	v_lshrrev_b32_e32 v4, 16, v0
	v_lshrrev_b32_e32 v5, 16, v1
	v_cvt_f32_f16_e32 v0, v0
	v_cvt_f32_f16_e32 v6, v1
	v_add_co_u32 v1, vcc_lo, s72, v2
	v_cvt_f32_f16_e32 v4, v4
	v_cvt_f32_f16_e32 v7, v5
	s_wait_alu 0xfffd
	v_add_co_ci_u32_e64 v2, null, s73, v3, vcc_lo
	v_add_f32_e32 v3, 0, v0
	v_dual_add_f32 v5, 0, v6 :: v_dual_add_f32 v4, 0, v4
	v_mov_b32_e32 v0, 0
	v_add_f32_e32 v6, 0, v7
	s_clause 0x1
	global_store_b64 v[1:2], v[3:4], off
	global_store_b64 v[1:2], v[5:6], off offset:256
.LBB25_407:                             ;   in Loop: Header=BB25_9 Depth=1
	s_wait_alu 0xfffe
	s_or_b32 exec_lo, exec_lo, s58
	s_mov_b32 s92, -1
	s_mov_b32 s58, exec_lo
	v_cmpx_gt_i32_e32 50, v0
; %bb.408:                              ;   in Loop: Header=BB25_9 Depth=1
	v_cmp_eq_u32_e32 vcc_lo, 0, v0
	s_or_not1_b32 s92, vcc_lo, exec_lo
; %bb.409:                              ;   in Loop: Header=BB25_9 Depth=1
	s_wait_alu 0xfffe
	s_or_b32 exec_lo, exec_lo, s58
	s_mov_b32 s59, 0
                                        ; implicit-def: $vgpr1
                                        ; implicit-def: $vgpr2
	s_and_saveexec_b32 s58, s92
	s_cbranch_execz .LBB25_425
; %bb.410:                              ;   in Loop: Header=BB25_9 Depth=1
	scratch_load_b32 v2, off, off offset:248 ; 4-byte Folded Reload
	v_mov_b32_e32 v0, 50
	s_wait_loadcnt 0x0
	v_cmp_gt_i32_e32 vcc_lo, s24, v2
	s_and_b32 s92, vcc_lo, s5
	s_delay_alu instid0(SALU_CYCLE_1)
	s_and_saveexec_b32 s59, s92
	s_cbranch_execz .LBB25_412
; %bb.411:                              ;   in Loop: Header=BB25_9 Depth=1
	scratch_load_b32 v0, off, off offset:716 ; 4-byte Folded Reload
	v_mad_co_u64_u32 v[2:3], null, v2, s25, v[27:28]
	s_delay_alu instid0(VALU_DEP_1) | instskip(NEXT) | instid1(VALU_DEP_1)
	v_lshl_add_u32 v2, v2, 6, v40
	v_ashrrev_i32_e32 v3, 31, v2
	s_delay_alu instid0(VALU_DEP_1)
	v_lshlrev_b64_e32 v[2:3], 3, v[2:3]
	s_wait_loadcnt 0x0
	ds_load_2addr_b32 v[0:1], v0 offset1:32
	s_wait_dscnt 0x0
	v_lshrrev_b32_e32 v4, 16, v0
	v_lshrrev_b32_e32 v5, 16, v1
	v_cvt_f32_f16_e32 v0, v0
	v_cvt_f32_f16_e32 v6, v1
	v_add_co_u32 v1, vcc_lo, s72, v2
	v_cvt_f32_f16_e32 v4, v4
	v_cvt_f32_f16_e32 v7, v5
	s_wait_alu 0xfffd
	v_add_co_ci_u32_e64 v2, null, s73, v3, vcc_lo
	v_add_f32_e32 v3, 0, v0
	v_dual_add_f32 v5, 0, v6 :: v_dual_add_f32 v4, 0, v4
	v_mov_b32_e32 v0, 0
	v_add_f32_e32 v6, 0, v7
	s_clause 0x1
	global_store_b64 v[1:2], v[3:4], off
	global_store_b64 v[1:2], v[5:6], off offset:256
.LBB25_412:                             ;   in Loop: Header=BB25_9 Depth=1
	s_wait_alu 0xfffe
	s_or_b32 exec_lo, exec_lo, s59
	s_mov_b32 s93, -1
	s_mov_b32 s59, exec_lo
	v_cmpx_gt_i32_e32 50, v0
; %bb.413:                              ;   in Loop: Header=BB25_9 Depth=1
	v_cmp_eq_u32_e32 vcc_lo, 0, v0
	s_or_not1_b32 s93, vcc_lo, exec_lo
; %bb.414:                              ;   in Loop: Header=BB25_9 Depth=1
	s_wait_alu 0xfffe
	s_or_b32 exec_lo, exec_lo, s59
	s_mov_b32 s92, 0
                                        ; implicit-def: $vgpr1
                                        ; implicit-def: $vgpr2
	s_and_saveexec_b32 s59, s93
	s_cbranch_execz .LBB25_424
; %bb.415:                              ;   in Loop: Header=BB25_9 Depth=1
	scratch_load_b32 v2, off, off offset:252 ; 4-byte Folded Reload
	v_mov_b32_e32 v0, 50
	s_wait_loadcnt 0x0
	v_cmp_gt_i32_e32 vcc_lo, s24, v2
	s_and_b32 s93, vcc_lo, s5
	s_delay_alu instid0(SALU_CYCLE_1)
	s_and_saveexec_b32 s92, s93
	s_cbranch_execz .LBB25_417
; %bb.416:                              ;   in Loop: Header=BB25_9 Depth=1
	scratch_load_b32 v0, off, off offset:724 ; 4-byte Folded Reload
	v_mad_co_u64_u32 v[2:3], null, v2, s25, v[27:28]
	s_delay_alu instid0(VALU_DEP_1) | instskip(NEXT) | instid1(VALU_DEP_1)
	v_lshl_add_u32 v2, v2, 6, v40
	v_ashrrev_i32_e32 v3, 31, v2
	s_delay_alu instid0(VALU_DEP_1)
	v_lshlrev_b64_e32 v[2:3], 3, v[2:3]
	s_wait_loadcnt 0x0
	ds_load_2addr_b32 v[0:1], v0 offset1:32
	s_wait_dscnt 0x0
	v_lshrrev_b32_e32 v4, 16, v0
	v_lshrrev_b32_e32 v5, 16, v1
	v_cvt_f32_f16_e32 v0, v0
	v_cvt_f32_f16_e32 v6, v1
	v_add_co_u32 v1, vcc_lo, s72, v2
	v_cvt_f32_f16_e32 v4, v4
	v_cvt_f32_f16_e32 v7, v5
	s_wait_alu 0xfffd
	v_add_co_ci_u32_e64 v2, null, s73, v3, vcc_lo
	v_add_f32_e32 v3, 0, v0
	v_dual_add_f32 v5, 0, v6 :: v_dual_add_f32 v4, 0, v4
	v_mov_b32_e32 v0, 0
	v_add_f32_e32 v6, 0, v7
	s_clause 0x1
	global_store_b64 v[1:2], v[3:4], off
	global_store_b64 v[1:2], v[5:6], off offset:256
.LBB25_417:                             ;   in Loop: Header=BB25_9 Depth=1
	s_or_b32 exec_lo, exec_lo, s92
	s_mov_b32 s95, -1
	s_mov_b32 s92, exec_lo
	v_cmpx_gt_i32_e32 50, v0
; %bb.418:                              ;   in Loop: Header=BB25_9 Depth=1
	v_cmp_eq_u32_e32 vcc_lo, 0, v0
	s_or_not1_b32 s95, vcc_lo, exec_lo
; %bb.419:                              ;   in Loop: Header=BB25_9 Depth=1
	s_or_b32 exec_lo, exec_lo, s92
	s_mov_b32 s93, 0
                                        ; implicit-def: $vgpr1
                                        ; implicit-def: $vgpr2
	s_wait_alu 0xfffe
	s_and_saveexec_b32 s92, s95
	s_cbranch_execz .LBB25_423
; %bb.420:                              ;   in Loop: Header=BB25_9 Depth=1
	v_cmp_gt_i32_e32 vcc_lo, s24, v252
                                        ; implicit-def: $vgpr1
                                        ; implicit-def: $vgpr2
	s_and_b32 s93, vcc_lo, s5
	s_mov_b32 s5, 0
	s_and_saveexec_b32 s95, s93
	s_wait_alu 0xfffe
	s_xor_b32 s93, exec_lo, s95
	s_cbranch_execz .LBB25_422
; %bb.421:                              ;   in Loop: Header=BB25_9 Depth=1
	scratch_load_b32 v0, off, off offset:732 ; 4-byte Folded Reload
	v_mul_lo_u32 v2, v252, s25
	s_mov_b32 s5, exec_lo
	s_delay_alu instid0(VALU_DEP_1)
	v_add_lshl_u32 v7, v2, v27, 6
	s_wait_loadcnt 0x0
	ds_load_2addr_b32 v[0:1], v0 offset1:32
	s_wait_dscnt 0x0
	v_lshrrev_b32_e32 v4, 16, v0
	v_cvt_f32_f16_e32 v0, v0
	v_add_nc_u32_e32 v2, v40, v7
	v_lshrrev_b32_e32 v5, 16, v1
	v_cvt_f32_f16_e32 v6, v1
	v_cvt_f32_f16_e32 v4, v4
	s_delay_alu instid0(VALU_DEP_4) | instskip(NEXT) | instid1(VALU_DEP_4)
	v_ashrrev_i32_e32 v3, 31, v2
	v_cvt_f32_f16_e32 v8, v5
	s_delay_alu instid0(VALU_DEP_3) | instskip(NEXT) | instid1(VALU_DEP_3)
	v_add_f32_e32 v4, 0, v4
	v_lshlrev_b64_e32 v[1:2], 3, v[2:3]
	v_dual_add_f32 v3, 0, v0 :: v_dual_add_f32 v0, 0, v6
	s_delay_alu instid0(VALU_DEP_2) | instskip(SKIP_1) | instid1(VALU_DEP_3)
	v_add_co_u32 v5, vcc_lo, s72, v1
	s_wait_alu 0xfffd
	v_add_co_ci_u32_e64 v6, null, s73, v2, vcc_lo
	scratch_load_b32 v2, off, off offset:736 ; 4-byte Folded Reload
	v_add_f32_e32 v1, 0, v8
	global_store_b64 v[5:6], v[3:4], off
	s_wait_loadcnt 0x0
	v_add_nc_u32_e32 v2, v2, v7
.LBB25_422:                             ;   in Loop: Header=BB25_9 Depth=1
	s_or_b32 exec_lo, exec_lo, s93
	s_wait_alu 0xfffe
	s_and_b32 s93, s5, exec_lo
.LBB25_423:                             ;   in Loop: Header=BB25_9 Depth=1
	s_or_b32 exec_lo, exec_lo, s92
	s_delay_alu instid0(SALU_CYCLE_1)
	s_and_b32 s92, s93, exec_lo
.LBB25_424:                             ;   in Loop: Header=BB25_9 Depth=1
	s_wait_alu 0xfffe
	s_or_b32 exec_lo, exec_lo, s59
	s_delay_alu instid0(SALU_CYCLE_1)
	s_and_b32 s59, s92, exec_lo
.LBB25_425:                             ;   in Loop: Header=BB25_9 Depth=1
	s_wait_alu 0xfffe
	s_or_b32 exec_lo, exec_lo, s58
	s_delay_alu instid0(SALU_CYCLE_1)
	s_and_b32 s58, s59, exec_lo
.LBB25_426:                             ;   in Loop: Header=BB25_9 Depth=1
	s_wait_alu 0xfffe
	s_or_b32 exec_lo, exec_lo, s56
	s_delay_alu instid0(SALU_CYCLE_1)
	s_and_b32 s56, s58, exec_lo
.LBB25_427:                             ;   in Loop: Header=BB25_9 Depth=1
	s_or_b32 exec_lo, exec_lo, s51
	s_wait_alu 0xfffe
	s_and_b32 s51, s56, exec_lo
.LBB25_428:                             ;   in Loop: Header=BB25_9 Depth=1
	s_wait_alu 0xfffe
	s_or_b32 exec_lo, exec_lo, s49
	s_delay_alu instid0(SALU_CYCLE_1)
	s_and_b32 s49, s51, exec_lo
.LBB25_429:                             ;   in Loop: Header=BB25_9 Depth=1
	s_wait_alu 0xfffe
	s_or_b32 exec_lo, exec_lo, s45
	s_delay_alu instid0(SALU_CYCLE_1)
	s_and_b32 s45, s49, exec_lo
.LBB25_430:                             ;   in Loop: Header=BB25_9 Depth=1
	s_wait_alu 0xfffe
	s_or_b32 exec_lo, exec_lo, s43
	s_delay_alu instid0(SALU_CYCLE_1)
	s_and_b32 s43, s45, exec_lo
.LBB25_431:                             ;   in Loop: Header=BB25_9 Depth=1
	s_wait_alu 0xfffe
	s_or_b32 exec_lo, exec_lo, s42
	s_delay_alu instid0(SALU_CYCLE_1)
	s_and_b32 s42, s43, exec_lo
.LBB25_432:                             ;   in Loop: Header=BB25_9 Depth=1
	s_wait_alu 0xfffe
	s_or_b32 exec_lo, exec_lo, s41
	s_delay_alu instid0(SALU_CYCLE_1)
	s_and_b32 s41, s42, exec_lo
.LBB25_433:                             ;   in Loop: Header=BB25_9 Depth=1
	s_wait_alu 0xfffe
	s_or_b32 exec_lo, exec_lo, s40
	s_delay_alu instid0(SALU_CYCLE_1)
	s_and_b32 s40, s41, exec_lo
.LBB25_434:                             ;   in Loop: Header=BB25_9 Depth=1
	s_wait_alu 0xfffe
	s_or_b32 exec_lo, exec_lo, s6
	s_delay_alu instid0(SALU_CYCLE_1)
	s_and_b32 s6, s40, exec_lo
.LBB25_435:                             ;   in Loop: Header=BB25_9 Depth=1
	s_wait_alu 0xfffe
	s_or_b32 exec_lo, exec_lo, s3
	s_delay_alu instid0(SALU_CYCLE_1)
	s_and_b32 s3, s6, exec_lo
.LBB25_436:                             ;   in Loop: Header=BB25_9 Depth=1
	s_wait_alu 0xfffe
	s_or_b32 exec_lo, exec_lo, s1
	s_delay_alu instid0(SALU_CYCLE_1)
	s_and_b32 s1, s3, exec_lo
.LBB25_437:                             ;   in Loop: Header=BB25_9 Depth=1
	s_wait_alu 0xfffe
	s_or_b32 exec_lo, exec_lo, s4
	s_delay_alu instid0(SALU_CYCLE_1)
	s_and_b32 vcc_lo, exec_lo, s0
	s_wait_alu 0xfffe
	s_cbranch_vccz .LBB25_864
.LBB25_438:                             ;   in Loop: Header=BB25_9 Depth=1
	s_lshl_b32 s4, s67, 5
	v_cmp_gt_i32_e32 vcc_lo, s94, v177
	s_wait_alu 0xfffe
	v_add_nc_u32_e32 v185, s4, v237
	s_delay_alu instid0(VALU_DEP_1)
	v_cmp_gt_i32_e64 s3, s24, v185
	s_and_b32 s59, s3, vcc_lo
	s_wait_alu 0xfffe
	s_xor_b32 s0, s59, -1
	s_wait_alu 0xfffe
	s_and_saveexec_b32 s3, s0
	s_wait_alu 0xfffe
	s_xor_b32 s0, exec_lo, s3
	s_cbranch_execz .LBB25_440
; %bb.439:                              ;   in Loop: Header=BB25_9 Depth=1
	scratch_load_b32 v0, off, off offset:208 ; 4-byte Folded Reload
	v_add_nc_u32_e32 v1, 0, v200
	s_wait_loadcnt 0x0
	s_delay_alu instid0(VALU_DEP_1)
	v_add_nc_u32_e32 v0, v1, v0
	ds_store_2addr_b32 v0, v29, v29 offset1:32
.LBB25_440:                             ;   in Loop: Header=BB25_9 Depth=1
	s_wait_alu 0xfffe
	s_and_not1_saveexec_b32 s0, s0
	s_cbranch_execz .LBB25_442
; %bb.441:                              ;   in Loop: Header=BB25_9 Depth=1
	s_wait_loadcnt 0x0
	v_mad_co_u64_u32 v[0:1], null, v185, s33, v[32:33]
	s_delay_alu instid0(VALU_DEP_1) | instskip(NEXT) | instid1(VALU_DEP_1)
	v_ashrrev_i32_e32 v1, 31, v0
	v_lshlrev_b64_e32 v[0:1], 3, v[0:1]
	s_delay_alu instid0(VALU_DEP_1) | instskip(SKIP_1) | instid1(VALU_DEP_2)
	v_add_co_u32 v0, s3, s90, v0
	s_wait_alu 0xf1ff
	v_add_co_ci_u32_e64 v1, null, s91, v1, s3
	s_clause 0x1
	global_load_b64 v[2:3], v[0:1], off
	global_load_b64 v[0:1], v[0:1], off offset:256
	s_wait_loadcnt 0x1
	v_cvt_f16_f32_e32 v2, v2
	v_cvt_f16_f32_e32 v3, v3
	s_wait_loadcnt 0x0
	v_cvt_f16_f32_e32 v0, v0
	v_cvt_f16_f32_e32 v1, v1
	s_delay_alu instid0(VALU_DEP_3) | instskip(NEXT) | instid1(VALU_DEP_2)
	v_pack_b32_f16 v2, v2, v3
	v_pack_b32_f16 v0, v0, v1
	s_delay_alu instid0(VALU_DEP_2) | instskip(NEXT) | instid1(VALU_DEP_2)
	v_pk_mul_f16 v1, v2, s101
	v_pk_mul_f16 v0, v0, s101
	ds_store_2addr_b32 v249, v1, v0 offset1:32
.LBB25_442:                             ;   in Loop: Header=BB25_9 Depth=1
	s_wait_alu 0xfffe
	s_or_b32 exec_lo, exec_lo, s0
	v_add_nc_u32_e32 v37, s4, v251
	s_delay_alu instid0(VALU_DEP_1)
	v_cmp_gt_i32_e64 s3, s24, v37
	s_and_b32 s58, s3, vcc_lo
	s_wait_alu 0xfffe
	s_xor_b32 s0, s58, -1
	s_wait_alu 0xfffe
	s_and_saveexec_b32 s3, s0
	s_wait_alu 0xfffe
	s_xor_b32 s0, exec_lo, s3
	s_cbranch_execz .LBB25_444
; %bb.443:                              ;   in Loop: Header=BB25_9 Depth=1
	scratch_load_b32 v1, off, off offset:256 ; 4-byte Folded Reload
	v_add_nc_u32_e32 v0, 0, v200
	s_wait_loadcnt 0x0
	s_delay_alu instid0(VALU_DEP_1)
	v_add_nc_u32_e32 v0, v0, v1
	ds_store_2addr_b32 v0, v29, v29 offset1:32
.LBB25_444:                             ;   in Loop: Header=BB25_9 Depth=1
	s_wait_alu 0xfffe
	s_and_not1_saveexec_b32 s0, s0
	s_cbranch_execz .LBB25_446
; %bb.445:                              ;   in Loop: Header=BB25_9 Depth=1
	s_wait_loadcnt 0x0
	v_mad_co_u64_u32 v[0:1], null, v37, s33, v[32:33]
	s_delay_alu instid0(VALU_DEP_1) | instskip(NEXT) | instid1(VALU_DEP_1)
	v_ashrrev_i32_e32 v1, 31, v0
	v_lshlrev_b64_e32 v[0:1], 3, v[0:1]
	s_delay_alu instid0(VALU_DEP_1) | instskip(SKIP_1) | instid1(VALU_DEP_2)
	v_add_co_u32 v0, s3, s90, v0
	s_wait_alu 0xf1ff
	v_add_co_ci_u32_e64 v1, null, s91, v1, s3
	s_clause 0x1
	global_load_b64 v[2:3], v[0:1], off
	global_load_b64 v[0:1], v[0:1], off offset:256
	s_wait_loadcnt 0x1
	v_cvt_f16_f32_e32 v2, v2
	v_cvt_f16_f32_e32 v3, v3
	s_wait_loadcnt 0x0
	v_cvt_f16_f32_e32 v0, v0
	v_cvt_f16_f32_e32 v1, v1
	s_delay_alu instid0(VALU_DEP_3) | instskip(NEXT) | instid1(VALU_DEP_2)
	v_pack_b32_f16 v2, v2, v3
	v_pack_b32_f16 v0, v0, v1
	s_delay_alu instid0(VALU_DEP_2)
	v_pk_mul_f16 v1, v2, s101
	scratch_load_b32 v2, off, off offset:192 ; 4-byte Folded Reload
	v_pk_mul_f16 v0, v0, s101
	s_wait_loadcnt 0x0
	ds_store_2addr_b32 v2, v1, v0 offset1:32
.LBB25_446:                             ;   in Loop: Header=BB25_9 Depth=1
	s_wait_alu 0xfffe
	s_or_b32 exec_lo, exec_lo, s0
	scratch_load_b32 v0, off, off offset:124 ; 4-byte Folded Reload
	s_wait_loadcnt 0x0
	v_add_nc_u32_e32 v36, s4, v0
	s_delay_alu instid0(VALU_DEP_1)
	v_cmp_gt_i32_e64 s3, s24, v36
	s_and_b32 s45, s3, vcc_lo
	s_wait_alu 0xfffe
	s_xor_b32 s0, s45, -1
	s_wait_alu 0xfffe
	s_and_saveexec_b32 s3, s0
	s_wait_alu 0xfffe
	s_xor_b32 s0, exec_lo, s3
	s_cbranch_execz .LBB25_448
; %bb.447:                              ;   in Loop: Header=BB25_9 Depth=1
	scratch_load_b32 v1, off, off offset:260 ; 4-byte Folded Reload
	v_add_nc_u32_e32 v0, 0, v200
	s_wait_loadcnt 0x0
	s_delay_alu instid0(VALU_DEP_1)
	v_add_nc_u32_e32 v0, v0, v1
	ds_store_2addr_b32 v0, v29, v29 offset1:32
.LBB25_448:                             ;   in Loop: Header=BB25_9 Depth=1
	s_wait_alu 0xfffe
	s_and_not1_saveexec_b32 s0, s0
	s_cbranch_execz .LBB25_450
; %bb.449:                              ;   in Loop: Header=BB25_9 Depth=1
	v_mad_co_u64_u32 v[0:1], null, v36, s33, v[32:33]
	s_delay_alu instid0(VALU_DEP_1) | instskip(NEXT) | instid1(VALU_DEP_1)
	v_ashrrev_i32_e32 v1, 31, v0
	v_lshlrev_b64_e32 v[0:1], 3, v[0:1]
	s_delay_alu instid0(VALU_DEP_1) | instskip(SKIP_1) | instid1(VALU_DEP_2)
	v_add_co_u32 v0, s3, s90, v0
	s_wait_alu 0xf1ff
	v_add_co_ci_u32_e64 v1, null, s91, v1, s3
	s_clause 0x1
	global_load_b64 v[2:3], v[0:1], off
	global_load_b64 v[0:1], v[0:1], off offset:256
	s_wait_loadcnt 0x1
	v_cvt_f16_f32_e32 v2, v2
	v_cvt_f16_f32_e32 v3, v3
	s_wait_loadcnt 0x0
	v_cvt_f16_f32_e32 v0, v0
	v_cvt_f16_f32_e32 v1, v1
	s_delay_alu instid0(VALU_DEP_3) | instskip(NEXT) | instid1(VALU_DEP_2)
	v_pack_b32_f16 v2, v2, v3
	v_pack_b32_f16 v0, v0, v1
	s_delay_alu instid0(VALU_DEP_2)
	v_pk_mul_f16 v1, v2, s101
	scratch_load_b32 v2, off, off offset:204 ; 4-byte Folded Reload
	v_pk_mul_f16 v0, v0, s101
	s_wait_loadcnt 0x0
	ds_store_2addr_b32 v2, v1, v0 offset1:32
.LBB25_450:                             ;   in Loop: Header=BB25_9 Depth=1
	s_wait_alu 0xfffe
	s_or_b32 exec_lo, exec_lo, s0
	scratch_load_b32 v0, off, off offset:128 ; 4-byte Folded Reload
	s_wait_loadcnt 0x0
	v_add_nc_u32_e32 v35, s4, v0
	s_delay_alu instid0(VALU_DEP_1)
	v_cmp_gt_i32_e64 s3, s24, v35
	s_and_b32 s100, s3, vcc_lo
	s_wait_alu 0xfffe
	s_xor_b32 s0, s100, -1
	s_wait_alu 0xfffe
	s_and_saveexec_b32 s3, s0
	s_wait_alu 0xfffe
	s_xor_b32 s0, exec_lo, s3
	s_cbranch_execz .LBB25_452
; %bb.451:                              ;   in Loop: Header=BB25_9 Depth=1
	scratch_load_b32 v1, off, off offset:264 ; 4-byte Folded Reload
	v_add_nc_u32_e32 v0, 0, v200
	s_wait_loadcnt 0x0
	s_delay_alu instid0(VALU_DEP_1)
	v_add_nc_u32_e32 v0, v0, v1
	ds_store_2addr_b32 v0, v29, v29 offset1:32
.LBB25_452:                             ;   in Loop: Header=BB25_9 Depth=1
	s_wait_alu 0xfffe
	s_and_not1_saveexec_b32 s0, s0
	s_cbranch_execz .LBB25_454
; %bb.453:                              ;   in Loop: Header=BB25_9 Depth=1
	v_mad_co_u64_u32 v[0:1], null, v35, s33, v[32:33]
	s_delay_alu instid0(VALU_DEP_1) | instskip(NEXT) | instid1(VALU_DEP_1)
	v_ashrrev_i32_e32 v1, 31, v0
	v_lshlrev_b64_e32 v[0:1], 3, v[0:1]
	s_delay_alu instid0(VALU_DEP_1) | instskip(SKIP_1) | instid1(VALU_DEP_2)
	v_add_co_u32 v0, s3, s90, v0
	s_wait_alu 0xf1ff
	v_add_co_ci_u32_e64 v1, null, s91, v1, s3
	s_clause 0x1
	global_load_b64 v[2:3], v[0:1], off
	global_load_b64 v[0:1], v[0:1], off offset:256
	s_wait_loadcnt 0x1
	v_cvt_f16_f32_e32 v2, v2
	v_cvt_f16_f32_e32 v3, v3
	s_wait_loadcnt 0x0
	v_cvt_f16_f32_e32 v0, v0
	v_cvt_f16_f32_e32 v1, v1
	s_delay_alu instid0(VALU_DEP_3) | instskip(NEXT) | instid1(VALU_DEP_2)
	v_pack_b32_f16 v2, v2, v3
	v_pack_b32_f16 v0, v0, v1
	s_delay_alu instid0(VALU_DEP_2)
	v_pk_mul_f16 v1, v2, s101
	scratch_load_b32 v2, off, off offset:212 ; 4-byte Folded Reload
	v_pk_mul_f16 v0, v0, s101
	s_wait_loadcnt 0x0
	ds_store_2addr_b32 v2, v1, v0 offset1:32
.LBB25_454:                             ;   in Loop: Header=BB25_9 Depth=1
	;; [unrolled: 54-line block ×5, first 2 shown]
	s_wait_alu 0xfffe
	s_or_b32 exec_lo, exec_lo, s0
	scratch_load_b32 v0, off, off offset:144 ; 4-byte Folded Reload
	s_wait_loadcnt 0x0
	v_add_nc_u32_e32 v26, s4, v0
	s_delay_alu instid0(VALU_DEP_1)
	v_cmp_gt_i32_e64 s3, s24, v26
	s_and_b32 s40, s3, vcc_lo
	s_wait_alu 0xfffe
	s_xor_b32 s0, s40, -1
	s_wait_alu 0xfffe
	s_and_saveexec_b32 s3, s0
	s_wait_alu 0xfffe
	s_xor_b32 s0, exec_lo, s3
; %bb.467:                              ;   in Loop: Header=BB25_9 Depth=1
	v_add_nc_u32_e32 v0, 0, v200
	s_delay_alu instid0(VALU_DEP_1)
	v_add_nc_u32_e32 v0, v0, v30
	ds_store_2addr_b32 v0, v29, v29 offset1:32
; %bb.468:                              ;   in Loop: Header=BB25_9 Depth=1
	s_wait_alu 0xfffe
	s_and_not1_saveexec_b32 s0, s0
	s_cbranch_execz .LBB25_470
; %bb.469:                              ;   in Loop: Header=BB25_9 Depth=1
	v_mad_co_u64_u32 v[0:1], null, v26, s33, v[32:33]
	s_delay_alu instid0(VALU_DEP_1) | instskip(NEXT) | instid1(VALU_DEP_1)
	v_ashrrev_i32_e32 v1, 31, v0
	v_lshlrev_b64_e32 v[0:1], 3, v[0:1]
	s_delay_alu instid0(VALU_DEP_1) | instskip(SKIP_1) | instid1(VALU_DEP_2)
	v_add_co_u32 v0, s3, s90, v0
	s_wait_alu 0xf1ff
	v_add_co_ci_u32_e64 v1, null, s91, v1, s3
	s_clause 0x1
	global_load_b64 v[2:3], v[0:1], off
	global_load_b64 v[0:1], v[0:1], off offset:256
	s_wait_loadcnt 0x1
	v_cvt_f16_f32_e32 v2, v2
	v_cvt_f16_f32_e32 v3, v3
	s_wait_loadcnt 0x0
	v_cvt_f16_f32_e32 v0, v0
	v_cvt_f16_f32_e32 v1, v1
	s_delay_alu instid0(VALU_DEP_3) | instskip(NEXT) | instid1(VALU_DEP_2)
	v_pack_b32_f16 v2, v2, v3
	v_pack_b32_f16 v0, v0, v1
	s_delay_alu instid0(VALU_DEP_2)
	v_pk_mul_f16 v1, v2, s101
	scratch_load_b32 v2, off, off offset:292 ; 4-byte Folded Reload
	v_pk_mul_f16 v0, v0, s101
	s_wait_loadcnt 0x0
	ds_store_2addr_b32 v2, v1, v0 offset1:32
.LBB25_470:                             ;   in Loop: Header=BB25_9 Depth=1
	s_wait_alu 0xfffe
	s_or_b32 exec_lo, exec_lo, s0
	scratch_load_b32 v0, off, off offset:152 ; 4-byte Folded Reload
	s_wait_loadcnt 0x0
	v_add_nc_u32_e32 v25, s4, v0
	s_delay_alu instid0(VALU_DEP_1)
	v_cmp_gt_i32_e64 s3, s24, v25
	s_and_b32 s6, s3, vcc_lo
	s_wait_alu 0xfffe
	s_xor_b32 s0, s6, -1
	s_wait_alu 0xfffe
	s_and_saveexec_b32 s3, s0
	s_wait_alu 0xfffe
	s_xor_b32 s0, exec_lo, s3
	s_cbranch_execz .LBB25_472
; %bb.471:                              ;   in Loop: Header=BB25_9 Depth=1
	v_add_nc_u32_e32 v0, 0, v200
	s_delay_alu instid0(VALU_DEP_1) | instskip(NEXT) | instid1(VALU_DEP_1)
	v_add_nc_u32_e32 v0, v0, v30
	v_add_nc_u32_e32 v0, 0x400, v0
	ds_store_2addr_b32 v0, v29, v29 offset0:16 offset1:48
.LBB25_472:                             ;   in Loop: Header=BB25_9 Depth=1
	s_wait_alu 0xfffe
	s_and_not1_saveexec_b32 s0, s0
	s_cbranch_execz .LBB25_474
; %bb.473:                              ;   in Loop: Header=BB25_9 Depth=1
	v_mad_co_u64_u32 v[0:1], null, v25, s33, v[32:33]
	s_delay_alu instid0(VALU_DEP_1) | instskip(NEXT) | instid1(VALU_DEP_1)
	v_ashrrev_i32_e32 v1, 31, v0
	v_lshlrev_b64_e32 v[0:1], 3, v[0:1]
	s_delay_alu instid0(VALU_DEP_1) | instskip(SKIP_1) | instid1(VALU_DEP_2)
	v_add_co_u32 v0, s3, s90, v0
	s_wait_alu 0xf1ff
	v_add_co_ci_u32_e64 v1, null, s91, v1, s3
	s_clause 0x1
	global_load_b64 v[2:3], v[0:1], off
	global_load_b64 v[0:1], v[0:1], off offset:256
	s_wait_loadcnt 0x1
	v_cvt_f16_f32_e32 v2, v2
	v_cvt_f16_f32_e32 v3, v3
	s_wait_loadcnt 0x0
	v_cvt_f16_f32_e32 v0, v0
	v_cvt_f16_f32_e32 v1, v1
	s_delay_alu instid0(VALU_DEP_3) | instskip(NEXT) | instid1(VALU_DEP_2)
	v_pack_b32_f16 v2, v2, v3
	v_pack_b32_f16 v0, v0, v1
	s_delay_alu instid0(VALU_DEP_2)
	v_pk_mul_f16 v1, v2, s101
	scratch_load_b32 v2, off, off offset:296 ; 4-byte Folded Reload
	v_pk_mul_f16 v0, v0, s101
	s_wait_loadcnt 0x0
	ds_store_2addr_b32 v2, v1, v0 offset1:32
.LBB25_474:                             ;   in Loop: Header=BB25_9 Depth=1
	s_wait_alu 0xfffe
	s_or_b32 exec_lo, exec_lo, s0
	scratch_load_b32 v0, off, off offset:156 ; 4-byte Folded Reload
	s_wait_loadcnt 0x0
	v_add_nc_u32_e32 v24, s4, v0
	s_delay_alu instid0(VALU_DEP_1)
	v_cmp_gt_i32_e64 s3, s24, v24
	s_and_b32 s95, s3, vcc_lo
	s_wait_alu 0xfffe
	s_xor_b32 s0, s95, -1
	s_wait_alu 0xfffe
	s_and_saveexec_b32 s3, s0
	s_wait_alu 0xfffe
	s_xor_b32 s0, exec_lo, s3
	s_cbranch_execz .LBB25_476
; %bb.475:                              ;   in Loop: Header=BB25_9 Depth=1
	v_add_nc_u32_e32 v0, 0, v200
	s_delay_alu instid0(VALU_DEP_1) | instskip(NEXT) | instid1(VALU_DEP_1)
	v_add_nc_u32_e32 v0, v0, v30
	v_add_nc_u32_e32 v0, 0x800, v0
	ds_store_2addr_b32 v0, v29, v29 offset0:32 offset1:64
.LBB25_476:                             ;   in Loop: Header=BB25_9 Depth=1
	;; [unrolled: 53-line block ×4, first 2 shown]
	s_wait_alu 0xfffe
	s_and_not1_saveexec_b32 s5, s3
	s_cbranch_execz .LBB25_486
; %bb.485:                              ;   in Loop: Header=BB25_9 Depth=1
	v_mad_co_u64_u32 v[0:1], null, v22, s33, v[32:33]
	s_delay_alu instid0(VALU_DEP_1) | instskip(NEXT) | instid1(VALU_DEP_1)
	v_ashrrev_i32_e32 v1, 31, v0
	v_lshlrev_b64_e32 v[0:1], 3, v[0:1]
	s_delay_alu instid0(VALU_DEP_1) | instskip(SKIP_1) | instid1(VALU_DEP_2)
	v_add_co_u32 v0, s3, s90, v0
	s_wait_alu 0xf1ff
	v_add_co_ci_u32_e64 v1, null, s91, v1, s3
	s_clause 0x1
	global_load_b64 v[2:3], v[0:1], off
	global_load_b64 v[0:1], v[0:1], off offset:256
	s_wait_loadcnt 0x1
	v_cvt_f16_f32_e32 v2, v2
	v_cvt_f16_f32_e32 v3, v3
	s_wait_loadcnt 0x0
	v_cvt_f16_f32_e32 v0, v0
	v_cvt_f16_f32_e32 v1, v1
	s_delay_alu instid0(VALU_DEP_3) | instskip(NEXT) | instid1(VALU_DEP_2)
	v_pack_b32_f16 v2, v2, v3
	v_pack_b32_f16 v0, v0, v1
	s_delay_alu instid0(VALU_DEP_2)
	v_pk_mul_f16 v1, v2, s101
	scratch_load_b32 v2, off, off offset:308 ; 4-byte Folded Reload
	v_pk_mul_f16 v0, v0, s101
	s_wait_loadcnt 0x0
	ds_store_2addr_b32 v2, v1, v0 offset1:32
.LBB25_486:                             ;   in Loop: Header=BB25_9 Depth=1
	s_wait_alu 0xfffe
	s_or_b32 exec_lo, exec_lo, s5
	scratch_load_b32 v0, off, off offset:168 ; 4-byte Folded Reload
	s_wait_loadcnt 0x0
	v_add_nc_u32_e32 v21, s4, v0
	s_delay_alu instid0(VALU_DEP_1) | instskip(SKIP_1) | instid1(SALU_CYCLE_1)
	v_cmp_gt_i32_e64 s3, s24, v21
	s_and_b32 s93, s3, vcc_lo
	s_xor_b32 s3, s93, -1
	s_wait_alu 0xfffe
	s_and_saveexec_b32 s5, s3
	s_wait_alu 0xfffe
	s_xor_b32 s3, exec_lo, s5
	s_cbranch_execz .LBB25_488
; %bb.487:                              ;   in Loop: Header=BB25_9 Depth=1
	v_add_nc_u32_e32 v0, 0, v200
	s_delay_alu instid0(VALU_DEP_1) | instskip(NEXT) | instid1(VALU_DEP_1)
	v_add_nc_u32_e32 v0, v0, v30
	v_add_nc_u32_e32 v0, 0x1400, v0
	ds_store_2addr_b32 v0, v29, v29 offset0:80 offset1:112
.LBB25_488:                             ;   in Loop: Header=BB25_9 Depth=1
	s_wait_alu 0xfffe
	s_and_not1_saveexec_b32 s5, s3
	s_cbranch_execz .LBB25_490
; %bb.489:                              ;   in Loop: Header=BB25_9 Depth=1
	v_mad_co_u64_u32 v[0:1], null, v21, s33, v[32:33]
	s_delay_alu instid0(VALU_DEP_1) | instskip(NEXT) | instid1(VALU_DEP_1)
	v_ashrrev_i32_e32 v1, 31, v0
	v_lshlrev_b64_e32 v[0:1], 3, v[0:1]
	s_delay_alu instid0(VALU_DEP_1) | instskip(SKIP_1) | instid1(VALU_DEP_2)
	v_add_co_u32 v0, s3, s90, v0
	s_wait_alu 0xf1ff
	v_add_co_ci_u32_e64 v1, null, s91, v1, s3
	s_clause 0x1
	global_load_b64 v[2:3], v[0:1], off
	global_load_b64 v[0:1], v[0:1], off offset:256
	s_wait_loadcnt 0x1
	v_cvt_f16_f32_e32 v2, v2
	v_cvt_f16_f32_e32 v3, v3
	s_wait_loadcnt 0x0
	v_cvt_f16_f32_e32 v0, v0
	v_cvt_f16_f32_e32 v1, v1
	s_delay_alu instid0(VALU_DEP_3) | instskip(NEXT) | instid1(VALU_DEP_2)
	v_pack_b32_f16 v2, v2, v3
	v_pack_b32_f16 v0, v0, v1
	s_delay_alu instid0(VALU_DEP_2)
	v_pk_mul_f16 v1, v2, s101
	scratch_load_b32 v2, off, off offset:312 ; 4-byte Folded Reload
	v_pk_mul_f16 v0, v0, s101
	s_wait_loadcnt 0x0
	ds_store_2addr_b32 v2, v1, v0 offset1:32
.LBB25_490:                             ;   in Loop: Header=BB25_9 Depth=1
	s_wait_alu 0xfffe
	s_or_b32 exec_lo, exec_lo, s5
	scratch_load_b32 v0, off, off offset:172 ; 4-byte Folded Reload
	s_wait_loadcnt 0x0
	v_add_nc_u32_e32 v20, s4, v0
	s_delay_alu instid0(VALU_DEP_1) | instskip(SKIP_1) | instid1(SALU_CYCLE_1)
	v_cmp_gt_i32_e64 s3, s24, v20
	s_and_b32 s92, s3, vcc_lo
	s_xor_b32 s3, s92, -1
	s_wait_alu 0xfffe
	s_and_saveexec_b32 s5, s3
	s_wait_alu 0xfffe
	s_xor_b32 s3, exec_lo, s5
	s_cbranch_execz .LBB25_492
; %bb.491:                              ;   in Loop: Header=BB25_9 Depth=1
	v_add_nc_u32_e32 v0, 0, v200
	s_delay_alu instid0(VALU_DEP_1) | instskip(NEXT) | instid1(VALU_DEP_1)
	v_add_nc_u32_e32 v0, v0, v30
	v_add_nc_u32_e32 v0, 0x1800, v0
	ds_store_2addr_b32 v0, v29, v29 offset0:96 offset1:128
.LBB25_492:                             ;   in Loop: Header=BB25_9 Depth=1
	s_wait_alu 0xfffe
	s_and_not1_saveexec_b32 s5, s3
	s_cbranch_execz .LBB25_494
; %bb.493:                              ;   in Loop: Header=BB25_9 Depth=1
	v_mad_co_u64_u32 v[0:1], null, v20, s33, v[32:33]
	s_delay_alu instid0(VALU_DEP_1) | instskip(NEXT) | instid1(VALU_DEP_1)
	v_ashrrev_i32_e32 v1, 31, v0
	v_lshlrev_b64_e32 v[0:1], 3, v[0:1]
	s_delay_alu instid0(VALU_DEP_1) | instskip(SKIP_1) | instid1(VALU_DEP_2)
	v_add_co_u32 v0, s3, s90, v0
	s_wait_alu 0xf1ff
	v_add_co_ci_u32_e64 v1, null, s91, v1, s3
	s_clause 0x1
	global_load_b64 v[2:3], v[0:1], off
	global_load_b64 v[0:1], v[0:1], off offset:256
	s_wait_loadcnt 0x1
	v_cvt_f16_f32_e32 v2, v2
	v_cvt_f16_f32_e32 v3, v3
	s_wait_loadcnt 0x0
	v_cvt_f16_f32_e32 v0, v0
	v_cvt_f16_f32_e32 v1, v1
	s_delay_alu instid0(VALU_DEP_3) | instskip(NEXT) | instid1(VALU_DEP_2)
	v_pack_b32_f16 v2, v2, v3
	v_pack_b32_f16 v0, v0, v1
	s_delay_alu instid0(VALU_DEP_2)
	v_pk_mul_f16 v1, v2, s101
	scratch_load_b32 v2, off, off offset:316 ; 4-byte Folded Reload
	v_pk_mul_f16 v0, v0, s101
	s_wait_loadcnt 0x0
	ds_store_2addr_b32 v2, v1, v0 offset1:32
.LBB25_494:                             ;   in Loop: Header=BB25_9 Depth=1
	s_wait_alu 0xfffe
	s_or_b32 exec_lo, exec_lo, s5
	scratch_load_b32 v0, off, off offset:176 ; 4-byte Folded Reload
	s_wait_loadcnt 0x0
	v_add_nc_u32_e32 v19, s4, v0
	s_delay_alu instid0(VALU_DEP_1)
	v_cmp_gt_i32_e64 s3, s24, v19
	s_and_b32 s67, s3, vcc_lo
	s_wait_alu 0xfffe
	s_xor_b32 s3, s67, -1
	s_wait_alu 0xfffe
	s_and_saveexec_b32 s5, s3
	s_wait_alu 0xfffe
	s_xor_b32 s3, exec_lo, s5
	s_cbranch_execz .LBB25_496
; %bb.495:                              ;   in Loop: Header=BB25_9 Depth=1
	v_add_nc_u32_e32 v0, 0, v200
	s_delay_alu instid0(VALU_DEP_1) | instskip(NEXT) | instid1(VALU_DEP_1)
	v_add_nc_u32_e32 v0, v0, v30
	v_add_nc_u32_e32 v0, 0x1c00, v0
	ds_store_2addr_b32 v0, v29, v29 offset0:112 offset1:144
.LBB25_496:                             ;   in Loop: Header=BB25_9 Depth=1
	s_wait_alu 0xfffe
	s_and_not1_saveexec_b32 s5, s3
	s_cbranch_execz .LBB25_498
; %bb.497:                              ;   in Loop: Header=BB25_9 Depth=1
	v_mad_co_u64_u32 v[0:1], null, v19, s33, v[32:33]
	s_delay_alu instid0(VALU_DEP_1) | instskip(NEXT) | instid1(VALU_DEP_1)
	v_ashrrev_i32_e32 v1, 31, v0
	v_lshlrev_b64_e32 v[0:1], 3, v[0:1]
	s_delay_alu instid0(VALU_DEP_1) | instskip(SKIP_1) | instid1(VALU_DEP_2)
	v_add_co_u32 v0, s3, s90, v0
	s_wait_alu 0xf1ff
	v_add_co_ci_u32_e64 v1, null, s91, v1, s3
	s_clause 0x1
	global_load_b64 v[2:3], v[0:1], off
	global_load_b64 v[0:1], v[0:1], off offset:256
	s_wait_loadcnt 0x1
	v_cvt_f16_f32_e32 v2, v2
	v_cvt_f16_f32_e32 v3, v3
	s_wait_loadcnt 0x0
	v_cvt_f16_f32_e32 v0, v0
	v_cvt_f16_f32_e32 v1, v1
	s_delay_alu instid0(VALU_DEP_3) | instskip(NEXT) | instid1(VALU_DEP_2)
	v_pack_b32_f16 v2, v2, v3
	v_pack_b32_f16 v0, v0, v1
	s_delay_alu instid0(VALU_DEP_2)
	v_pk_mul_f16 v1, v2, s101
	scratch_load_b32 v2, off, off offset:320 ; 4-byte Folded Reload
	v_pk_mul_f16 v0, v0, s101
	s_wait_loadcnt 0x0
	ds_store_2addr_b32 v2, v1, v0 offset1:32
.LBB25_498:                             ;   in Loop: Header=BB25_9 Depth=1
	s_wait_alu 0xfffe
	s_or_b32 exec_lo, exec_lo, s5
	scratch_load_b32 v0, off, off offset:180 ; 4-byte Folded Reload
	s_wait_loadcnt 0x0
	v_add_nc_u32_e32 v18, s4, v0
	s_delay_alu instid0(VALU_DEP_1) | instskip(SKIP_1) | instid1(SALU_CYCLE_1)
	v_cmp_gt_i32_e64 s3, s24, v18
	s_and_b32 s51, s3, vcc_lo
	s_xor_b32 s3, s51, -1
	s_wait_alu 0xfffe
	s_and_saveexec_b32 s5, s3
	s_wait_alu 0xfffe
	s_xor_b32 s3, exec_lo, s5
	s_cbranch_execz .LBB25_500
; %bb.499:                              ;   in Loop: Header=BB25_9 Depth=1
	v_add_nc_u32_e32 v0, 0, v200
	s_delay_alu instid0(VALU_DEP_1) | instskip(NEXT) | instid1(VALU_DEP_1)
	v_add_nc_u32_e32 v0, v0, v30
	v_add_nc_u32_e32 v0, 0x2000, v0
	ds_store_2addr_b32 v0, v29, v29 offset0:128 offset1:160
.LBB25_500:                             ;   in Loop: Header=BB25_9 Depth=1
	s_wait_alu 0xfffe
	s_and_not1_saveexec_b32 s3, s3
	s_cbranch_execz .LBB25_502
; %bb.501:                              ;   in Loop: Header=BB25_9 Depth=1
	v_mad_co_u64_u32 v[0:1], null, v18, s33, v[32:33]
	s_delay_alu instid0(VALU_DEP_1) | instskip(NEXT) | instid1(VALU_DEP_1)
	v_ashrrev_i32_e32 v1, 31, v0
	v_lshlrev_b64_e32 v[0:1], 3, v[0:1]
	s_delay_alu instid0(VALU_DEP_1) | instskip(SKIP_1) | instid1(VALU_DEP_2)
	v_add_co_u32 v0, vcc_lo, s90, v0
	s_wait_alu 0xfffd
	v_add_co_ci_u32_e64 v1, null, s91, v1, vcc_lo
	s_clause 0x1
	global_load_b64 v[2:3], v[0:1], off
	global_load_b64 v[0:1], v[0:1], off offset:256
	s_wait_loadcnt 0x1
	v_cvt_f16_f32_e32 v2, v2
	v_cvt_f16_f32_e32 v3, v3
	s_wait_loadcnt 0x0
	v_cvt_f16_f32_e32 v0, v0
	v_cvt_f16_f32_e32 v1, v1
	s_delay_alu instid0(VALU_DEP_3) | instskip(NEXT) | instid1(VALU_DEP_2)
	v_pack_b32_f16 v2, v2, v3
	v_pack_b32_f16 v0, v0, v1
	s_delay_alu instid0(VALU_DEP_2)
	v_pk_mul_f16 v1, v2, s101
	scratch_load_b32 v2, off, off offset:324 ; 4-byte Folded Reload
	v_pk_mul_f16 v0, v0, s101
	s_wait_loadcnt 0x0
	ds_store_2addr_b32 v2, v1, v0 offset1:32
.LBB25_502:                             ;   in Loop: Header=BB25_9 Depth=1
	s_wait_alu 0xfffe
	s_or_b32 exec_lo, exec_lo, s3
	s_wait_storecnt_dscnt 0x0
	s_barrier_signal -1
	s_barrier_wait -1
	global_inv scope:SCOPE_SE
	scratch_load_b32 v0, off, off offset:112 ; 4-byte Folded Reload
	s_cmp_gt_i32 s44, 1
	s_mov_b32 s3, -1
                                        ; implicit-def: $vgpr14_vgpr15
                                        ; implicit-def: $vgpr6_vgpr7
                                        ; implicit-def: $vgpr10_vgpr11
                                        ; implicit-def: $vgpr12_vgpr13
                                        ; implicit-def: $vgpr8_vgpr9
                                        ; implicit-def: $vgpr4_vgpr5
                                        ; implicit-def: $vgpr2_vgpr3
	s_wait_loadcnt 0x0
	ds_load_b128 v[92:95], v0
	ds_load_b128 v[88:91], v0 offset:32
	ds_load_b128 v[84:87], v0 offset:64
	;; [unrolled: 1-line block ×7, first 2 shown]
	s_wait_dscnt 0x0
	s_barrier_signal -1
	s_barrier_wait -1
	global_inv scope:SCOPE_SE
                                        ; implicit-def: $vgpr0_vgpr1
	s_cbranch_scc1 .LBB25_504
; %bb.503:                              ;   in Loop: Header=BB25_9 Depth=1
	s_clause 0x2
	scratch_load_b32 v7, off, off offset:80
	scratch_load_b32 v1, off, off offset:92
	scratch_load_b32 v2, off, off offset:88
	s_mov_b32 s3, 0
	s_wait_loadcnt 0x2
	v_add_nc_u32_e32 v6, 16, v7
	v_add_nc_u32_e32 v0, s4, v7
	s_wait_loadcnt 0x1
	v_add_nc_u32_e32 v1, s4, v1
	v_add_nc_u32_e32 v4, 12, v7
	;; [unrolled: 3-line block ×3, first 2 shown]
	v_add_nc_u32_e32 v6, 20, v7
	v_mul_hi_u32 v3, s36, v0
	v_mul_hi_u32 v5, s36, v1
	v_add_nc_u32_e32 v4, s4, v4
	v_mul_hi_u32 v10, s36, v8
	v_add_nc_u32_e32 v9, s4, v6
	v_add_nc_u32_e32 v6, 24, v7
	;; [unrolled: 1-line block ×4, first 2 shown]
	s_delay_alu instid0(VALU_DEP_3)
	v_add_nc_u32_e32 v16, s4, v6
	v_add_nc_u32_e32 v6, 28, v7
	v_mul_hi_u32 v7, s36, v4
	v_lshrrev_b32_e32 v3, s37, v3
	v_lshrrev_b32_e32 v5, s37, v5
	v_mul_hi_u32 v11, s36, v9
	v_add_nc_u32_e32 v17, s4, v6
	v_mul_hi_u32 v6, s36, v2
	v_mul_lo_u32 v3, v3, s24
	v_mul_lo_u32 v5, v5, s24
	v_add_nc_u32_e32 v7, v4, v7
	v_mul_hi_u32 v12, s36, v16
	v_mul_hi_u32 v13, s36, v17
	v_add_nc_u32_e32 v11, v9, v11
	v_add_nc_u32_e32 v10, v8, v10
	;; [unrolled: 1-line block ×3, first 2 shown]
	v_lshrrev_b32_e32 v7, s37, v7
	v_sub_nc_u32_e32 v0, v0, v3
	v_sub_nc_u32_e32 v1, v1, v5
	v_lshrrev_b32_e32 v10, s37, v10
	v_lshrrev_b32_e32 v6, s37, v6
	v_mul_lo_u32 v5, v7, s24
	v_mad_co_i64_i32 v[14:15], null, v0, s38, 0
	v_lshrrev_b32_e32 v0, s37, v11
	s_delay_alu instid0(VALU_DEP_4)
	v_mul_lo_u32 v3, v6, s24
	v_mad_co_i64_i32 v[6:7], null, v1, s38, 0
	v_add_nc_u32_e32 v1, v16, v12
	v_add_nc_u32_e32 v11, v17, v13
	v_mul_lo_u32 v0, v0, s24
	v_sub_nc_u32_e32 v2, v2, v3
	s_delay_alu instid0(VALU_DEP_4) | instskip(NEXT) | instid1(VALU_DEP_4)
	v_lshrrev_b32_e32 v1, s37, v1
	v_lshrrev_b32_e32 v12, s37, v11
	v_mul_lo_u32 v3, v10, s24
	s_delay_alu instid0(VALU_DEP_4)
	v_mad_co_i64_i32 v[10:11], null, v2, s38, 0
	v_sub_nc_u32_e32 v2, v4, v5
	v_mul_lo_u32 v1, v1, s24
	v_mul_lo_u32 v4, v12, s24
	v_sub_nc_u32_e32 v0, v9, v0
	v_sub_nc_u32_e32 v3, v8, v3
	v_mad_co_i64_i32 v[12:13], null, v2, s38, 0
	v_sub_nc_u32_e32 v1, v16, v1
	v_sub_nc_u32_e32 v16, v17, v4
	s_delay_alu instid0(VALU_DEP_4) | instskip(SKIP_1) | instid1(VALU_DEP_4)
	v_mad_co_i64_i32 v[8:9], null, v3, s38, 0
	v_mad_co_i64_i32 v[4:5], null, v0, s38, 0
	;; [unrolled: 1-line block ×3, first 2 shown]
	s_delay_alu instid0(VALU_DEP_4)
	v_mad_co_i64_i32 v[0:1], null, v16, s38, 0
.LBB25_504:                             ;   in Loop: Header=BB25_9 Depth=1
	v_xor_b32_e32 v186, 16, v31
	s_wait_alu 0xfffe
	s_and_not1_b32 vcc_lo, exec_lo, s3
	s_clause 0xe
	scratch_store_b32 off, v37, off offset:196
	scratch_store_b32 off, v36, off offset:216
	;; [unrolled: 1-line block ×15, first 2 shown]
	s_wait_alu 0xfffe
	s_cbranch_vccnz .LBB25_636
; %bb.505:                              ;   in Loop: Header=BB25_9 Depth=1
	scratch_load_b32 v2, off, off offset:80 ; 4-byte Folded Reload
	v_mov_b32_e32 v206, v193
	v_cmp_gt_i32_e32 vcc_lo, 32, v186
	s_add_nc_u64 s[86:87], s[86:87], s[88:89]
	scratch_store_b32 off, v185, off offset:344 ; 4-byte Folded Spill
	v_dual_mov_b32 v234, v201 :: v_dual_mov_b32 v211, v198
	v_dual_mov_b32 v201, v188 :: v_dual_mov_b32 v208, v195
	;; [unrolled: 1-line block ×6, first 2 shown]
	s_add_co_i32 s44, s44, -1
	v_dual_mov_b32 v193, 0 :: v_dual_mov_b32 v36, 0
	s_wait_alu 0xfffe
	s_mov_b32 s56, s44
	v_dual_mov_b32 v177, 0xfeffffff :: v_dual_mov_b32 v32, 0
	s_delay_alu instid0(VALU_DEP_2)
	v_mov_b32_e32 v33, v193
	v_mov_b32_e32 v35, v193
	;; [unrolled: 1-line block ×4, first 2 shown]
	v_dual_mov_b32 v39, v36 :: v_dual_mov_b32 v38, v36
	v_dual_mov_b32 v61, v36 :: v_dual_mov_b32 v44, v36
	;; [unrolled: 1-line block ×3, first 2 shown]
	v_mov_b32_e32 v50, v193
	v_mov_b32_e32 v56, v36
	;; [unrolled: 1-line block ×5, first 2 shown]
	v_dual_mov_b32 v62, v36 :: v_dual_mov_b32 v41, v193
	v_dual_mov_b32 v43, v193 :: v_dual_mov_b32 v34, v193
	v_mov_b32_e32 v45, v36
	v_dual_mov_b32 v47, v36 :: v_dual_mov_b32 v40, 0
	v_mov_b32_e32 v49, v193
	;; [unrolled: 2-line block ×3, first 2 shown]
	v_dual_mov_b32 v59, v36 :: v_dual_mov_b32 v48, 0
	s_wait_loadcnt 0x0
	v_dual_mov_b32 v53, v193 :: v_dual_add_nc_u32 v0, s4, v2
	s_delay_alu instid0(VALU_DEP_1) | instskip(NEXT) | instid1(VALU_DEP_1)
	v_mul_hi_u32 v1, s36, v0
	v_dual_mov_b32 v204, v191 :: v_dual_add_nc_u32 v1, v0, v1
	s_delay_alu instid0(VALU_DEP_1) | instskip(NEXT) | instid1(VALU_DEP_1)
	v_lshrrev_b32_e32 v1, s37, v1
	v_mul_lo_u32 v1, v1, s24
	s_delay_alu instid0(VALU_DEP_1)
	v_sub_nc_u32_e32 v3, v0, v1
	scratch_load_b32 v0, off, off offset:92 ; 4-byte Folded Reload
	scratch_store_b32 off, v186, off offset:348 ; 4-byte Folded Spill
	v_mad_co_i64_i32 v[213:214], null, s66, v3, s[80:81]
	s_wait_loadcnt 0x0
	v_add_nc_u32_e32 v0, s4, v0
	s_delay_alu instid0(VALU_DEP_1) | instskip(NEXT) | instid1(VALU_DEP_1)
	v_mul_hi_u32 v1, s36, v0
	v_dual_mov_b32 v202, v189 :: v_dual_add_nc_u32 v1, v0, v1
	s_delay_alu instid0(VALU_DEP_1) | instskip(NEXT) | instid1(VALU_DEP_1)
	v_lshrrev_b32_e32 v1, s37, v1
	v_mul_lo_u32 v1, v1, s24
	s_delay_alu instid0(VALU_DEP_1)
	v_sub_nc_u32_e32 v4, v0, v1
	scratch_load_b32 v0, off, off offset:88 ; 4-byte Folded Reload
	scratch_store_b32 off, v3, off offset:352 ; 4-byte Folded Spill
	v_mad_co_i64_i32 v[215:216], null, s66, v4, s[80:81]
	s_wait_loadcnt 0x0
	v_add_nc_u32_e32 v0, s4, v0
	s_delay_alu instid0(VALU_DEP_1) | instskip(NEXT) | instid1(VALU_DEP_1)
	v_mul_hi_u32 v1, s36, v0
	v_add_nc_u32_e32 v1, v0, v1
	s_delay_alu instid0(VALU_DEP_1) | instskip(NEXT) | instid1(VALU_DEP_1)
	v_lshrrev_b32_e32 v1, s37, v1
	v_mul_lo_u32 v1, v1, s24
	s_delay_alu instid0(VALU_DEP_1) | instskip(SKIP_4) | instid1(VALU_DEP_1)
	v_sub_nc_u32_e32 v5, v0, v1
	v_add_nc_u32_e32 v0, 12, v2
	scratch_store_b32 off, v4, off offset:356 ; 4-byte Folded Spill
	v_mad_co_i64_i32 v[217:218], null, s66, v5, s[80:81]
	v_add_nc_u32_e32 v0, s4, v0
	v_mul_hi_u32 v1, s36, v0
	s_delay_alu instid0(VALU_DEP_1) | instskip(NEXT) | instid1(VALU_DEP_1)
	v_add_nc_u32_e32 v1, v0, v1
	v_lshrrev_b32_e32 v1, s37, v1
	s_delay_alu instid0(VALU_DEP_1) | instskip(NEXT) | instid1(VALU_DEP_1)
	v_mul_lo_u32 v1, v1, s24
	v_sub_nc_u32_e32 v6, v0, v1
	v_add_nc_u32_e32 v0, 16, v2
	scratch_store_b32 off, v5, off offset:360 ; 4-byte Folded Spill
	v_mad_co_i64_i32 v[219:220], null, s66, v6, s[80:81]
	v_add_nc_u32_e32 v0, s4, v0
	s_delay_alu instid0(VALU_DEP_1) | instskip(NEXT) | instid1(VALU_DEP_1)
	v_mul_hi_u32 v1, s36, v0
	v_add_nc_u32_e32 v1, v0, v1
	s_delay_alu instid0(VALU_DEP_1) | instskip(NEXT) | instid1(VALU_DEP_1)
	v_lshrrev_b32_e32 v1, s37, v1
	v_mul_lo_u32 v1, v1, s24
	s_delay_alu instid0(VALU_DEP_1) | instskip(SKIP_4) | instid1(VALU_DEP_1)
	v_sub_nc_u32_e32 v7, v0, v1
	v_add_nc_u32_e32 v0, 20, v2
	scratch_store_b32 off, v6, off offset:364 ; 4-byte Folded Spill
	v_mad_co_i64_i32 v[221:222], null, s66, v7, s[80:81]
	v_add_nc_u32_e32 v0, s4, v0
	v_mul_hi_u32 v1, s36, v0
	s_delay_alu instid0(VALU_DEP_1) | instskip(NEXT) | instid1(VALU_DEP_1)
	v_add_nc_u32_e32 v1, v0, v1
	v_lshrrev_b32_e32 v1, s37, v1
	s_delay_alu instid0(VALU_DEP_1) | instskip(NEXT) | instid1(VALU_DEP_1)
	v_mul_lo_u32 v1, v1, s24
	v_sub_nc_u32_e32 v8, v0, v1
	v_add_nc_u32_e32 v0, 24, v2
	s_clause 0x1
	scratch_store_b32 off, v7, off offset:368
	scratch_store_b32 off, v8, off offset:372
	v_add_nc_u32_e32 v0, s4, v0
	v_mad_co_i64_i32 v[223:224], null, s66, v8, s[80:81]
	s_delay_alu instid0(VALU_DEP_2) | instskip(NEXT) | instid1(VALU_DEP_1)
	v_mul_hi_u32 v1, s36, v0
	v_add_nc_u32_e32 v1, v0, v1
	s_delay_alu instid0(VALU_DEP_1) | instskip(NEXT) | instid1(VALU_DEP_1)
	v_lshrrev_b32_e32 v1, s37, v1
	v_mul_lo_u32 v1, v1, s24
	s_delay_alu instid0(VALU_DEP_1) | instskip(SKIP_1) | instid1(VALU_DEP_2)
	v_sub_nc_u32_e32 v9, v0, v1
	v_add_nc_u32_e32 v0, 28, v2
	v_mad_co_i64_i32 v[225:226], null, s66, v9, s[80:81]
	s_delay_alu instid0(VALU_DEP_2) | instskip(SKIP_1) | instid1(VALU_DEP_1)
	v_add_nc_u32_e32 v0, s4, v0
	s_add_nc_u64 s[4:5], s[84:85], s[82:83]
	v_mul_hi_u32 v1, s36, v0
	s_delay_alu instid0(VALU_DEP_1) | instskip(NEXT) | instid1(VALU_DEP_1)
	v_add_nc_u32_e32 v1, v0, v1
	v_lshrrev_b32_e32 v1, s37, v1
	s_delay_alu instid0(VALU_DEP_1) | instskip(NEXT) | instid1(VALU_DEP_1)
	v_mul_lo_u32 v1, v1, s24
	v_sub_nc_u32_e32 v1, v0, v1
	s_wait_alu 0xfffd
	v_cndmask_b32_e32 v0, v31, v186, vcc_lo
	s_clause 0x1
	scratch_store_b32 off, v9, off offset:376
	scratch_store_b32 off, v1, off offset:380
	v_lshlrev_b32_e32 v242, 2, v0
	scratch_load_b32 v0, off, off offset:480 ; 4-byte Folded Reload
	v_mad_co_i64_i32 v[227:228], null, s66, v1, s[80:81]
	s_wait_loadcnt 0x0
	v_add_co_u32 v176, vcc_lo, v0, s86
	scratch_load_b32 v0, off, off offset:484 ; 4-byte Folded Reload
	s_wait_loadcnt 0x0
	s_wait_alu 0xfffd
	v_add_co_ci_u32_e64 v246, null, s87, v0, vcc_lo
	scratch_load_b32 v0, off, off offset:488 ; 4-byte Folded Reload
	s_wait_loadcnt 0x0
	v_add_co_u32 v212, vcc_lo, v0, s86
	scratch_load_b32 v0, off, off offset:492 ; 4-byte Folded Reload
	s_wait_loadcnt 0x0
	s_wait_alu 0xfffd
	v_add_co_ci_u32_e64 v251, null, s87, v0, vcc_lo
	scratch_load_b32 v0, off, off offset:496 ; 4-byte Folded Reload
	;; [unrolled: 7-line block ×8, first 2 shown]
	s_wait_loadcnt 0x0
	s_wait_alu 0xfffe
	v_add_co_u32 v235, vcc_lo, v0, s4
	scratch_load_b32 v0, off, off offset:548 ; 4-byte Folded Reload
	s_wait_loadcnt 0x0
	s_wait_alu 0xfffd
	v_add_co_ci_u32_e64 v232, null, s5, v0, vcc_lo
	scratch_load_b32 v0, off, off offset:552 ; 4-byte Folded Reload
	s_wait_loadcnt 0x0
	v_add_co_u32 v236, vcc_lo, v0, s4
	scratch_load_b32 v0, off, off offset:556 ; 4-byte Folded Reload
	s_wait_loadcnt 0x0
	s_wait_alu 0xfffd
	v_add_co_ci_u32_e64 v180, null, s5, v0, vcc_lo
	scratch_load_b32 v0, off, off offset:560 ; 4-byte Folded Reload
	s_wait_loadcnt 0x0
	;; [unrolled: 7-line block ×7, first 2 shown]
	v_add_co_u32 v191, vcc_lo, v0, s4
	scratch_load_b32 v0, off, off offset:604 ; 4-byte Folded Reload
	s_wait_loadcnt 0x0
	s_wait_alu 0xfffd
	v_add_co_ci_u32_e64 v192, null, s5, v0, vcc_lo
.LBB25_506:                             ;   Parent Loop BB25_9 Depth=1
                                        ; =>  This Inner Loop Header: Depth=2
	v_mov_b32_e32 v4, v254
                                        ; implicit-def: $vgpr250
	s_delay_alu instid0(VALU_DEP_1)
	v_add_co_u32 v0, vcc_lo, v213, v4
	s_wait_alu 0xfffd
	v_add_co_ci_u32_e64 v1, null, 0, v214, vcc_lo
	v_add_nc_u32_e32 v3, 0, v4
	global_load_b32 v2, v[0:1], off
	v_add_co_u32 v0, vcc_lo, v215, v4
	s_wait_alu 0xfffd
	v_add_co_ci_u32_e64 v1, null, 0, v216, vcc_lo
	global_load_b32 v0, v[0:1], off
	scratch_load_b32 v1, off, off           ; 4-byte Folded Reload
	s_wait_loadcnt 0x0
	v_add_nc_u32_e32 v3, v3, v1
	s_delay_alu instid0(VALU_DEP_1)
	v_add_nc_u32_e32 v1, 0x4400, v3
	ds_store_2addr_b32 v1, v2, v0 offset1:144
	v_add_co_u32 v0, vcc_lo, v217, v4
	s_wait_alu 0xfffd
	v_add_co_ci_u32_e64 v1, null, 0, v218, vcc_lo
	global_load_b32 v2, v[0:1], off
	v_add_co_u32 v0, vcc_lo, v219, v4
	s_wait_alu 0xfffd
	v_add_co_ci_u32_e64 v1, null, 0, v220, vcc_lo
	global_load_b32 v0, v[0:1], off
	v_add_nc_u32_e32 v1, 0x4800, v3
	s_wait_loadcnt 0x0
	ds_store_2addr_b32 v1, v2, v0 offset0:32 offset1:176
	v_add_co_u32 v0, vcc_lo, v221, v4
	s_wait_alu 0xfffd
	v_add_co_ci_u32_e64 v1, null, 0, v222, vcc_lo
	global_load_b32 v2, v[0:1], off
	v_add_co_u32 v0, vcc_lo, v223, v4
	s_wait_alu 0xfffd
	v_add_co_ci_u32_e64 v1, null, 0, v224, vcc_lo
	global_load_b32 v0, v[0:1], off
	v_add_nc_u32_e32 v1, 0x4c00, v3
	s_wait_loadcnt 0x0
	ds_store_2addr_b32 v1, v2, v0 offset0:64 offset1:208
	;; [unrolled: 11-line block ×3, first 2 shown]
	v_add_co_u32 v0, vcc_lo, v235, v243
	s_wait_alu 0xfffd
	v_add_co_ci_u32_e64 v1, null, 0, v232, vcc_lo
	v_add_co_u32 v4, vcc_lo, v236, v243
	s_wait_alu 0xfffd
	v_add_co_ci_u32_e64 v5, null, 0, v180, vcc_lo
	global_load_b128 v[0:3], v[0:1], off
	global_load_b128 v[4:7], v[4:5], off
	s_wait_loadcnt 0x1
	ds_store_b128 v234, v[0:3]
	s_wait_loadcnt 0x0
	ds_store_b128 v201, v[4:7]
	v_add_co_u32 v0, vcc_lo, v181, v243
	s_wait_alu 0xfffd
	v_add_co_ci_u32_e64 v1, null, 0, v182, vcc_lo
	v_add_co_u32 v4, vcc_lo, v183, v243
	s_wait_alu 0xfffd
	v_add_co_ci_u32_e64 v5, null, 0, v184, vcc_lo
	global_load_b128 v[0:3], v[0:1], off
	global_load_b128 v[4:7], v[4:5], off
	s_wait_loadcnt 0x1
	ds_store_b128 v202, v[0:3]
	s_wait_loadcnt 0x0
	ds_store_b128 v204, v[4:7]
	;; [unrolled: 12-line block ×4, first 2 shown]
	s_wait_storecnt_dscnt 0x0
	s_barrier_signal -1
	s_barrier_wait -1
	global_inv scope:SCOPE_SE
	ds_load_b128 v[8:11], v253
	ds_load_b128 v[12:15], v253 offset:32
	s_wait_dscnt 0x1
	v_wmma_f32_16x16x16_f16 v[0:7], v[8:11], v[92:95], 0
	s_wait_dscnt 0x0
	s_delay_alu instid0(VALU_DEP_1)
	v_wmma_f32_16x16x16_f16 v[0:7], v[12:15], v[88:91], v[0:7]
	ds_load_b128 v[8:11], v253 offset:64
	ds_load_b128 v[12:15], v253 offset:96
	s_wait_dscnt 0x1
	v_wmma_f32_16x16x16_f16 v[0:7], v[8:11], v[84:87], v[0:7]
	s_wait_dscnt 0x0
	s_delay_alu instid0(VALU_DEP_1)
	v_wmma_f32_16x16x16_f16 v[0:7], v[12:15], v[80:83], v[0:7]
	ds_load_b128 v[8:11], v253 offset:128
	;; [unrolled: 7-line block ×3, first 2 shown]
	ds_load_b128 v[12:15], v253 offset:224
	ds_load_b128 v[172:175], v253 offset:4352
	;; [unrolled: 1-line block ×25, first 2 shown]
	s_wait_loadcnt_dscnt 0x0
	s_barrier_signal -1
	s_barrier_wait -1
	global_inv scope:SCOPE_SE
	v_wmma_f32_16x16x16_f16 v[0:7], v[8:11], v[68:71], v[0:7]
	s_delay_alu instid0(VALU_DEP_1) | instskip(NEXT) | instid1(VALU_DEP_1)
	v_wmma_f32_16x16x16_f16 v[0:7], v[12:15], v[64:67], v[0:7]
	v_cmp_ngt_f32_e64 s3, 0x3f200000, |v0|
	s_and_saveexec_b32 s4, s3
	s_wait_alu 0xfffe
	s_xor_b32 s3, exec_lo, s4
	s_cbranch_execz .LBB25_508
; %bb.507:                              ;   in Loop: Header=BB25_506 Depth=2
	v_add_f32_e64 v8, |v0|, |v0|
	s_delay_alu instid0(VALU_DEP_1) | instskip(SKIP_1) | instid1(VALU_DEP_2)
	v_mul_f32_e32 v9, 0x3fb8aa3b, v8
	v_cmp_ngt_f32_e32 vcc_lo, 0xc2ce8ed0, v8
	v_rndne_f32_e32 v10, v9
	v_fma_f32 v11, 0x3fb8aa3b, v8, -v9
	s_delay_alu instid0(VALU_DEP_2) | instskip(NEXT) | instid1(VALU_DEP_2)
	v_sub_f32_e32 v9, v9, v10
	v_fmac_f32_e32 v11, 0x32a5705f, v8
	v_cvt_i32_f32_e32 v10, v10
	s_delay_alu instid0(VALU_DEP_2) | instskip(NEXT) | instid1(VALU_DEP_1)
	v_add_f32_e32 v9, v9, v11
	v_exp_f32_e32 v9, v9
	s_delay_alu instid0(TRANS32_DEP_1) | instskip(SKIP_1) | instid1(VALU_DEP_1)
	v_ldexp_f32 v9, v9, v10
	s_wait_alu 0xfffd
	v_cndmask_b32_e32 v9, 0, v9, vcc_lo
	v_cmp_nlt_f32_e32 vcc_lo, 0x42b17218, v8
	s_wait_alu 0xfffd
	s_delay_alu instid0(VALU_DEP_2) | instskip(NEXT) | instid1(VALU_DEP_1)
	v_cndmask_b32_e32 v8, 0x7f800000, v9, vcc_lo
	v_add_f32_e32 v8, 1.0, v8
	s_delay_alu instid0(VALU_DEP_1) | instskip(NEXT) | instid1(TRANS32_DEP_1)
	v_rcp_f32_e32 v8, v8
	v_fma_f32 v250, v8, -2.0, 1.0
.LBB25_508:                             ;   in Loop: Header=BB25_506 Depth=2
	s_wait_alu 0xfffe
	s_and_not1_saveexec_b32 s3, s3
	s_cbranch_execz .LBB25_510
; %bb.509:                              ;   in Loop: Header=BB25_506 Depth=2
	v_mul_f32_e32 v8, v0, v0
	s_delay_alu instid0(VALU_DEP_1) | instskip(NEXT) | instid1(VALU_DEP_1)
	v_fmaak_f32 v9, s39, v8, 0x3ca908c9
	v_fmaak_f32 v9, v8, v9, 0xbd5c1c4e
	s_delay_alu instid0(VALU_DEP_1) | instskip(NEXT) | instid1(VALU_DEP_1)
	v_fmaak_f32 v9, v8, v9, 0x3e088382
	v_fmaak_f32 v9, v8, v9, 0xbeaaaa99
	s_delay_alu instid0(VALU_DEP_1) | instskip(NEXT) | instid1(VALU_DEP_1)
	v_mul_f32_e64 v9, |v0|, v9
	v_fma_f32 v250, v8, v9, |v0|
.LBB25_510:                             ;   in Loop: Header=BB25_506 Depth=2
	s_wait_alu 0xfffe
	s_or_b32 exec_lo, exec_lo, s3
	v_cmp_ngt_f32_e64 s3, 0x3f200000, |v1|
                                        ; implicit-def: $vgpr194
	s_and_saveexec_b32 s4, s3
	s_wait_alu 0xfffe
	s_xor_b32 s3, exec_lo, s4
	s_cbranch_execz .LBB25_512
; %bb.511:                              ;   in Loop: Header=BB25_506 Depth=2
	v_add_f32_e64 v8, |v1|, |v1|
	s_delay_alu instid0(VALU_DEP_1) | instskip(SKIP_1) | instid1(VALU_DEP_2)
	v_mul_f32_e32 v9, 0x3fb8aa3b, v8
	v_cmp_ngt_f32_e32 vcc_lo, 0xc2ce8ed0, v8
	v_rndne_f32_e32 v10, v9
	v_fma_f32 v11, 0x3fb8aa3b, v8, -v9
	s_delay_alu instid0(VALU_DEP_2) | instskip(NEXT) | instid1(VALU_DEP_2)
	v_sub_f32_e32 v9, v9, v10
	v_fmac_f32_e32 v11, 0x32a5705f, v8
	v_cvt_i32_f32_e32 v10, v10
	s_delay_alu instid0(VALU_DEP_2) | instskip(NEXT) | instid1(VALU_DEP_1)
	v_add_f32_e32 v9, v9, v11
	v_exp_f32_e32 v9, v9
	s_delay_alu instid0(TRANS32_DEP_1) | instskip(SKIP_1) | instid1(VALU_DEP_1)
	v_ldexp_f32 v9, v9, v10
	s_wait_alu 0xfffd
	v_cndmask_b32_e32 v9, 0, v9, vcc_lo
	v_cmp_nlt_f32_e32 vcc_lo, 0x42b17218, v8
	s_wait_alu 0xfffd
	s_delay_alu instid0(VALU_DEP_2) | instskip(NEXT) | instid1(VALU_DEP_1)
	v_cndmask_b32_e32 v8, 0x7f800000, v9, vcc_lo
	v_add_f32_e32 v8, 1.0, v8
	s_delay_alu instid0(VALU_DEP_1) | instskip(NEXT) | instid1(TRANS32_DEP_1)
	v_rcp_f32_e32 v8, v8
	v_fma_f32 v194, v8, -2.0, 1.0
.LBB25_512:                             ;   in Loop: Header=BB25_506 Depth=2
	s_wait_alu 0xfffe
	s_and_not1_saveexec_b32 s3, s3
	s_cbranch_execz .LBB25_514
; %bb.513:                              ;   in Loop: Header=BB25_506 Depth=2
	v_mul_f32_e32 v8, v1, v1
	s_delay_alu instid0(VALU_DEP_1) | instskip(NEXT) | instid1(VALU_DEP_1)
	v_fmaak_f32 v9, s39, v8, 0x3ca908c9
	v_fmaak_f32 v9, v8, v9, 0xbd5c1c4e
	s_delay_alu instid0(VALU_DEP_1) | instskip(NEXT) | instid1(VALU_DEP_1)
	v_fmaak_f32 v9, v8, v9, 0x3e088382
	v_fmaak_f32 v9, v8, v9, 0xbeaaaa99
	s_delay_alu instid0(VALU_DEP_1) | instskip(NEXT) | instid1(VALU_DEP_1)
	v_mul_f32_e64 v9, |v1|, v9
	v_fma_f32 v194, v8, v9, |v1|
.LBB25_514:                             ;   in Loop: Header=BB25_506 Depth=2
	s_wait_alu 0xfffe
	s_or_b32 exec_lo, exec_lo, s3
	v_cmp_ngt_f32_e64 s3, 0x3f200000, |v2|
                                        ; implicit-def: $vgpr195
	s_and_saveexec_b32 s4, s3
	s_wait_alu 0xfffe
	s_xor_b32 s3, exec_lo, s4
	s_cbranch_execz .LBB25_516
; %bb.515:                              ;   in Loop: Header=BB25_506 Depth=2
	v_add_f32_e64 v8, |v2|, |v2|
	s_delay_alu instid0(VALU_DEP_1) | instskip(SKIP_1) | instid1(VALU_DEP_2)
	v_mul_f32_e32 v9, 0x3fb8aa3b, v8
	v_cmp_ngt_f32_e32 vcc_lo, 0xc2ce8ed0, v8
	v_rndne_f32_e32 v10, v9
	v_fma_f32 v11, 0x3fb8aa3b, v8, -v9
	s_delay_alu instid0(VALU_DEP_2) | instskip(NEXT) | instid1(VALU_DEP_2)
	v_sub_f32_e32 v9, v9, v10
	v_fmac_f32_e32 v11, 0x32a5705f, v8
	v_cvt_i32_f32_e32 v10, v10
	s_delay_alu instid0(VALU_DEP_2) | instskip(NEXT) | instid1(VALU_DEP_1)
	v_add_f32_e32 v9, v9, v11
	v_exp_f32_e32 v9, v9
	s_delay_alu instid0(TRANS32_DEP_1) | instskip(SKIP_1) | instid1(VALU_DEP_1)
	v_ldexp_f32 v9, v9, v10
	s_wait_alu 0xfffd
	v_cndmask_b32_e32 v9, 0, v9, vcc_lo
	v_cmp_nlt_f32_e32 vcc_lo, 0x42b17218, v8
	s_wait_alu 0xfffd
	s_delay_alu instid0(VALU_DEP_2) | instskip(NEXT) | instid1(VALU_DEP_1)
	v_cndmask_b32_e32 v8, 0x7f800000, v9, vcc_lo
	v_add_f32_e32 v8, 1.0, v8
	s_delay_alu instid0(VALU_DEP_1) | instskip(NEXT) | instid1(TRANS32_DEP_1)
	v_rcp_f32_e32 v8, v8
	v_fma_f32 v195, v8, -2.0, 1.0
.LBB25_516:                             ;   in Loop: Header=BB25_506 Depth=2
	s_wait_alu 0xfffe
	s_and_not1_saveexec_b32 s3, s3
	s_cbranch_execz .LBB25_518
; %bb.517:                              ;   in Loop: Header=BB25_506 Depth=2
	v_mul_f32_e32 v8, v2, v2
	s_delay_alu instid0(VALU_DEP_1) | instskip(NEXT) | instid1(VALU_DEP_1)
	v_fmaak_f32 v9, s39, v8, 0x3ca908c9
	v_fmaak_f32 v9, v8, v9, 0xbd5c1c4e
	s_delay_alu instid0(VALU_DEP_1) | instskip(NEXT) | instid1(VALU_DEP_1)
	v_fmaak_f32 v9, v8, v9, 0x3e088382
	v_fmaak_f32 v9, v8, v9, 0xbeaaaa99
	s_delay_alu instid0(VALU_DEP_1) | instskip(NEXT) | instid1(VALU_DEP_1)
	v_mul_f32_e64 v9, |v2|, v9
	v_fma_f32 v195, v8, v9, |v2|
.LBB25_518:                             ;   in Loop: Header=BB25_506 Depth=2
	s_wait_alu 0xfffe
	s_or_b32 exec_lo, exec_lo, s3
	v_cmp_ngt_f32_e64 s3, 0x3f200000, |v3|
                                        ; implicit-def: $vgpr196
	s_and_saveexec_b32 s4, s3
	s_wait_alu 0xfffe
	s_xor_b32 s3, exec_lo, s4
	s_cbranch_execz .LBB25_520
; %bb.519:                              ;   in Loop: Header=BB25_506 Depth=2
	v_add_f32_e64 v8, |v3|, |v3|
	s_delay_alu instid0(VALU_DEP_1) | instskip(SKIP_1) | instid1(VALU_DEP_2)
	v_mul_f32_e32 v9, 0x3fb8aa3b, v8
	v_cmp_ngt_f32_e32 vcc_lo, 0xc2ce8ed0, v8
	v_rndne_f32_e32 v10, v9
	v_fma_f32 v11, 0x3fb8aa3b, v8, -v9
	s_delay_alu instid0(VALU_DEP_2) | instskip(NEXT) | instid1(VALU_DEP_2)
	v_sub_f32_e32 v9, v9, v10
	v_fmac_f32_e32 v11, 0x32a5705f, v8
	v_cvt_i32_f32_e32 v10, v10
	s_delay_alu instid0(VALU_DEP_2) | instskip(NEXT) | instid1(VALU_DEP_1)
	v_add_f32_e32 v9, v9, v11
	v_exp_f32_e32 v9, v9
	s_delay_alu instid0(TRANS32_DEP_1) | instskip(SKIP_1) | instid1(VALU_DEP_1)
	v_ldexp_f32 v9, v9, v10
	s_wait_alu 0xfffd
	v_cndmask_b32_e32 v9, 0, v9, vcc_lo
	v_cmp_nlt_f32_e32 vcc_lo, 0x42b17218, v8
	s_wait_alu 0xfffd
	s_delay_alu instid0(VALU_DEP_2) | instskip(NEXT) | instid1(VALU_DEP_1)
	v_cndmask_b32_e32 v8, 0x7f800000, v9, vcc_lo
	v_add_f32_e32 v8, 1.0, v8
	s_delay_alu instid0(VALU_DEP_1) | instskip(NEXT) | instid1(TRANS32_DEP_1)
	v_rcp_f32_e32 v8, v8
	v_fma_f32 v196, v8, -2.0, 1.0
.LBB25_520:                             ;   in Loop: Header=BB25_506 Depth=2
	s_wait_alu 0xfffe
	s_and_not1_saveexec_b32 s3, s3
	s_cbranch_execz .LBB25_522
; %bb.521:                              ;   in Loop: Header=BB25_506 Depth=2
	v_mul_f32_e32 v8, v3, v3
	s_delay_alu instid0(VALU_DEP_1) | instskip(NEXT) | instid1(VALU_DEP_1)
	v_fmaak_f32 v9, s39, v8, 0x3ca908c9
	v_fmaak_f32 v9, v8, v9, 0xbd5c1c4e
	s_delay_alu instid0(VALU_DEP_1) | instskip(NEXT) | instid1(VALU_DEP_1)
	v_fmaak_f32 v9, v8, v9, 0x3e088382
	v_fmaak_f32 v9, v8, v9, 0xbeaaaa99
	s_delay_alu instid0(VALU_DEP_1) | instskip(NEXT) | instid1(VALU_DEP_1)
	v_mul_f32_e64 v9, |v3|, v9
	v_fma_f32 v196, v8, v9, |v3|
.LBB25_522:                             ;   in Loop: Header=BB25_506 Depth=2
	s_wait_alu 0xfffe
	s_or_b32 exec_lo, exec_lo, s3
	v_cmp_ngt_f32_e64 s3, 0x3f200000, |v4|
                                        ; implicit-def: $vgpr197
	s_and_saveexec_b32 s4, s3
	s_wait_alu 0xfffe
	s_xor_b32 s3, exec_lo, s4
	s_cbranch_execz .LBB25_524
; %bb.523:                              ;   in Loop: Header=BB25_506 Depth=2
	v_add_f32_e64 v8, |v4|, |v4|
	s_delay_alu instid0(VALU_DEP_1) | instskip(SKIP_1) | instid1(VALU_DEP_2)
	v_mul_f32_e32 v9, 0x3fb8aa3b, v8
	v_cmp_ngt_f32_e32 vcc_lo, 0xc2ce8ed0, v8
	v_rndne_f32_e32 v10, v9
	v_fma_f32 v11, 0x3fb8aa3b, v8, -v9
	s_delay_alu instid0(VALU_DEP_2) | instskip(NEXT) | instid1(VALU_DEP_2)
	v_sub_f32_e32 v9, v9, v10
	v_fmac_f32_e32 v11, 0x32a5705f, v8
	v_cvt_i32_f32_e32 v10, v10
	s_delay_alu instid0(VALU_DEP_2) | instskip(NEXT) | instid1(VALU_DEP_1)
	v_add_f32_e32 v9, v9, v11
	v_exp_f32_e32 v9, v9
	s_delay_alu instid0(TRANS32_DEP_1) | instskip(SKIP_1) | instid1(VALU_DEP_1)
	v_ldexp_f32 v9, v9, v10
	s_wait_alu 0xfffd
	v_cndmask_b32_e32 v9, 0, v9, vcc_lo
	v_cmp_nlt_f32_e32 vcc_lo, 0x42b17218, v8
	s_wait_alu 0xfffd
	s_delay_alu instid0(VALU_DEP_2) | instskip(NEXT) | instid1(VALU_DEP_1)
	v_cndmask_b32_e32 v8, 0x7f800000, v9, vcc_lo
	v_add_f32_e32 v8, 1.0, v8
	s_delay_alu instid0(VALU_DEP_1) | instskip(NEXT) | instid1(TRANS32_DEP_1)
	v_rcp_f32_e32 v8, v8
	v_fma_f32 v197, v8, -2.0, 1.0
.LBB25_524:                             ;   in Loop: Header=BB25_506 Depth=2
	s_wait_alu 0xfffe
	s_and_not1_saveexec_b32 s3, s3
	s_cbranch_execz .LBB25_526
; %bb.525:                              ;   in Loop: Header=BB25_506 Depth=2
	v_mul_f32_e32 v8, v4, v4
	s_delay_alu instid0(VALU_DEP_1) | instskip(NEXT) | instid1(VALU_DEP_1)
	v_fmaak_f32 v9, s39, v8, 0x3ca908c9
	v_fmaak_f32 v9, v8, v9, 0xbd5c1c4e
	s_delay_alu instid0(VALU_DEP_1) | instskip(NEXT) | instid1(VALU_DEP_1)
	v_fmaak_f32 v9, v8, v9, 0x3e088382
	v_fmaak_f32 v9, v8, v9, 0xbeaaaa99
	s_delay_alu instid0(VALU_DEP_1) | instskip(NEXT) | instid1(VALU_DEP_1)
	v_mul_f32_e64 v9, |v4|, v9
	v_fma_f32 v197, v8, v9, |v4|
.LBB25_526:                             ;   in Loop: Header=BB25_506 Depth=2
	s_wait_alu 0xfffe
	s_or_b32 exec_lo, exec_lo, s3
	v_cmp_ngt_f32_e64 s3, 0x3f200000, |v5|
                                        ; implicit-def: $vgpr198
	s_and_saveexec_b32 s4, s3
	s_wait_alu 0xfffe
	s_xor_b32 s3, exec_lo, s4
	s_cbranch_execz .LBB25_528
; %bb.527:                              ;   in Loop: Header=BB25_506 Depth=2
	v_add_f32_e64 v8, |v5|, |v5|
	s_delay_alu instid0(VALU_DEP_1) | instskip(SKIP_1) | instid1(VALU_DEP_2)
	v_mul_f32_e32 v9, 0x3fb8aa3b, v8
	v_cmp_ngt_f32_e32 vcc_lo, 0xc2ce8ed0, v8
	v_rndne_f32_e32 v10, v9
	v_fma_f32 v11, 0x3fb8aa3b, v8, -v9
	s_delay_alu instid0(VALU_DEP_2) | instskip(NEXT) | instid1(VALU_DEP_2)
	v_sub_f32_e32 v9, v9, v10
	v_fmac_f32_e32 v11, 0x32a5705f, v8
	v_cvt_i32_f32_e32 v10, v10
	s_delay_alu instid0(VALU_DEP_2) | instskip(NEXT) | instid1(VALU_DEP_1)
	v_add_f32_e32 v9, v9, v11
	v_exp_f32_e32 v9, v9
	s_delay_alu instid0(TRANS32_DEP_1) | instskip(SKIP_1) | instid1(VALU_DEP_1)
	v_ldexp_f32 v9, v9, v10
	s_wait_alu 0xfffd
	v_cndmask_b32_e32 v9, 0, v9, vcc_lo
	v_cmp_nlt_f32_e32 vcc_lo, 0x42b17218, v8
	s_wait_alu 0xfffd
	s_delay_alu instid0(VALU_DEP_2) | instskip(NEXT) | instid1(VALU_DEP_1)
	v_cndmask_b32_e32 v8, 0x7f800000, v9, vcc_lo
	v_add_f32_e32 v8, 1.0, v8
	s_delay_alu instid0(VALU_DEP_1) | instskip(NEXT) | instid1(TRANS32_DEP_1)
	v_rcp_f32_e32 v8, v8
	v_fma_f32 v198, v8, -2.0, 1.0
.LBB25_528:                             ;   in Loop: Header=BB25_506 Depth=2
	s_wait_alu 0xfffe
	s_and_not1_saveexec_b32 s3, s3
	s_cbranch_execz .LBB25_530
; %bb.529:                              ;   in Loop: Header=BB25_506 Depth=2
	v_mul_f32_e32 v8, v5, v5
	s_delay_alu instid0(VALU_DEP_1) | instskip(NEXT) | instid1(VALU_DEP_1)
	v_fmaak_f32 v9, s39, v8, 0x3ca908c9
	v_fmaak_f32 v9, v8, v9, 0xbd5c1c4e
	s_delay_alu instid0(VALU_DEP_1) | instskip(NEXT) | instid1(VALU_DEP_1)
	v_fmaak_f32 v9, v8, v9, 0x3e088382
	v_fmaak_f32 v9, v8, v9, 0xbeaaaa99
	s_delay_alu instid0(VALU_DEP_1) | instskip(NEXT) | instid1(VALU_DEP_1)
	v_mul_f32_e64 v9, |v5|, v9
	v_fma_f32 v198, v8, v9, |v5|
.LBB25_530:                             ;   in Loop: Header=BB25_506 Depth=2
	s_wait_alu 0xfffe
	s_or_b32 exec_lo, exec_lo, s3
	v_cmp_ngt_f32_e64 s3, 0x3f200000, |v6|
                                        ; implicit-def: $vgpr199
	s_and_saveexec_b32 s4, s3
	s_wait_alu 0xfffe
	s_xor_b32 s3, exec_lo, s4
	s_cbranch_execz .LBB25_532
; %bb.531:                              ;   in Loop: Header=BB25_506 Depth=2
	v_add_f32_e64 v8, |v6|, |v6|
	s_delay_alu instid0(VALU_DEP_1) | instskip(SKIP_1) | instid1(VALU_DEP_2)
	v_mul_f32_e32 v9, 0x3fb8aa3b, v8
	v_cmp_ngt_f32_e32 vcc_lo, 0xc2ce8ed0, v8
	v_rndne_f32_e32 v10, v9
	v_fma_f32 v11, 0x3fb8aa3b, v8, -v9
	s_delay_alu instid0(VALU_DEP_2) | instskip(NEXT) | instid1(VALU_DEP_2)
	v_sub_f32_e32 v9, v9, v10
	v_fmac_f32_e32 v11, 0x32a5705f, v8
	v_cvt_i32_f32_e32 v10, v10
	s_delay_alu instid0(VALU_DEP_2) | instskip(NEXT) | instid1(VALU_DEP_1)
	v_add_f32_e32 v9, v9, v11
	v_exp_f32_e32 v9, v9
	s_delay_alu instid0(TRANS32_DEP_1) | instskip(SKIP_1) | instid1(VALU_DEP_1)
	v_ldexp_f32 v9, v9, v10
	s_wait_alu 0xfffd
	v_cndmask_b32_e32 v9, 0, v9, vcc_lo
	v_cmp_nlt_f32_e32 vcc_lo, 0x42b17218, v8
	s_wait_alu 0xfffd
	s_delay_alu instid0(VALU_DEP_2) | instskip(NEXT) | instid1(VALU_DEP_1)
	v_cndmask_b32_e32 v8, 0x7f800000, v9, vcc_lo
	v_add_f32_e32 v8, 1.0, v8
	s_delay_alu instid0(VALU_DEP_1) | instskip(NEXT) | instid1(TRANS32_DEP_1)
	v_rcp_f32_e32 v8, v8
	v_fma_f32 v199, v8, -2.0, 1.0
.LBB25_532:                             ;   in Loop: Header=BB25_506 Depth=2
	s_wait_alu 0xfffe
	s_and_not1_saveexec_b32 s3, s3
	s_cbranch_execz .LBB25_534
; %bb.533:                              ;   in Loop: Header=BB25_506 Depth=2
	v_mul_f32_e32 v8, v6, v6
	s_delay_alu instid0(VALU_DEP_1) | instskip(NEXT) | instid1(VALU_DEP_1)
	v_fmaak_f32 v9, s39, v8, 0x3ca908c9
	v_fmaak_f32 v9, v8, v9, 0xbd5c1c4e
	s_delay_alu instid0(VALU_DEP_1) | instskip(NEXT) | instid1(VALU_DEP_1)
	v_fmaak_f32 v9, v8, v9, 0x3e088382
	v_fmaak_f32 v9, v8, v9, 0xbeaaaa99
	s_delay_alu instid0(VALU_DEP_1) | instskip(NEXT) | instid1(VALU_DEP_1)
	v_mul_f32_e64 v9, |v6|, v9
	v_fma_f32 v199, v8, v9, |v6|
.LBB25_534:                             ;   in Loop: Header=BB25_506 Depth=2
	s_wait_alu 0xfffe
	s_or_b32 exec_lo, exec_lo, s3
	v_cmp_ngt_f32_e64 s3, 0x3f200000, |v7|
                                        ; implicit-def: $vgpr200
	s_and_saveexec_b32 s4, s3
	s_wait_alu 0xfffe
	s_xor_b32 s3, exec_lo, s4
	s_cbranch_execz .LBB25_536
; %bb.535:                              ;   in Loop: Header=BB25_506 Depth=2
	v_add_f32_e64 v8, |v7|, |v7|
	s_delay_alu instid0(VALU_DEP_1) | instskip(SKIP_1) | instid1(VALU_DEP_2)
	v_mul_f32_e32 v9, 0x3fb8aa3b, v8
	v_cmp_ngt_f32_e32 vcc_lo, 0xc2ce8ed0, v8
	v_rndne_f32_e32 v10, v9
	v_fma_f32 v11, 0x3fb8aa3b, v8, -v9
	s_delay_alu instid0(VALU_DEP_2) | instskip(NEXT) | instid1(VALU_DEP_2)
	v_sub_f32_e32 v9, v9, v10
	v_fmac_f32_e32 v11, 0x32a5705f, v8
	v_cvt_i32_f32_e32 v10, v10
	s_delay_alu instid0(VALU_DEP_2) | instskip(NEXT) | instid1(VALU_DEP_1)
	v_add_f32_e32 v9, v9, v11
	v_exp_f32_e32 v9, v9
	s_delay_alu instid0(TRANS32_DEP_1) | instskip(SKIP_1) | instid1(VALU_DEP_1)
	v_ldexp_f32 v9, v9, v10
	s_wait_alu 0xfffd
	v_cndmask_b32_e32 v9, 0, v9, vcc_lo
	v_cmp_nlt_f32_e32 vcc_lo, 0x42b17218, v8
	s_wait_alu 0xfffd
	s_delay_alu instid0(VALU_DEP_2) | instskip(NEXT) | instid1(VALU_DEP_1)
	v_cndmask_b32_e32 v8, 0x7f800000, v9, vcc_lo
	v_add_f32_e32 v8, 1.0, v8
	s_delay_alu instid0(VALU_DEP_1) | instskip(NEXT) | instid1(TRANS32_DEP_1)
	v_rcp_f32_e32 v8, v8
	v_fma_f32 v200, v8, -2.0, 1.0
.LBB25_536:                             ;   in Loop: Header=BB25_506 Depth=2
	s_wait_alu 0xfffe
	s_and_not1_saveexec_b32 s3, s3
	s_cbranch_execz .LBB25_538
; %bb.537:                              ;   in Loop: Header=BB25_506 Depth=2
	v_mul_f32_e32 v8, v7, v7
	s_delay_alu instid0(VALU_DEP_1) | instskip(NEXT) | instid1(VALU_DEP_1)
	v_fmaak_f32 v9, s39, v8, 0x3ca908c9
	v_fmaak_f32 v9, v8, v9, 0xbd5c1c4e
	s_delay_alu instid0(VALU_DEP_1) | instskip(NEXT) | instid1(VALU_DEP_1)
	v_fmaak_f32 v9, v8, v9, 0x3e088382
	v_fmaak_f32 v9, v8, v9, 0xbeaaaa99
	s_delay_alu instid0(VALU_DEP_1) | instskip(NEXT) | instid1(VALU_DEP_1)
	v_mul_f32_e64 v9, |v7|, v9
	v_fma_f32 v200, v8, v9, |v7|
.LBB25_538:                             ;   in Loop: Header=BB25_506 Depth=2
	s_wait_alu 0xfffe
	s_or_b32 exec_lo, exec_lo, s3
	v_wmma_f32_16x16x16_f16 v[8:15], v[172:175], v[92:95], 0
	s_delay_alu instid0(VALU_DEP_1) | instskip(NEXT) | instid1(VALU_DEP_1)
	v_wmma_f32_16x16x16_f16 v[8:15], v[168:171], v[88:91], v[8:15]
	v_wmma_f32_16x16x16_f16 v[8:15], v[164:167], v[84:87], v[8:15]
	s_delay_alu instid0(VALU_DEP_1) | instskip(NEXT) | instid1(VALU_DEP_1)
	v_wmma_f32_16x16x16_f16 v[8:15], v[160:163], v[80:83], v[8:15]
	;; [unrolled: 3-line block ×3, first 2 shown]
                                        ; implicit-def: $vgpr152
	v_wmma_f32_16x16x16_f16 v[8:15], v[20:23], v[68:71], v[8:15]
	s_delay_alu instid0(VALU_DEP_1) | instskip(NEXT) | instid1(VALU_DEP_1)
	v_wmma_f32_16x16x16_f16 v[8:15], v[16:19], v[64:67], v[8:15]
	v_cmp_ngt_f32_e64 s3, 0x3f200000, |v8|
	s_and_saveexec_b32 s4, s3
	s_wait_alu 0xfffe
	s_xor_b32 s3, exec_lo, s4
	s_cbranch_execz .LBB25_540
; %bb.539:                              ;   in Loop: Header=BB25_506 Depth=2
	v_add_f32_e64 v16, |v8|, |v8|
	s_delay_alu instid0(VALU_DEP_1) | instskip(SKIP_1) | instid1(VALU_DEP_2)
	v_mul_f32_e32 v17, 0x3fb8aa3b, v16
	v_cmp_ngt_f32_e32 vcc_lo, 0xc2ce8ed0, v16
	v_rndne_f32_e32 v18, v17
	v_fma_f32 v19, 0x3fb8aa3b, v16, -v17
	s_delay_alu instid0(VALU_DEP_2) | instskip(NEXT) | instid1(VALU_DEP_2)
	v_sub_f32_e32 v17, v17, v18
	v_fmac_f32_e32 v19, 0x32a5705f, v16
	v_cvt_i32_f32_e32 v18, v18
	s_delay_alu instid0(VALU_DEP_2) | instskip(NEXT) | instid1(VALU_DEP_1)
	v_add_f32_e32 v17, v17, v19
	v_exp_f32_e32 v17, v17
	s_delay_alu instid0(TRANS32_DEP_1) | instskip(SKIP_1) | instid1(VALU_DEP_1)
	v_ldexp_f32 v17, v17, v18
	s_wait_alu 0xfffd
	v_cndmask_b32_e32 v17, 0, v17, vcc_lo
	v_cmp_nlt_f32_e32 vcc_lo, 0x42b17218, v16
	s_wait_alu 0xfffd
	s_delay_alu instid0(VALU_DEP_2) | instskip(NEXT) | instid1(VALU_DEP_1)
	v_cndmask_b32_e32 v16, 0x7f800000, v17, vcc_lo
	v_add_f32_e32 v16, 1.0, v16
	s_delay_alu instid0(VALU_DEP_1) | instskip(NEXT) | instid1(TRANS32_DEP_1)
	v_rcp_f32_e32 v16, v16
	v_fma_f32 v152, v16, -2.0, 1.0
.LBB25_540:                             ;   in Loop: Header=BB25_506 Depth=2
	s_wait_alu 0xfffe
	s_and_not1_saveexec_b32 s3, s3
	s_cbranch_execz .LBB25_542
; %bb.541:                              ;   in Loop: Header=BB25_506 Depth=2
	v_mul_f32_e32 v16, v8, v8
	s_delay_alu instid0(VALU_DEP_1) | instskip(NEXT) | instid1(VALU_DEP_1)
	v_fmaak_f32 v17, s39, v16, 0x3ca908c9
	v_fmaak_f32 v17, v16, v17, 0xbd5c1c4e
	s_delay_alu instid0(VALU_DEP_1) | instskip(NEXT) | instid1(VALU_DEP_1)
	v_fmaak_f32 v17, v16, v17, 0x3e088382
	v_fmaak_f32 v17, v16, v17, 0xbeaaaa99
	s_delay_alu instid0(VALU_DEP_1) | instskip(NEXT) | instid1(VALU_DEP_1)
	v_mul_f32_e64 v17, |v8|, v17
	v_fma_f32 v152, v16, v17, |v8|
.LBB25_542:                             ;   in Loop: Header=BB25_506 Depth=2
	s_wait_alu 0xfffe
	s_or_b32 exec_lo, exec_lo, s3
	v_cmp_ngt_f32_e64 s3, 0x3f200000, |v9|
                                        ; implicit-def: $vgpr153
	s_and_saveexec_b32 s4, s3
	s_wait_alu 0xfffe
	s_xor_b32 s3, exec_lo, s4
	s_cbranch_execz .LBB25_544
; %bb.543:                              ;   in Loop: Header=BB25_506 Depth=2
	v_add_f32_e64 v16, |v9|, |v9|
	s_delay_alu instid0(VALU_DEP_1) | instskip(SKIP_1) | instid1(VALU_DEP_2)
	v_mul_f32_e32 v17, 0x3fb8aa3b, v16
	v_cmp_ngt_f32_e32 vcc_lo, 0xc2ce8ed0, v16
	v_rndne_f32_e32 v18, v17
	v_fma_f32 v19, 0x3fb8aa3b, v16, -v17
	s_delay_alu instid0(VALU_DEP_2) | instskip(NEXT) | instid1(VALU_DEP_2)
	v_sub_f32_e32 v17, v17, v18
	v_fmac_f32_e32 v19, 0x32a5705f, v16
	v_cvt_i32_f32_e32 v18, v18
	s_delay_alu instid0(VALU_DEP_2) | instskip(NEXT) | instid1(VALU_DEP_1)
	v_add_f32_e32 v17, v17, v19
	v_exp_f32_e32 v17, v17
	s_delay_alu instid0(TRANS32_DEP_1) | instskip(SKIP_1) | instid1(VALU_DEP_1)
	v_ldexp_f32 v17, v17, v18
	s_wait_alu 0xfffd
	v_cndmask_b32_e32 v17, 0, v17, vcc_lo
	v_cmp_nlt_f32_e32 vcc_lo, 0x42b17218, v16
	s_wait_alu 0xfffd
	s_delay_alu instid0(VALU_DEP_2) | instskip(NEXT) | instid1(VALU_DEP_1)
	v_cndmask_b32_e32 v16, 0x7f800000, v17, vcc_lo
	v_add_f32_e32 v16, 1.0, v16
	s_delay_alu instid0(VALU_DEP_1) | instskip(NEXT) | instid1(TRANS32_DEP_1)
	v_rcp_f32_e32 v16, v16
	v_fma_f32 v153, v16, -2.0, 1.0
.LBB25_544:                             ;   in Loop: Header=BB25_506 Depth=2
	s_wait_alu 0xfffe
	s_and_not1_saveexec_b32 s3, s3
	s_cbranch_execz .LBB25_546
; %bb.545:                              ;   in Loop: Header=BB25_506 Depth=2
	v_mul_f32_e32 v16, v9, v9
	s_delay_alu instid0(VALU_DEP_1) | instskip(NEXT) | instid1(VALU_DEP_1)
	v_fmaak_f32 v17, s39, v16, 0x3ca908c9
	v_fmaak_f32 v17, v16, v17, 0xbd5c1c4e
	s_delay_alu instid0(VALU_DEP_1) | instskip(NEXT) | instid1(VALU_DEP_1)
	v_fmaak_f32 v17, v16, v17, 0x3e088382
	v_fmaak_f32 v17, v16, v17, 0xbeaaaa99
	s_delay_alu instid0(VALU_DEP_1) | instskip(NEXT) | instid1(VALU_DEP_1)
	v_mul_f32_e64 v17, |v9|, v17
	v_fma_f32 v153, v16, v17, |v9|
.LBB25_546:                             ;   in Loop: Header=BB25_506 Depth=2
	s_wait_alu 0xfffe
	s_or_b32 exec_lo, exec_lo, s3
	v_cmp_ngt_f32_e64 s3, 0x3f200000, |v10|
                                        ; implicit-def: $vgpr154
	s_and_saveexec_b32 s4, s3
	s_wait_alu 0xfffe
	s_xor_b32 s3, exec_lo, s4
	s_cbranch_execz .LBB25_548
; %bb.547:                              ;   in Loop: Header=BB25_506 Depth=2
	v_add_f32_e64 v16, |v10|, |v10|
	s_delay_alu instid0(VALU_DEP_1) | instskip(SKIP_1) | instid1(VALU_DEP_2)
	v_mul_f32_e32 v17, 0x3fb8aa3b, v16
	v_cmp_ngt_f32_e32 vcc_lo, 0xc2ce8ed0, v16
	v_rndne_f32_e32 v18, v17
	v_fma_f32 v19, 0x3fb8aa3b, v16, -v17
	s_delay_alu instid0(VALU_DEP_2) | instskip(NEXT) | instid1(VALU_DEP_2)
	v_sub_f32_e32 v17, v17, v18
	v_fmac_f32_e32 v19, 0x32a5705f, v16
	v_cvt_i32_f32_e32 v18, v18
	s_delay_alu instid0(VALU_DEP_2) | instskip(NEXT) | instid1(VALU_DEP_1)
	v_add_f32_e32 v17, v17, v19
	v_exp_f32_e32 v17, v17
	s_delay_alu instid0(TRANS32_DEP_1) | instskip(SKIP_1) | instid1(VALU_DEP_1)
	v_ldexp_f32 v17, v17, v18
	s_wait_alu 0xfffd
	v_cndmask_b32_e32 v17, 0, v17, vcc_lo
	v_cmp_nlt_f32_e32 vcc_lo, 0x42b17218, v16
	s_wait_alu 0xfffd
	s_delay_alu instid0(VALU_DEP_2) | instskip(NEXT) | instid1(VALU_DEP_1)
	v_cndmask_b32_e32 v16, 0x7f800000, v17, vcc_lo
	v_add_f32_e32 v16, 1.0, v16
	s_delay_alu instid0(VALU_DEP_1) | instskip(NEXT) | instid1(TRANS32_DEP_1)
	v_rcp_f32_e32 v16, v16
	v_fma_f32 v154, v16, -2.0, 1.0
.LBB25_548:                             ;   in Loop: Header=BB25_506 Depth=2
	s_wait_alu 0xfffe
	s_and_not1_saveexec_b32 s3, s3
	s_cbranch_execz .LBB25_550
; %bb.549:                              ;   in Loop: Header=BB25_506 Depth=2
	v_mul_f32_e32 v16, v10, v10
	s_delay_alu instid0(VALU_DEP_1) | instskip(NEXT) | instid1(VALU_DEP_1)
	v_fmaak_f32 v17, s39, v16, 0x3ca908c9
	v_fmaak_f32 v17, v16, v17, 0xbd5c1c4e
	s_delay_alu instid0(VALU_DEP_1) | instskip(NEXT) | instid1(VALU_DEP_1)
	v_fmaak_f32 v17, v16, v17, 0x3e088382
	v_fmaak_f32 v17, v16, v17, 0xbeaaaa99
	s_delay_alu instid0(VALU_DEP_1) | instskip(NEXT) | instid1(VALU_DEP_1)
	v_mul_f32_e64 v17, |v10|, v17
	v_fma_f32 v154, v16, v17, |v10|
.LBB25_550:                             ;   in Loop: Header=BB25_506 Depth=2
	s_wait_alu 0xfffe
	s_or_b32 exec_lo, exec_lo, s3
	v_cmp_ngt_f32_e64 s3, 0x3f200000, |v11|
                                        ; implicit-def: $vgpr155
	s_and_saveexec_b32 s4, s3
	s_wait_alu 0xfffe
	s_xor_b32 s3, exec_lo, s4
	s_cbranch_execz .LBB25_552
; %bb.551:                              ;   in Loop: Header=BB25_506 Depth=2
	v_add_f32_e64 v16, |v11|, |v11|
	s_delay_alu instid0(VALU_DEP_1) | instskip(SKIP_1) | instid1(VALU_DEP_2)
	v_mul_f32_e32 v17, 0x3fb8aa3b, v16
	v_cmp_ngt_f32_e32 vcc_lo, 0xc2ce8ed0, v16
	v_rndne_f32_e32 v18, v17
	v_fma_f32 v19, 0x3fb8aa3b, v16, -v17
	s_delay_alu instid0(VALU_DEP_2) | instskip(NEXT) | instid1(VALU_DEP_2)
	v_sub_f32_e32 v17, v17, v18
	v_fmac_f32_e32 v19, 0x32a5705f, v16
	v_cvt_i32_f32_e32 v18, v18
	s_delay_alu instid0(VALU_DEP_2) | instskip(NEXT) | instid1(VALU_DEP_1)
	v_add_f32_e32 v17, v17, v19
	v_exp_f32_e32 v17, v17
	s_delay_alu instid0(TRANS32_DEP_1) | instskip(SKIP_1) | instid1(VALU_DEP_1)
	v_ldexp_f32 v17, v17, v18
	s_wait_alu 0xfffd
	v_cndmask_b32_e32 v17, 0, v17, vcc_lo
	v_cmp_nlt_f32_e32 vcc_lo, 0x42b17218, v16
	s_wait_alu 0xfffd
	s_delay_alu instid0(VALU_DEP_2) | instskip(NEXT) | instid1(VALU_DEP_1)
	v_cndmask_b32_e32 v16, 0x7f800000, v17, vcc_lo
	v_add_f32_e32 v16, 1.0, v16
	s_delay_alu instid0(VALU_DEP_1) | instskip(NEXT) | instid1(TRANS32_DEP_1)
	v_rcp_f32_e32 v16, v16
	v_fma_f32 v155, v16, -2.0, 1.0
.LBB25_552:                             ;   in Loop: Header=BB25_506 Depth=2
	s_wait_alu 0xfffe
	s_and_not1_saveexec_b32 s3, s3
	s_cbranch_execz .LBB25_554
; %bb.553:                              ;   in Loop: Header=BB25_506 Depth=2
	v_mul_f32_e32 v16, v11, v11
	s_delay_alu instid0(VALU_DEP_1) | instskip(NEXT) | instid1(VALU_DEP_1)
	v_fmaak_f32 v17, s39, v16, 0x3ca908c9
	v_fmaak_f32 v17, v16, v17, 0xbd5c1c4e
	s_delay_alu instid0(VALU_DEP_1) | instskip(NEXT) | instid1(VALU_DEP_1)
	v_fmaak_f32 v17, v16, v17, 0x3e088382
	v_fmaak_f32 v17, v16, v17, 0xbeaaaa99
	s_delay_alu instid0(VALU_DEP_1) | instskip(NEXT) | instid1(VALU_DEP_1)
	v_mul_f32_e64 v17, |v11|, v17
	v_fma_f32 v155, v16, v17, |v11|
.LBB25_554:                             ;   in Loop: Header=BB25_506 Depth=2
	s_wait_alu 0xfffe
	s_or_b32 exec_lo, exec_lo, s3
	v_cmp_ngt_f32_e64 s3, 0x3f200000, |v12|
                                        ; implicit-def: $vgpr156
	s_and_saveexec_b32 s4, s3
	s_wait_alu 0xfffe
	s_xor_b32 s3, exec_lo, s4
	s_cbranch_execz .LBB25_556
; %bb.555:                              ;   in Loop: Header=BB25_506 Depth=2
	v_add_f32_e64 v16, |v12|, |v12|
	s_delay_alu instid0(VALU_DEP_1) | instskip(SKIP_1) | instid1(VALU_DEP_2)
	v_mul_f32_e32 v17, 0x3fb8aa3b, v16
	v_cmp_ngt_f32_e32 vcc_lo, 0xc2ce8ed0, v16
	v_rndne_f32_e32 v18, v17
	v_fma_f32 v19, 0x3fb8aa3b, v16, -v17
	s_delay_alu instid0(VALU_DEP_2) | instskip(NEXT) | instid1(VALU_DEP_2)
	v_sub_f32_e32 v17, v17, v18
	v_fmac_f32_e32 v19, 0x32a5705f, v16
	v_cvt_i32_f32_e32 v18, v18
	s_delay_alu instid0(VALU_DEP_2) | instskip(NEXT) | instid1(VALU_DEP_1)
	v_add_f32_e32 v17, v17, v19
	v_exp_f32_e32 v17, v17
	s_delay_alu instid0(TRANS32_DEP_1) | instskip(SKIP_1) | instid1(VALU_DEP_1)
	v_ldexp_f32 v17, v17, v18
	s_wait_alu 0xfffd
	v_cndmask_b32_e32 v17, 0, v17, vcc_lo
	v_cmp_nlt_f32_e32 vcc_lo, 0x42b17218, v16
	s_wait_alu 0xfffd
	s_delay_alu instid0(VALU_DEP_2) | instskip(NEXT) | instid1(VALU_DEP_1)
	v_cndmask_b32_e32 v16, 0x7f800000, v17, vcc_lo
	v_add_f32_e32 v16, 1.0, v16
	s_delay_alu instid0(VALU_DEP_1) | instskip(NEXT) | instid1(TRANS32_DEP_1)
	v_rcp_f32_e32 v16, v16
	v_fma_f32 v156, v16, -2.0, 1.0
.LBB25_556:                             ;   in Loop: Header=BB25_506 Depth=2
	s_wait_alu 0xfffe
	s_and_not1_saveexec_b32 s3, s3
	s_cbranch_execz .LBB25_558
; %bb.557:                              ;   in Loop: Header=BB25_506 Depth=2
	v_mul_f32_e32 v16, v12, v12
	s_delay_alu instid0(VALU_DEP_1) | instskip(NEXT) | instid1(VALU_DEP_1)
	v_fmaak_f32 v17, s39, v16, 0x3ca908c9
	v_fmaak_f32 v17, v16, v17, 0xbd5c1c4e
	s_delay_alu instid0(VALU_DEP_1) | instskip(NEXT) | instid1(VALU_DEP_1)
	v_fmaak_f32 v17, v16, v17, 0x3e088382
	v_fmaak_f32 v17, v16, v17, 0xbeaaaa99
	s_delay_alu instid0(VALU_DEP_1) | instskip(NEXT) | instid1(VALU_DEP_1)
	v_mul_f32_e64 v17, |v12|, v17
	v_fma_f32 v156, v16, v17, |v12|
.LBB25_558:                             ;   in Loop: Header=BB25_506 Depth=2
	s_wait_alu 0xfffe
	s_or_b32 exec_lo, exec_lo, s3
	v_cmp_ngt_f32_e64 s3, 0x3f200000, |v13|
                                        ; implicit-def: $vgpr158
	s_and_saveexec_b32 s4, s3
	s_wait_alu 0xfffe
	s_xor_b32 s3, exec_lo, s4
	s_cbranch_execz .LBB25_560
; %bb.559:                              ;   in Loop: Header=BB25_506 Depth=2
	v_add_f32_e64 v16, |v13|, |v13|
	s_delay_alu instid0(VALU_DEP_1) | instskip(SKIP_1) | instid1(VALU_DEP_2)
	v_mul_f32_e32 v17, 0x3fb8aa3b, v16
	v_cmp_ngt_f32_e32 vcc_lo, 0xc2ce8ed0, v16
	v_rndne_f32_e32 v18, v17
	v_fma_f32 v19, 0x3fb8aa3b, v16, -v17
	s_delay_alu instid0(VALU_DEP_2) | instskip(NEXT) | instid1(VALU_DEP_2)
	v_sub_f32_e32 v17, v17, v18
	v_fmac_f32_e32 v19, 0x32a5705f, v16
	v_cvt_i32_f32_e32 v18, v18
	s_delay_alu instid0(VALU_DEP_2) | instskip(NEXT) | instid1(VALU_DEP_1)
	v_add_f32_e32 v17, v17, v19
	v_exp_f32_e32 v17, v17
	s_delay_alu instid0(TRANS32_DEP_1) | instskip(SKIP_1) | instid1(VALU_DEP_1)
	v_ldexp_f32 v17, v17, v18
	s_wait_alu 0xfffd
	v_cndmask_b32_e32 v17, 0, v17, vcc_lo
	v_cmp_nlt_f32_e32 vcc_lo, 0x42b17218, v16
	s_wait_alu 0xfffd
	s_delay_alu instid0(VALU_DEP_2) | instskip(NEXT) | instid1(VALU_DEP_1)
	v_cndmask_b32_e32 v16, 0x7f800000, v17, vcc_lo
	v_add_f32_e32 v16, 1.0, v16
	s_delay_alu instid0(VALU_DEP_1) | instskip(NEXT) | instid1(TRANS32_DEP_1)
	v_rcp_f32_e32 v16, v16
	v_fma_f32 v158, v16, -2.0, 1.0
.LBB25_560:                             ;   in Loop: Header=BB25_506 Depth=2
	s_wait_alu 0xfffe
	s_and_not1_saveexec_b32 s3, s3
	s_cbranch_execz .LBB25_562
; %bb.561:                              ;   in Loop: Header=BB25_506 Depth=2
	v_mul_f32_e32 v16, v13, v13
	s_delay_alu instid0(VALU_DEP_1) | instskip(NEXT) | instid1(VALU_DEP_1)
	v_fmaak_f32 v17, s39, v16, 0x3ca908c9
	v_fmaak_f32 v17, v16, v17, 0xbd5c1c4e
	s_delay_alu instid0(VALU_DEP_1) | instskip(NEXT) | instid1(VALU_DEP_1)
	v_fmaak_f32 v17, v16, v17, 0x3e088382
	v_fmaak_f32 v17, v16, v17, 0xbeaaaa99
	s_delay_alu instid0(VALU_DEP_1) | instskip(NEXT) | instid1(VALU_DEP_1)
	v_mul_f32_e64 v17, |v13|, v17
	v_fma_f32 v158, v16, v17, |v13|
.LBB25_562:                             ;   in Loop: Header=BB25_506 Depth=2
	s_wait_alu 0xfffe
	s_or_b32 exec_lo, exec_lo, s3
	v_cmp_ngt_f32_e64 s3, 0x3f200000, |v14|
                                        ; implicit-def: $vgpr157
	s_and_saveexec_b32 s4, s3
	s_wait_alu 0xfffe
	s_xor_b32 s3, exec_lo, s4
	s_cbranch_execz .LBB25_564
; %bb.563:                              ;   in Loop: Header=BB25_506 Depth=2
	v_add_f32_e64 v16, |v14|, |v14|
	s_delay_alu instid0(VALU_DEP_1) | instskip(SKIP_1) | instid1(VALU_DEP_2)
	v_mul_f32_e32 v17, 0x3fb8aa3b, v16
	v_cmp_ngt_f32_e32 vcc_lo, 0xc2ce8ed0, v16
	v_rndne_f32_e32 v18, v17
	v_fma_f32 v19, 0x3fb8aa3b, v16, -v17
	s_delay_alu instid0(VALU_DEP_2) | instskip(NEXT) | instid1(VALU_DEP_2)
	v_sub_f32_e32 v17, v17, v18
	v_fmac_f32_e32 v19, 0x32a5705f, v16
	v_cvt_i32_f32_e32 v18, v18
	s_delay_alu instid0(VALU_DEP_2) | instskip(NEXT) | instid1(VALU_DEP_1)
	v_add_f32_e32 v17, v17, v19
	v_exp_f32_e32 v17, v17
	s_delay_alu instid0(TRANS32_DEP_1) | instskip(SKIP_1) | instid1(VALU_DEP_1)
	v_ldexp_f32 v17, v17, v18
	s_wait_alu 0xfffd
	v_cndmask_b32_e32 v17, 0, v17, vcc_lo
	v_cmp_nlt_f32_e32 vcc_lo, 0x42b17218, v16
	s_wait_alu 0xfffd
	s_delay_alu instid0(VALU_DEP_2) | instskip(NEXT) | instid1(VALU_DEP_1)
	v_cndmask_b32_e32 v16, 0x7f800000, v17, vcc_lo
	v_add_f32_e32 v16, 1.0, v16
	s_delay_alu instid0(VALU_DEP_1) | instskip(NEXT) | instid1(TRANS32_DEP_1)
	v_rcp_f32_e32 v16, v16
	v_fma_f32 v157, v16, -2.0, 1.0
.LBB25_564:                             ;   in Loop: Header=BB25_506 Depth=2
	s_wait_alu 0xfffe
	s_and_not1_saveexec_b32 s3, s3
	s_cbranch_execz .LBB25_566
; %bb.565:                              ;   in Loop: Header=BB25_506 Depth=2
	v_mul_f32_e32 v16, v14, v14
	s_delay_alu instid0(VALU_DEP_1) | instskip(NEXT) | instid1(VALU_DEP_1)
	v_fmaak_f32 v17, s39, v16, 0x3ca908c9
	v_fmaak_f32 v17, v16, v17, 0xbd5c1c4e
	s_delay_alu instid0(VALU_DEP_1) | instskip(NEXT) | instid1(VALU_DEP_1)
	v_fmaak_f32 v17, v16, v17, 0x3e088382
	v_fmaak_f32 v17, v16, v17, 0xbeaaaa99
	s_delay_alu instid0(VALU_DEP_1) | instskip(NEXT) | instid1(VALU_DEP_1)
	v_mul_f32_e64 v17, |v14|, v17
	v_fma_f32 v157, v16, v17, |v14|
.LBB25_566:                             ;   in Loop: Header=BB25_506 Depth=2
	s_wait_alu 0xfffe
	s_or_b32 exec_lo, exec_lo, s3
	v_cmp_ngt_f32_e64 s3, 0x3f200000, |v15|
                                        ; implicit-def: $vgpr159
	s_and_saveexec_b32 s4, s3
	s_wait_alu 0xfffe
	s_xor_b32 s3, exec_lo, s4
	s_cbranch_execz .LBB25_568
; %bb.567:                              ;   in Loop: Header=BB25_506 Depth=2
	v_add_f32_e64 v16, |v15|, |v15|
	s_delay_alu instid0(VALU_DEP_1) | instskip(SKIP_1) | instid1(VALU_DEP_2)
	v_mul_f32_e32 v17, 0x3fb8aa3b, v16
	v_cmp_ngt_f32_e32 vcc_lo, 0xc2ce8ed0, v16
	v_rndne_f32_e32 v18, v17
	v_fma_f32 v19, 0x3fb8aa3b, v16, -v17
	s_delay_alu instid0(VALU_DEP_2) | instskip(NEXT) | instid1(VALU_DEP_2)
	v_sub_f32_e32 v17, v17, v18
	v_fmac_f32_e32 v19, 0x32a5705f, v16
	v_cvt_i32_f32_e32 v18, v18
	s_delay_alu instid0(VALU_DEP_2) | instskip(NEXT) | instid1(VALU_DEP_1)
	v_add_f32_e32 v17, v17, v19
	v_exp_f32_e32 v17, v17
	s_delay_alu instid0(TRANS32_DEP_1) | instskip(SKIP_1) | instid1(VALU_DEP_1)
	v_ldexp_f32 v17, v17, v18
	s_wait_alu 0xfffd
	v_cndmask_b32_e32 v17, 0, v17, vcc_lo
	v_cmp_nlt_f32_e32 vcc_lo, 0x42b17218, v16
	s_wait_alu 0xfffd
	s_delay_alu instid0(VALU_DEP_2) | instskip(NEXT) | instid1(VALU_DEP_1)
	v_cndmask_b32_e32 v16, 0x7f800000, v17, vcc_lo
	v_add_f32_e32 v16, 1.0, v16
	s_delay_alu instid0(VALU_DEP_1) | instskip(NEXT) | instid1(TRANS32_DEP_1)
	v_rcp_f32_e32 v16, v16
	v_fma_f32 v159, v16, -2.0, 1.0
.LBB25_568:                             ;   in Loop: Header=BB25_506 Depth=2
	s_wait_alu 0xfffe
	s_and_not1_saveexec_b32 s3, s3
	s_cbranch_execz .LBB25_570
; %bb.569:                              ;   in Loop: Header=BB25_506 Depth=2
	v_mul_f32_e32 v16, v15, v15
	s_delay_alu instid0(VALU_DEP_1) | instskip(NEXT) | instid1(VALU_DEP_1)
	v_fmaak_f32 v17, s39, v16, 0x3ca908c9
	v_fmaak_f32 v17, v16, v17, 0xbd5c1c4e
	s_delay_alu instid0(VALU_DEP_1) | instskip(NEXT) | instid1(VALU_DEP_1)
	v_fmaak_f32 v17, v16, v17, 0x3e088382
	v_fmaak_f32 v17, v16, v17, 0xbeaaaa99
	s_delay_alu instid0(VALU_DEP_1) | instskip(NEXT) | instid1(VALU_DEP_1)
	v_mul_f32_e64 v17, |v15|, v17
	v_fma_f32 v159, v16, v17, |v15|
.LBB25_570:                             ;   in Loop: Header=BB25_506 Depth=2
	s_wait_alu 0xfffe
	s_or_b32 exec_lo, exec_lo, s3
	v_wmma_f32_16x16x16_f16 v[16:23], v[148:151], v[92:95], 0
	s_delay_alu instid0(VALU_DEP_1) | instskip(NEXT) | instid1(VALU_DEP_1)
	v_wmma_f32_16x16x16_f16 v[16:23], v[144:147], v[88:91], v[16:23]
	v_wmma_f32_16x16x16_f16 v[16:23], v[140:143], v[84:87], v[16:23]
	s_delay_alu instid0(VALU_DEP_1) | instskip(NEXT) | instid1(VALU_DEP_1)
	v_wmma_f32_16x16x16_f16 v[16:23], v[136:139], v[80:83], v[16:23]
	v_wmma_f32_16x16x16_f16 v[16:23], v[132:135], v[76:79], v[16:23]
	s_delay_alu instid0(VALU_DEP_1) | instskip(NEXT) | instid1(VALU_DEP_1)
	v_wmma_f32_16x16x16_f16 v[16:23], v[128:131], v[72:75], v[16:23]
                                        ; implicit-def: $vgpr128
	v_wmma_f32_16x16x16_f16 v[16:23], v[28:31], v[68:71], v[16:23]
	s_delay_alu instid0(VALU_DEP_1) | instskip(NEXT) | instid1(VALU_DEP_1)
	v_wmma_f32_16x16x16_f16 v[16:23], v[24:27], v[64:67], v[16:23]
	v_cmp_ngt_f32_e64 s3, 0x3f200000, |v16|
	s_and_saveexec_b32 s4, s3
	s_wait_alu 0xfffe
	s_xor_b32 s3, exec_lo, s4
	s_cbranch_execz .LBB25_572
; %bb.571:                              ;   in Loop: Header=BB25_506 Depth=2
	v_add_f32_e64 v24, |v16|, |v16|
	s_delay_alu instid0(VALU_DEP_1) | instskip(SKIP_1) | instid1(VALU_DEP_2)
	v_mul_f32_e32 v25, 0x3fb8aa3b, v24
	v_cmp_ngt_f32_e32 vcc_lo, 0xc2ce8ed0, v24
	v_rndne_f32_e32 v26, v25
	v_fma_f32 v27, 0x3fb8aa3b, v24, -v25
	s_delay_alu instid0(VALU_DEP_2) | instskip(NEXT) | instid1(VALU_DEP_2)
	v_sub_f32_e32 v25, v25, v26
	v_fmac_f32_e32 v27, 0x32a5705f, v24
	v_cvt_i32_f32_e32 v26, v26
	s_delay_alu instid0(VALU_DEP_2) | instskip(NEXT) | instid1(VALU_DEP_1)
	v_add_f32_e32 v25, v25, v27
	v_exp_f32_e32 v25, v25
	s_delay_alu instid0(TRANS32_DEP_1) | instskip(SKIP_1) | instid1(VALU_DEP_1)
	v_ldexp_f32 v25, v25, v26
	s_wait_alu 0xfffd
	v_cndmask_b32_e32 v25, 0, v25, vcc_lo
	v_cmp_nlt_f32_e32 vcc_lo, 0x42b17218, v24
	s_wait_alu 0xfffd
	s_delay_alu instid0(VALU_DEP_2) | instskip(NEXT) | instid1(VALU_DEP_1)
	v_cndmask_b32_e32 v24, 0x7f800000, v25, vcc_lo
	v_add_f32_e32 v24, 1.0, v24
	s_delay_alu instid0(VALU_DEP_1) | instskip(NEXT) | instid1(TRANS32_DEP_1)
	v_rcp_f32_e32 v24, v24
	v_fma_f32 v128, v24, -2.0, 1.0
.LBB25_572:                             ;   in Loop: Header=BB25_506 Depth=2
	s_wait_alu 0xfffe
	s_and_not1_saveexec_b32 s3, s3
	s_cbranch_execz .LBB25_574
; %bb.573:                              ;   in Loop: Header=BB25_506 Depth=2
	v_mul_f32_e32 v24, v16, v16
	s_delay_alu instid0(VALU_DEP_1) | instskip(NEXT) | instid1(VALU_DEP_1)
	v_fmaak_f32 v25, s39, v24, 0x3ca908c9
	v_fmaak_f32 v25, v24, v25, 0xbd5c1c4e
	s_delay_alu instid0(VALU_DEP_1) | instskip(NEXT) | instid1(VALU_DEP_1)
	v_fmaak_f32 v25, v24, v25, 0x3e088382
	v_fmaak_f32 v25, v24, v25, 0xbeaaaa99
	s_delay_alu instid0(VALU_DEP_1) | instskip(NEXT) | instid1(VALU_DEP_1)
	v_mul_f32_e64 v25, |v16|, v25
	v_fma_f32 v128, v24, v25, |v16|
.LBB25_574:                             ;   in Loop: Header=BB25_506 Depth=2
	s_wait_alu 0xfffe
	s_or_b32 exec_lo, exec_lo, s3
	v_cmp_ngt_f32_e64 s3, 0x3f200000, |v17|
                                        ; implicit-def: $vgpr129
	s_and_saveexec_b32 s4, s3
	s_wait_alu 0xfffe
	s_xor_b32 s3, exec_lo, s4
	s_cbranch_execz .LBB25_576
; %bb.575:                              ;   in Loop: Header=BB25_506 Depth=2
	v_add_f32_e64 v24, |v17|, |v17|
	s_delay_alu instid0(VALU_DEP_1) | instskip(SKIP_1) | instid1(VALU_DEP_2)
	v_mul_f32_e32 v25, 0x3fb8aa3b, v24
	v_cmp_ngt_f32_e32 vcc_lo, 0xc2ce8ed0, v24
	v_rndne_f32_e32 v26, v25
	v_fma_f32 v27, 0x3fb8aa3b, v24, -v25
	s_delay_alu instid0(VALU_DEP_2) | instskip(NEXT) | instid1(VALU_DEP_2)
	v_sub_f32_e32 v25, v25, v26
	v_fmac_f32_e32 v27, 0x32a5705f, v24
	v_cvt_i32_f32_e32 v26, v26
	s_delay_alu instid0(VALU_DEP_2) | instskip(NEXT) | instid1(VALU_DEP_1)
	v_add_f32_e32 v25, v25, v27
	v_exp_f32_e32 v25, v25
	s_delay_alu instid0(TRANS32_DEP_1) | instskip(SKIP_1) | instid1(VALU_DEP_1)
	v_ldexp_f32 v25, v25, v26
	s_wait_alu 0xfffd
	v_cndmask_b32_e32 v25, 0, v25, vcc_lo
	v_cmp_nlt_f32_e32 vcc_lo, 0x42b17218, v24
	s_wait_alu 0xfffd
	s_delay_alu instid0(VALU_DEP_2) | instskip(NEXT) | instid1(VALU_DEP_1)
	v_cndmask_b32_e32 v24, 0x7f800000, v25, vcc_lo
	v_add_f32_e32 v24, 1.0, v24
	s_delay_alu instid0(VALU_DEP_1) | instskip(NEXT) | instid1(TRANS32_DEP_1)
	v_rcp_f32_e32 v24, v24
	v_fma_f32 v129, v24, -2.0, 1.0
.LBB25_576:                             ;   in Loop: Header=BB25_506 Depth=2
	s_wait_alu 0xfffe
	s_and_not1_saveexec_b32 s3, s3
	s_cbranch_execz .LBB25_578
; %bb.577:                              ;   in Loop: Header=BB25_506 Depth=2
	v_mul_f32_e32 v24, v17, v17
	s_delay_alu instid0(VALU_DEP_1) | instskip(NEXT) | instid1(VALU_DEP_1)
	v_fmaak_f32 v25, s39, v24, 0x3ca908c9
	v_fmaak_f32 v25, v24, v25, 0xbd5c1c4e
	s_delay_alu instid0(VALU_DEP_1) | instskip(NEXT) | instid1(VALU_DEP_1)
	v_fmaak_f32 v25, v24, v25, 0x3e088382
	v_fmaak_f32 v25, v24, v25, 0xbeaaaa99
	s_delay_alu instid0(VALU_DEP_1) | instskip(NEXT) | instid1(VALU_DEP_1)
	v_mul_f32_e64 v25, |v17|, v25
	v_fma_f32 v129, v24, v25, |v17|
.LBB25_578:                             ;   in Loop: Header=BB25_506 Depth=2
	s_wait_alu 0xfffe
	s_or_b32 exec_lo, exec_lo, s3
	v_cmp_ngt_f32_e64 s3, 0x3f200000, |v18|
                                        ; implicit-def: $vgpr130
	s_and_saveexec_b32 s4, s3
	s_wait_alu 0xfffe
	s_xor_b32 s3, exec_lo, s4
	s_cbranch_execz .LBB25_580
; %bb.579:                              ;   in Loop: Header=BB25_506 Depth=2
	v_add_f32_e64 v24, |v18|, |v18|
	s_delay_alu instid0(VALU_DEP_1) | instskip(SKIP_1) | instid1(VALU_DEP_2)
	v_mul_f32_e32 v25, 0x3fb8aa3b, v24
	v_cmp_ngt_f32_e32 vcc_lo, 0xc2ce8ed0, v24
	v_rndne_f32_e32 v26, v25
	v_fma_f32 v27, 0x3fb8aa3b, v24, -v25
	s_delay_alu instid0(VALU_DEP_2) | instskip(NEXT) | instid1(VALU_DEP_2)
	v_sub_f32_e32 v25, v25, v26
	v_fmac_f32_e32 v27, 0x32a5705f, v24
	v_cvt_i32_f32_e32 v26, v26
	s_delay_alu instid0(VALU_DEP_2) | instskip(NEXT) | instid1(VALU_DEP_1)
	v_add_f32_e32 v25, v25, v27
	v_exp_f32_e32 v25, v25
	s_delay_alu instid0(TRANS32_DEP_1) | instskip(SKIP_1) | instid1(VALU_DEP_1)
	v_ldexp_f32 v25, v25, v26
	s_wait_alu 0xfffd
	v_cndmask_b32_e32 v25, 0, v25, vcc_lo
	v_cmp_nlt_f32_e32 vcc_lo, 0x42b17218, v24
	s_wait_alu 0xfffd
	s_delay_alu instid0(VALU_DEP_2) | instskip(NEXT) | instid1(VALU_DEP_1)
	v_cndmask_b32_e32 v24, 0x7f800000, v25, vcc_lo
	v_add_f32_e32 v24, 1.0, v24
	s_delay_alu instid0(VALU_DEP_1) | instskip(NEXT) | instid1(TRANS32_DEP_1)
	v_rcp_f32_e32 v24, v24
	v_fma_f32 v130, v24, -2.0, 1.0
.LBB25_580:                             ;   in Loop: Header=BB25_506 Depth=2
	s_wait_alu 0xfffe
	s_and_not1_saveexec_b32 s3, s3
	s_cbranch_execz .LBB25_582
; %bb.581:                              ;   in Loop: Header=BB25_506 Depth=2
	v_mul_f32_e32 v24, v18, v18
	s_delay_alu instid0(VALU_DEP_1) | instskip(NEXT) | instid1(VALU_DEP_1)
	v_fmaak_f32 v25, s39, v24, 0x3ca908c9
	v_fmaak_f32 v25, v24, v25, 0xbd5c1c4e
	s_delay_alu instid0(VALU_DEP_1) | instskip(NEXT) | instid1(VALU_DEP_1)
	v_fmaak_f32 v25, v24, v25, 0x3e088382
	v_fmaak_f32 v25, v24, v25, 0xbeaaaa99
	s_delay_alu instid0(VALU_DEP_1) | instskip(NEXT) | instid1(VALU_DEP_1)
	v_mul_f32_e64 v25, |v18|, v25
	v_fma_f32 v130, v24, v25, |v18|
.LBB25_582:                             ;   in Loop: Header=BB25_506 Depth=2
	s_wait_alu 0xfffe
	s_or_b32 exec_lo, exec_lo, s3
	v_cmp_ngt_f32_e64 s3, 0x3f200000, |v19|
                                        ; implicit-def: $vgpr131
	s_and_saveexec_b32 s4, s3
	s_wait_alu 0xfffe
	s_xor_b32 s3, exec_lo, s4
	s_cbranch_execz .LBB25_584
; %bb.583:                              ;   in Loop: Header=BB25_506 Depth=2
	v_add_f32_e64 v24, |v19|, |v19|
	s_delay_alu instid0(VALU_DEP_1) | instskip(SKIP_1) | instid1(VALU_DEP_2)
	v_mul_f32_e32 v25, 0x3fb8aa3b, v24
	v_cmp_ngt_f32_e32 vcc_lo, 0xc2ce8ed0, v24
	v_rndne_f32_e32 v26, v25
	v_fma_f32 v27, 0x3fb8aa3b, v24, -v25
	s_delay_alu instid0(VALU_DEP_2) | instskip(NEXT) | instid1(VALU_DEP_2)
	v_sub_f32_e32 v25, v25, v26
	v_fmac_f32_e32 v27, 0x32a5705f, v24
	v_cvt_i32_f32_e32 v26, v26
	s_delay_alu instid0(VALU_DEP_2) | instskip(NEXT) | instid1(VALU_DEP_1)
	v_add_f32_e32 v25, v25, v27
	v_exp_f32_e32 v25, v25
	s_delay_alu instid0(TRANS32_DEP_1) | instskip(SKIP_1) | instid1(VALU_DEP_1)
	v_ldexp_f32 v25, v25, v26
	s_wait_alu 0xfffd
	v_cndmask_b32_e32 v25, 0, v25, vcc_lo
	v_cmp_nlt_f32_e32 vcc_lo, 0x42b17218, v24
	s_wait_alu 0xfffd
	s_delay_alu instid0(VALU_DEP_2) | instskip(NEXT) | instid1(VALU_DEP_1)
	v_cndmask_b32_e32 v24, 0x7f800000, v25, vcc_lo
	v_add_f32_e32 v24, 1.0, v24
	s_delay_alu instid0(VALU_DEP_1) | instskip(NEXT) | instid1(TRANS32_DEP_1)
	v_rcp_f32_e32 v24, v24
	v_fma_f32 v131, v24, -2.0, 1.0
.LBB25_584:                             ;   in Loop: Header=BB25_506 Depth=2
	s_wait_alu 0xfffe
	s_and_not1_saveexec_b32 s3, s3
	s_cbranch_execz .LBB25_586
; %bb.585:                              ;   in Loop: Header=BB25_506 Depth=2
	v_mul_f32_e32 v24, v19, v19
	s_delay_alu instid0(VALU_DEP_1) | instskip(NEXT) | instid1(VALU_DEP_1)
	v_fmaak_f32 v25, s39, v24, 0x3ca908c9
	v_fmaak_f32 v25, v24, v25, 0xbd5c1c4e
	s_delay_alu instid0(VALU_DEP_1) | instskip(NEXT) | instid1(VALU_DEP_1)
	v_fmaak_f32 v25, v24, v25, 0x3e088382
	v_fmaak_f32 v25, v24, v25, 0xbeaaaa99
	s_delay_alu instid0(VALU_DEP_1) | instskip(NEXT) | instid1(VALU_DEP_1)
	v_mul_f32_e64 v25, |v19|, v25
	v_fma_f32 v131, v24, v25, |v19|
.LBB25_586:                             ;   in Loop: Header=BB25_506 Depth=2
	s_wait_alu 0xfffe
	s_or_b32 exec_lo, exec_lo, s3
	v_cmp_ngt_f32_e64 s3, 0x3f200000, |v20|
                                        ; implicit-def: $vgpr132
	s_and_saveexec_b32 s4, s3
	s_wait_alu 0xfffe
	s_xor_b32 s3, exec_lo, s4
	s_cbranch_execz .LBB25_588
; %bb.587:                              ;   in Loop: Header=BB25_506 Depth=2
	v_add_f32_e64 v24, |v20|, |v20|
	s_delay_alu instid0(VALU_DEP_1) | instskip(SKIP_1) | instid1(VALU_DEP_2)
	v_mul_f32_e32 v25, 0x3fb8aa3b, v24
	v_cmp_ngt_f32_e32 vcc_lo, 0xc2ce8ed0, v24
	v_rndne_f32_e32 v26, v25
	v_fma_f32 v27, 0x3fb8aa3b, v24, -v25
	s_delay_alu instid0(VALU_DEP_2) | instskip(NEXT) | instid1(VALU_DEP_2)
	v_sub_f32_e32 v25, v25, v26
	v_fmac_f32_e32 v27, 0x32a5705f, v24
	v_cvt_i32_f32_e32 v26, v26
	s_delay_alu instid0(VALU_DEP_2) | instskip(NEXT) | instid1(VALU_DEP_1)
	v_add_f32_e32 v25, v25, v27
	v_exp_f32_e32 v25, v25
	s_delay_alu instid0(TRANS32_DEP_1) | instskip(SKIP_1) | instid1(VALU_DEP_1)
	v_ldexp_f32 v25, v25, v26
	s_wait_alu 0xfffd
	v_cndmask_b32_e32 v25, 0, v25, vcc_lo
	v_cmp_nlt_f32_e32 vcc_lo, 0x42b17218, v24
	s_wait_alu 0xfffd
	s_delay_alu instid0(VALU_DEP_2) | instskip(NEXT) | instid1(VALU_DEP_1)
	v_cndmask_b32_e32 v24, 0x7f800000, v25, vcc_lo
	v_add_f32_e32 v24, 1.0, v24
	s_delay_alu instid0(VALU_DEP_1) | instskip(NEXT) | instid1(TRANS32_DEP_1)
	v_rcp_f32_e32 v24, v24
	v_fma_f32 v132, v24, -2.0, 1.0
.LBB25_588:                             ;   in Loop: Header=BB25_506 Depth=2
	s_wait_alu 0xfffe
	s_and_not1_saveexec_b32 s3, s3
	s_cbranch_execz .LBB25_590
; %bb.589:                              ;   in Loop: Header=BB25_506 Depth=2
	v_mul_f32_e32 v24, v20, v20
	s_delay_alu instid0(VALU_DEP_1) | instskip(NEXT) | instid1(VALU_DEP_1)
	v_fmaak_f32 v25, s39, v24, 0x3ca908c9
	v_fmaak_f32 v25, v24, v25, 0xbd5c1c4e
	s_delay_alu instid0(VALU_DEP_1) | instskip(NEXT) | instid1(VALU_DEP_1)
	v_fmaak_f32 v25, v24, v25, 0x3e088382
	v_fmaak_f32 v25, v24, v25, 0xbeaaaa99
	s_delay_alu instid0(VALU_DEP_1) | instskip(NEXT) | instid1(VALU_DEP_1)
	v_mul_f32_e64 v25, |v20|, v25
	v_fma_f32 v132, v24, v25, |v20|
.LBB25_590:                             ;   in Loop: Header=BB25_506 Depth=2
	s_wait_alu 0xfffe
	s_or_b32 exec_lo, exec_lo, s3
	v_cmp_ngt_f32_e64 s3, 0x3f200000, |v21|
                                        ; implicit-def: $vgpr133
	s_and_saveexec_b32 s4, s3
	s_wait_alu 0xfffe
	s_xor_b32 s3, exec_lo, s4
	s_cbranch_execz .LBB25_592
; %bb.591:                              ;   in Loop: Header=BB25_506 Depth=2
	v_add_f32_e64 v24, |v21|, |v21|
	s_delay_alu instid0(VALU_DEP_1) | instskip(SKIP_1) | instid1(VALU_DEP_2)
	v_mul_f32_e32 v25, 0x3fb8aa3b, v24
	v_cmp_ngt_f32_e32 vcc_lo, 0xc2ce8ed0, v24
	v_rndne_f32_e32 v26, v25
	v_fma_f32 v27, 0x3fb8aa3b, v24, -v25
	s_delay_alu instid0(VALU_DEP_2) | instskip(NEXT) | instid1(VALU_DEP_2)
	v_sub_f32_e32 v25, v25, v26
	v_fmac_f32_e32 v27, 0x32a5705f, v24
	v_cvt_i32_f32_e32 v26, v26
	s_delay_alu instid0(VALU_DEP_2) | instskip(NEXT) | instid1(VALU_DEP_1)
	v_add_f32_e32 v25, v25, v27
	v_exp_f32_e32 v25, v25
	s_delay_alu instid0(TRANS32_DEP_1) | instskip(SKIP_1) | instid1(VALU_DEP_1)
	v_ldexp_f32 v25, v25, v26
	s_wait_alu 0xfffd
	v_cndmask_b32_e32 v25, 0, v25, vcc_lo
	v_cmp_nlt_f32_e32 vcc_lo, 0x42b17218, v24
	s_wait_alu 0xfffd
	s_delay_alu instid0(VALU_DEP_2) | instskip(NEXT) | instid1(VALU_DEP_1)
	v_cndmask_b32_e32 v24, 0x7f800000, v25, vcc_lo
	v_add_f32_e32 v24, 1.0, v24
	s_delay_alu instid0(VALU_DEP_1) | instskip(NEXT) | instid1(TRANS32_DEP_1)
	v_rcp_f32_e32 v24, v24
	v_fma_f32 v133, v24, -2.0, 1.0
.LBB25_592:                             ;   in Loop: Header=BB25_506 Depth=2
	s_wait_alu 0xfffe
	s_and_not1_saveexec_b32 s3, s3
	s_cbranch_execz .LBB25_594
; %bb.593:                              ;   in Loop: Header=BB25_506 Depth=2
	v_mul_f32_e32 v24, v21, v21
	s_delay_alu instid0(VALU_DEP_1) | instskip(NEXT) | instid1(VALU_DEP_1)
	v_fmaak_f32 v25, s39, v24, 0x3ca908c9
	v_fmaak_f32 v25, v24, v25, 0xbd5c1c4e
	s_delay_alu instid0(VALU_DEP_1) | instskip(NEXT) | instid1(VALU_DEP_1)
	v_fmaak_f32 v25, v24, v25, 0x3e088382
	v_fmaak_f32 v25, v24, v25, 0xbeaaaa99
	s_delay_alu instid0(VALU_DEP_1) | instskip(NEXT) | instid1(VALU_DEP_1)
	v_mul_f32_e64 v25, |v21|, v25
	v_fma_f32 v133, v24, v25, |v21|
.LBB25_594:                             ;   in Loop: Header=BB25_506 Depth=2
	s_wait_alu 0xfffe
	s_or_b32 exec_lo, exec_lo, s3
	v_cmp_ngt_f32_e64 s3, 0x3f200000, |v22|
                                        ; implicit-def: $vgpr134
	s_and_saveexec_b32 s4, s3
	s_wait_alu 0xfffe
	s_xor_b32 s3, exec_lo, s4
	s_cbranch_execz .LBB25_596
; %bb.595:                              ;   in Loop: Header=BB25_506 Depth=2
	v_add_f32_e64 v24, |v22|, |v22|
	s_delay_alu instid0(VALU_DEP_1) | instskip(SKIP_1) | instid1(VALU_DEP_2)
	v_mul_f32_e32 v25, 0x3fb8aa3b, v24
	v_cmp_ngt_f32_e32 vcc_lo, 0xc2ce8ed0, v24
	v_rndne_f32_e32 v26, v25
	v_fma_f32 v27, 0x3fb8aa3b, v24, -v25
	s_delay_alu instid0(VALU_DEP_2) | instskip(NEXT) | instid1(VALU_DEP_2)
	v_sub_f32_e32 v25, v25, v26
	v_fmac_f32_e32 v27, 0x32a5705f, v24
	v_cvt_i32_f32_e32 v26, v26
	s_delay_alu instid0(VALU_DEP_2) | instskip(NEXT) | instid1(VALU_DEP_1)
	v_add_f32_e32 v25, v25, v27
	v_exp_f32_e32 v25, v25
	s_delay_alu instid0(TRANS32_DEP_1) | instskip(SKIP_1) | instid1(VALU_DEP_1)
	v_ldexp_f32 v25, v25, v26
	s_wait_alu 0xfffd
	v_cndmask_b32_e32 v25, 0, v25, vcc_lo
	v_cmp_nlt_f32_e32 vcc_lo, 0x42b17218, v24
	s_wait_alu 0xfffd
	s_delay_alu instid0(VALU_DEP_2) | instskip(NEXT) | instid1(VALU_DEP_1)
	v_cndmask_b32_e32 v24, 0x7f800000, v25, vcc_lo
	v_add_f32_e32 v24, 1.0, v24
	s_delay_alu instid0(VALU_DEP_1) | instskip(NEXT) | instid1(TRANS32_DEP_1)
	v_rcp_f32_e32 v24, v24
	v_fma_f32 v134, v24, -2.0, 1.0
.LBB25_596:                             ;   in Loop: Header=BB25_506 Depth=2
	s_wait_alu 0xfffe
	s_and_not1_saveexec_b32 s3, s3
	s_cbranch_execz .LBB25_598
; %bb.597:                              ;   in Loop: Header=BB25_506 Depth=2
	v_mul_f32_e32 v24, v22, v22
	s_delay_alu instid0(VALU_DEP_1) | instskip(NEXT) | instid1(VALU_DEP_1)
	v_fmaak_f32 v25, s39, v24, 0x3ca908c9
	v_fmaak_f32 v25, v24, v25, 0xbd5c1c4e
	s_delay_alu instid0(VALU_DEP_1) | instskip(NEXT) | instid1(VALU_DEP_1)
	v_fmaak_f32 v25, v24, v25, 0x3e088382
	v_fmaak_f32 v25, v24, v25, 0xbeaaaa99
	s_delay_alu instid0(VALU_DEP_1) | instskip(NEXT) | instid1(VALU_DEP_1)
	v_mul_f32_e64 v25, |v22|, v25
	v_fma_f32 v134, v24, v25, |v22|
.LBB25_598:                             ;   in Loop: Header=BB25_506 Depth=2
	s_wait_alu 0xfffe
	s_or_b32 exec_lo, exec_lo, s3
	v_cmp_ngt_f32_e64 s3, 0x3f200000, |v23|
                                        ; implicit-def: $vgpr135
	s_and_saveexec_b32 s4, s3
	s_wait_alu 0xfffe
	s_xor_b32 s3, exec_lo, s4
	s_cbranch_execz .LBB25_600
; %bb.599:                              ;   in Loop: Header=BB25_506 Depth=2
	v_add_f32_e64 v24, |v23|, |v23|
	s_delay_alu instid0(VALU_DEP_1) | instskip(SKIP_1) | instid1(VALU_DEP_2)
	v_mul_f32_e32 v25, 0x3fb8aa3b, v24
	v_cmp_ngt_f32_e32 vcc_lo, 0xc2ce8ed0, v24
	v_rndne_f32_e32 v26, v25
	v_fma_f32 v27, 0x3fb8aa3b, v24, -v25
	s_delay_alu instid0(VALU_DEP_2) | instskip(NEXT) | instid1(VALU_DEP_2)
	v_sub_f32_e32 v25, v25, v26
	v_fmac_f32_e32 v27, 0x32a5705f, v24
	v_cvt_i32_f32_e32 v26, v26
	s_delay_alu instid0(VALU_DEP_2) | instskip(NEXT) | instid1(VALU_DEP_1)
	v_add_f32_e32 v25, v25, v27
	v_exp_f32_e32 v25, v25
	s_delay_alu instid0(TRANS32_DEP_1) | instskip(SKIP_1) | instid1(VALU_DEP_1)
	v_ldexp_f32 v25, v25, v26
	s_wait_alu 0xfffd
	v_cndmask_b32_e32 v25, 0, v25, vcc_lo
	v_cmp_nlt_f32_e32 vcc_lo, 0x42b17218, v24
	s_wait_alu 0xfffd
	s_delay_alu instid0(VALU_DEP_2) | instskip(NEXT) | instid1(VALU_DEP_1)
	v_cndmask_b32_e32 v24, 0x7f800000, v25, vcc_lo
	v_add_f32_e32 v24, 1.0, v24
	s_delay_alu instid0(VALU_DEP_1) | instskip(NEXT) | instid1(TRANS32_DEP_1)
	v_rcp_f32_e32 v24, v24
	v_fma_f32 v135, v24, -2.0, 1.0
.LBB25_600:                             ;   in Loop: Header=BB25_506 Depth=2
	s_wait_alu 0xfffe
	s_and_not1_saveexec_b32 s3, s3
	s_cbranch_execz .LBB25_602
; %bb.601:                              ;   in Loop: Header=BB25_506 Depth=2
	v_mul_f32_e32 v24, v23, v23
	s_delay_alu instid0(VALU_DEP_1) | instskip(NEXT) | instid1(VALU_DEP_1)
	v_fmaak_f32 v25, s39, v24, 0x3ca908c9
	v_fmaak_f32 v25, v24, v25, 0xbd5c1c4e
	s_delay_alu instid0(VALU_DEP_1) | instskip(NEXT) | instid1(VALU_DEP_1)
	v_fmaak_f32 v25, v24, v25, 0x3e088382
	v_fmaak_f32 v25, v24, v25, 0xbeaaaa99
	s_delay_alu instid0(VALU_DEP_1) | instskip(NEXT) | instid1(VALU_DEP_1)
	v_mul_f32_e64 v25, |v23|, v25
	v_fma_f32 v135, v24, v25, |v23|
.LBB25_602:                             ;   in Loop: Header=BB25_506 Depth=2
	s_wait_alu 0xfffe
	s_or_b32 exec_lo, exec_lo, s3
	v_wmma_f32_16x16x16_f16 v[24:31], v[124:127], v[92:95], 0
	s_delay_alu instid0(VALU_DEP_1) | instskip(NEXT) | instid1(VALU_DEP_1)
	v_wmma_f32_16x16x16_f16 v[24:31], v[120:123], v[88:91], v[24:31]
	v_wmma_f32_16x16x16_f16 v[24:31], v[116:119], v[84:87], v[24:31]
	s_delay_alu instid0(VALU_DEP_1) | instskip(NEXT) | instid1(VALU_DEP_1)
	v_wmma_f32_16x16x16_f16 v[24:31], v[112:115], v[80:83], v[24:31]
	;; [unrolled: 3-line block ×4, first 2 shown]
                                        ; implicit-def: $vgpr99
	v_cmp_ngt_f32_e64 s3, 0x3f200000, |v24|
	s_and_saveexec_b32 s4, s3
	s_wait_alu 0xfffe
	s_xor_b32 s3, exec_lo, s4
	s_cbranch_execz .LBB25_604
; %bb.603:                              ;   in Loop: Header=BB25_506 Depth=2
	v_add_f32_e64 v96, |v24|, |v24|
	s_delay_alu instid0(VALU_DEP_1) | instskip(SKIP_1) | instid1(VALU_DEP_2)
	v_mul_f32_e32 v97, 0x3fb8aa3b, v96
	v_cmp_ngt_f32_e32 vcc_lo, 0xc2ce8ed0, v96
	v_rndne_f32_e32 v98, v97
	v_fma_f32 v99, 0x3fb8aa3b, v96, -v97
	s_delay_alu instid0(VALU_DEP_2) | instskip(NEXT) | instid1(VALU_DEP_2)
	v_sub_f32_e32 v97, v97, v98
	v_fmac_f32_e32 v99, 0x32a5705f, v96
	v_cvt_i32_f32_e32 v98, v98
	s_delay_alu instid0(VALU_DEP_2) | instskip(NEXT) | instid1(VALU_DEP_1)
	v_add_f32_e32 v97, v97, v99
	v_exp_f32_e32 v97, v97
	s_delay_alu instid0(TRANS32_DEP_1) | instskip(SKIP_1) | instid1(VALU_DEP_1)
	v_ldexp_f32 v97, v97, v98
	s_wait_alu 0xfffd
	v_cndmask_b32_e32 v97, 0, v97, vcc_lo
	v_cmp_nlt_f32_e32 vcc_lo, 0x42b17218, v96
	s_wait_alu 0xfffd
	s_delay_alu instid0(VALU_DEP_2) | instskip(NEXT) | instid1(VALU_DEP_1)
	v_cndmask_b32_e32 v96, 0x7f800000, v97, vcc_lo
	v_add_f32_e32 v96, 1.0, v96
	s_delay_alu instid0(VALU_DEP_1) | instskip(NEXT) | instid1(TRANS32_DEP_1)
	v_rcp_f32_e32 v96, v96
	v_fma_f32 v99, v96, -2.0, 1.0
.LBB25_604:                             ;   in Loop: Header=BB25_506 Depth=2
	s_wait_alu 0xfffe
	s_and_not1_saveexec_b32 s3, s3
	s_cbranch_execz .LBB25_606
; %bb.605:                              ;   in Loop: Header=BB25_506 Depth=2
	v_mul_f32_e32 v96, v24, v24
	s_delay_alu instid0(VALU_DEP_1) | instskip(NEXT) | instid1(VALU_DEP_1)
	v_fmaak_f32 v97, s39, v96, 0x3ca908c9
	v_fmaak_f32 v97, v96, v97, 0xbd5c1c4e
	s_delay_alu instid0(VALU_DEP_1) | instskip(NEXT) | instid1(VALU_DEP_1)
	v_fmaak_f32 v97, v96, v97, 0x3e088382
	v_fmaak_f32 v97, v96, v97, 0xbeaaaa99
	s_delay_alu instid0(VALU_DEP_1) | instskip(NEXT) | instid1(VALU_DEP_1)
	v_mul_f32_e64 v97, |v24|, v97
	v_fma_f32 v99, v96, v97, |v24|
.LBB25_606:                             ;   in Loop: Header=BB25_506 Depth=2
	s_wait_alu 0xfffe
	s_or_b32 exec_lo, exec_lo, s3
	v_cmp_ngt_f32_e64 s3, 0x3f200000, |v25|
                                        ; implicit-def: $vgpr100
	s_and_saveexec_b32 s4, s3
	s_wait_alu 0xfffe
	s_xor_b32 s3, exec_lo, s4
	s_cbranch_execz .LBB25_608
; %bb.607:                              ;   in Loop: Header=BB25_506 Depth=2
	v_add_f32_e64 v96, |v25|, |v25|
	s_delay_alu instid0(VALU_DEP_1) | instskip(SKIP_1) | instid1(VALU_DEP_2)
	v_mul_f32_e32 v97, 0x3fb8aa3b, v96
	v_cmp_ngt_f32_e32 vcc_lo, 0xc2ce8ed0, v96
	v_rndne_f32_e32 v98, v97
	v_fma_f32 v100, 0x3fb8aa3b, v96, -v97
	s_delay_alu instid0(VALU_DEP_1) | instskip(SKIP_1) | instid1(VALU_DEP_2)
	v_dual_sub_f32 v97, v97, v98 :: v_dual_fmac_f32 v100, 0x32a5705f, v96
	v_cvt_i32_f32_e32 v98, v98
	v_add_f32_e32 v97, v97, v100
	s_delay_alu instid0(VALU_DEP_1) | instskip(NEXT) | instid1(TRANS32_DEP_1)
	v_exp_f32_e32 v97, v97
	v_ldexp_f32 v97, v97, v98
	s_wait_alu 0xfffd
	s_delay_alu instid0(VALU_DEP_1) | instskip(SKIP_2) | instid1(VALU_DEP_2)
	v_cndmask_b32_e32 v97, 0, v97, vcc_lo
	v_cmp_nlt_f32_e32 vcc_lo, 0x42b17218, v96
	s_wait_alu 0xfffd
	v_cndmask_b32_e32 v96, 0x7f800000, v97, vcc_lo
	s_delay_alu instid0(VALU_DEP_1) | instskip(NEXT) | instid1(VALU_DEP_1)
	v_add_f32_e32 v96, 1.0, v96
	v_rcp_f32_e32 v96, v96
	s_delay_alu instid0(TRANS32_DEP_1)
	v_fma_f32 v100, v96, -2.0, 1.0
.LBB25_608:                             ;   in Loop: Header=BB25_506 Depth=2
	s_wait_alu 0xfffe
	s_and_not1_saveexec_b32 s3, s3
	s_cbranch_execz .LBB25_610
; %bb.609:                              ;   in Loop: Header=BB25_506 Depth=2
	v_mul_f32_e32 v96, v25, v25
	s_delay_alu instid0(VALU_DEP_1) | instskip(NEXT) | instid1(VALU_DEP_1)
	v_fmaak_f32 v97, s39, v96, 0x3ca908c9
	v_fmaak_f32 v97, v96, v97, 0xbd5c1c4e
	s_delay_alu instid0(VALU_DEP_1) | instskip(NEXT) | instid1(VALU_DEP_1)
	v_fmaak_f32 v97, v96, v97, 0x3e088382
	v_fmaak_f32 v97, v96, v97, 0xbeaaaa99
	s_delay_alu instid0(VALU_DEP_1) | instskip(NEXT) | instid1(VALU_DEP_1)
	v_mul_f32_e64 v97, |v25|, v97
	v_fma_f32 v100, v96, v97, |v25|
.LBB25_610:                             ;   in Loop: Header=BB25_506 Depth=2
	s_wait_alu 0xfffe
	s_or_b32 exec_lo, exec_lo, s3
	v_cmp_ngt_f32_e64 s3, 0x3f200000, |v26|
                                        ; implicit-def: $vgpr101
	s_and_saveexec_b32 s4, s3
	s_wait_alu 0xfffe
	s_xor_b32 s3, exec_lo, s4
	s_cbranch_execz .LBB25_612
; %bb.611:                              ;   in Loop: Header=BB25_506 Depth=2
	v_add_f32_e64 v96, |v26|, |v26|
	s_delay_alu instid0(VALU_DEP_1) | instskip(SKIP_1) | instid1(VALU_DEP_2)
	v_mul_f32_e32 v97, 0x3fb8aa3b, v96
	v_cmp_ngt_f32_e32 vcc_lo, 0xc2ce8ed0, v96
	v_rndne_f32_e32 v98, v97
	v_fma_f32 v101, 0x3fb8aa3b, v96, -v97
	s_delay_alu instid0(VALU_DEP_2) | instskip(NEXT) | instid1(VALU_DEP_2)
	v_sub_f32_e32 v97, v97, v98
	v_fmac_f32_e32 v101, 0x32a5705f, v96
	v_cvt_i32_f32_e32 v98, v98
	s_delay_alu instid0(VALU_DEP_2) | instskip(NEXT) | instid1(VALU_DEP_1)
	v_add_f32_e32 v97, v97, v101
	v_exp_f32_e32 v97, v97
	s_delay_alu instid0(TRANS32_DEP_1) | instskip(SKIP_1) | instid1(VALU_DEP_1)
	v_ldexp_f32 v97, v97, v98
	s_wait_alu 0xfffd
	v_cndmask_b32_e32 v97, 0, v97, vcc_lo
	v_cmp_nlt_f32_e32 vcc_lo, 0x42b17218, v96
	s_wait_alu 0xfffd
	s_delay_alu instid0(VALU_DEP_2) | instskip(NEXT) | instid1(VALU_DEP_1)
	v_cndmask_b32_e32 v96, 0x7f800000, v97, vcc_lo
	v_add_f32_e32 v96, 1.0, v96
	s_delay_alu instid0(VALU_DEP_1) | instskip(NEXT) | instid1(TRANS32_DEP_1)
	v_rcp_f32_e32 v96, v96
	v_fma_f32 v101, v96, -2.0, 1.0
.LBB25_612:                             ;   in Loop: Header=BB25_506 Depth=2
	s_wait_alu 0xfffe
	s_and_not1_saveexec_b32 s3, s3
	s_cbranch_execz .LBB25_614
; %bb.613:                              ;   in Loop: Header=BB25_506 Depth=2
	v_mul_f32_e32 v96, v26, v26
	s_delay_alu instid0(VALU_DEP_1) | instskip(NEXT) | instid1(VALU_DEP_1)
	v_fmaak_f32 v97, s39, v96, 0x3ca908c9
	v_fmaak_f32 v97, v96, v97, 0xbd5c1c4e
	s_delay_alu instid0(VALU_DEP_1) | instskip(NEXT) | instid1(VALU_DEP_1)
	v_fmaak_f32 v97, v96, v97, 0x3e088382
	v_fmaak_f32 v97, v96, v97, 0xbeaaaa99
	s_delay_alu instid0(VALU_DEP_1) | instskip(NEXT) | instid1(VALU_DEP_1)
	v_mul_f32_e64 v97, |v26|, v97
	v_fma_f32 v101, v96, v97, |v26|
.LBB25_614:                             ;   in Loop: Header=BB25_506 Depth=2
	s_wait_alu 0xfffe
	s_or_b32 exec_lo, exec_lo, s3
	v_cmp_ngt_f32_e64 s3, 0x3f200000, |v27|
                                        ; implicit-def: $vgpr102
	s_and_saveexec_b32 s4, s3
	s_wait_alu 0xfffe
	s_xor_b32 s3, exec_lo, s4
	s_cbranch_execz .LBB25_616
; %bb.615:                              ;   in Loop: Header=BB25_506 Depth=2
	v_add_f32_e64 v96, |v27|, |v27|
	s_delay_alu instid0(VALU_DEP_1) | instskip(SKIP_1) | instid1(VALU_DEP_2)
	v_mul_f32_e32 v97, 0x3fb8aa3b, v96
	v_cmp_ngt_f32_e32 vcc_lo, 0xc2ce8ed0, v96
	v_rndne_f32_e32 v98, v97
	v_fma_f32 v102, 0x3fb8aa3b, v96, -v97
	s_delay_alu instid0(VALU_DEP_1) | instskip(SKIP_1) | instid1(VALU_DEP_2)
	v_dual_sub_f32 v97, v97, v98 :: v_dual_fmac_f32 v102, 0x32a5705f, v96
	v_cvt_i32_f32_e32 v98, v98
	v_add_f32_e32 v97, v97, v102
	s_delay_alu instid0(VALU_DEP_1) | instskip(NEXT) | instid1(TRANS32_DEP_1)
	v_exp_f32_e32 v97, v97
	v_ldexp_f32 v97, v97, v98
	s_wait_alu 0xfffd
	s_delay_alu instid0(VALU_DEP_1) | instskip(SKIP_2) | instid1(VALU_DEP_2)
	v_cndmask_b32_e32 v97, 0, v97, vcc_lo
	v_cmp_nlt_f32_e32 vcc_lo, 0x42b17218, v96
	s_wait_alu 0xfffd
	v_cndmask_b32_e32 v96, 0x7f800000, v97, vcc_lo
	s_delay_alu instid0(VALU_DEP_1) | instskip(NEXT) | instid1(VALU_DEP_1)
	v_add_f32_e32 v96, 1.0, v96
	v_rcp_f32_e32 v96, v96
	s_delay_alu instid0(TRANS32_DEP_1)
	v_fma_f32 v102, v96, -2.0, 1.0
.LBB25_616:                             ;   in Loop: Header=BB25_506 Depth=2
	s_wait_alu 0xfffe
	s_and_not1_saveexec_b32 s3, s3
	s_cbranch_execz .LBB25_618
; %bb.617:                              ;   in Loop: Header=BB25_506 Depth=2
	v_mul_f32_e32 v96, v27, v27
	s_delay_alu instid0(VALU_DEP_1) | instskip(NEXT) | instid1(VALU_DEP_1)
	v_fmaak_f32 v97, s39, v96, 0x3ca908c9
	v_fmaak_f32 v97, v96, v97, 0xbd5c1c4e
	s_delay_alu instid0(VALU_DEP_1) | instskip(NEXT) | instid1(VALU_DEP_1)
	v_fmaak_f32 v97, v96, v97, 0x3e088382
	v_fmaak_f32 v97, v96, v97, 0xbeaaaa99
	s_delay_alu instid0(VALU_DEP_1) | instskip(NEXT) | instid1(VALU_DEP_1)
	v_mul_f32_e64 v97, |v27|, v97
	v_fma_f32 v102, v96, v97, |v27|
.LBB25_618:                             ;   in Loop: Header=BB25_506 Depth=2
	s_wait_alu 0xfffe
	s_or_b32 exec_lo, exec_lo, s3
	v_cmp_ngt_f32_e64 s3, 0x3f200000, |v28|
                                        ; implicit-def: $vgpr103
	s_and_saveexec_b32 s4, s3
	s_wait_alu 0xfffe
	s_xor_b32 s3, exec_lo, s4
	s_cbranch_execz .LBB25_620
; %bb.619:                              ;   in Loop: Header=BB25_506 Depth=2
	v_add_f32_e64 v96, |v28|, |v28|
	s_delay_alu instid0(VALU_DEP_1) | instskip(SKIP_1) | instid1(VALU_DEP_2)
	v_mul_f32_e32 v97, 0x3fb8aa3b, v96
	v_cmp_ngt_f32_e32 vcc_lo, 0xc2ce8ed0, v96
	v_rndne_f32_e32 v98, v97
	v_fma_f32 v103, 0x3fb8aa3b, v96, -v97
	s_delay_alu instid0(VALU_DEP_2) | instskip(NEXT) | instid1(VALU_DEP_2)
	v_sub_f32_e32 v97, v97, v98
	v_fmac_f32_e32 v103, 0x32a5705f, v96
	v_cvt_i32_f32_e32 v98, v98
	s_delay_alu instid0(VALU_DEP_2) | instskip(NEXT) | instid1(VALU_DEP_1)
	v_add_f32_e32 v97, v97, v103
	v_exp_f32_e32 v97, v97
	s_delay_alu instid0(TRANS32_DEP_1) | instskip(SKIP_1) | instid1(VALU_DEP_1)
	v_ldexp_f32 v97, v97, v98
	s_wait_alu 0xfffd
	v_cndmask_b32_e32 v97, 0, v97, vcc_lo
	v_cmp_nlt_f32_e32 vcc_lo, 0x42b17218, v96
	s_wait_alu 0xfffd
	s_delay_alu instid0(VALU_DEP_2) | instskip(NEXT) | instid1(VALU_DEP_1)
	v_cndmask_b32_e32 v96, 0x7f800000, v97, vcc_lo
	v_add_f32_e32 v96, 1.0, v96
	s_delay_alu instid0(VALU_DEP_1) | instskip(NEXT) | instid1(TRANS32_DEP_1)
	v_rcp_f32_e32 v96, v96
	v_fma_f32 v103, v96, -2.0, 1.0
.LBB25_620:                             ;   in Loop: Header=BB25_506 Depth=2
	s_wait_alu 0xfffe
	s_and_not1_saveexec_b32 s3, s3
	s_cbranch_execz .LBB25_622
; %bb.621:                              ;   in Loop: Header=BB25_506 Depth=2
	v_mul_f32_e32 v96, v28, v28
	s_delay_alu instid0(VALU_DEP_1) | instskip(NEXT) | instid1(VALU_DEP_1)
	v_fmaak_f32 v97, s39, v96, 0x3ca908c9
	v_fmaak_f32 v97, v96, v97, 0xbd5c1c4e
	s_delay_alu instid0(VALU_DEP_1) | instskip(NEXT) | instid1(VALU_DEP_1)
	v_fmaak_f32 v97, v96, v97, 0x3e088382
	v_fmaak_f32 v97, v96, v97, 0xbeaaaa99
	s_delay_alu instid0(VALU_DEP_1) | instskip(NEXT) | instid1(VALU_DEP_1)
	v_mul_f32_e64 v97, |v28|, v97
	v_fma_f32 v103, v96, v97, |v28|
.LBB25_622:                             ;   in Loop: Header=BB25_506 Depth=2
	s_wait_alu 0xfffe
	s_or_b32 exec_lo, exec_lo, s3
	v_cmp_ngt_f32_e64 s3, 0x3f200000, |v29|
                                        ; implicit-def: $vgpr104
	s_and_saveexec_b32 s4, s3
	s_wait_alu 0xfffe
	s_xor_b32 s3, exec_lo, s4
	s_cbranch_execz .LBB25_624
; %bb.623:                              ;   in Loop: Header=BB25_506 Depth=2
	v_add_f32_e64 v96, |v29|, |v29|
	s_delay_alu instid0(VALU_DEP_1) | instskip(SKIP_1) | instid1(VALU_DEP_2)
	v_mul_f32_e32 v97, 0x3fb8aa3b, v96
	v_cmp_ngt_f32_e32 vcc_lo, 0xc2ce8ed0, v96
	v_rndne_f32_e32 v98, v97
	v_fma_f32 v104, 0x3fb8aa3b, v96, -v97
	s_delay_alu instid0(VALU_DEP_1) | instskip(SKIP_1) | instid1(VALU_DEP_2)
	v_dual_sub_f32 v97, v97, v98 :: v_dual_fmac_f32 v104, 0x32a5705f, v96
	v_cvt_i32_f32_e32 v98, v98
	v_add_f32_e32 v97, v97, v104
	s_delay_alu instid0(VALU_DEP_1) | instskip(NEXT) | instid1(TRANS32_DEP_1)
	v_exp_f32_e32 v97, v97
	v_ldexp_f32 v97, v97, v98
	s_wait_alu 0xfffd
	s_delay_alu instid0(VALU_DEP_1) | instskip(SKIP_2) | instid1(VALU_DEP_2)
	v_cndmask_b32_e32 v97, 0, v97, vcc_lo
	v_cmp_nlt_f32_e32 vcc_lo, 0x42b17218, v96
	s_wait_alu 0xfffd
	v_cndmask_b32_e32 v96, 0x7f800000, v97, vcc_lo
	s_delay_alu instid0(VALU_DEP_1) | instskip(NEXT) | instid1(VALU_DEP_1)
	v_add_f32_e32 v96, 1.0, v96
	v_rcp_f32_e32 v96, v96
	s_delay_alu instid0(TRANS32_DEP_1)
	v_fma_f32 v104, v96, -2.0, 1.0
.LBB25_624:                             ;   in Loop: Header=BB25_506 Depth=2
	s_wait_alu 0xfffe
	s_and_not1_saveexec_b32 s3, s3
	s_cbranch_execz .LBB25_626
; %bb.625:                              ;   in Loop: Header=BB25_506 Depth=2
	v_mul_f32_e32 v96, v29, v29
	s_delay_alu instid0(VALU_DEP_1) | instskip(NEXT) | instid1(VALU_DEP_1)
	v_fmaak_f32 v97, s39, v96, 0x3ca908c9
	v_fmaak_f32 v97, v96, v97, 0xbd5c1c4e
	s_delay_alu instid0(VALU_DEP_1) | instskip(NEXT) | instid1(VALU_DEP_1)
	v_fmaak_f32 v97, v96, v97, 0x3e088382
	v_fmaak_f32 v97, v96, v97, 0xbeaaaa99
	s_delay_alu instid0(VALU_DEP_1) | instskip(NEXT) | instid1(VALU_DEP_1)
	v_mul_f32_e64 v97, |v29|, v97
	v_fma_f32 v104, v96, v97, |v29|
.LBB25_626:                             ;   in Loop: Header=BB25_506 Depth=2
	s_wait_alu 0xfffe
	s_or_b32 exec_lo, exec_lo, s3
	v_cmp_ngt_f32_e64 s3, 0x3f200000, |v30|
                                        ; implicit-def: $vgpr105
	s_and_saveexec_b32 s4, s3
	s_wait_alu 0xfffe
	s_xor_b32 s3, exec_lo, s4
	s_cbranch_execz .LBB25_628
; %bb.627:                              ;   in Loop: Header=BB25_506 Depth=2
	v_add_f32_e64 v96, |v30|, |v30|
	s_delay_alu instid0(VALU_DEP_1) | instskip(SKIP_1) | instid1(VALU_DEP_2)
	v_mul_f32_e32 v97, 0x3fb8aa3b, v96
	v_cmp_ngt_f32_e32 vcc_lo, 0xc2ce8ed0, v96
	v_rndne_f32_e32 v98, v97
	v_fma_f32 v105, 0x3fb8aa3b, v96, -v97
	s_delay_alu instid0(VALU_DEP_2) | instskip(NEXT) | instid1(VALU_DEP_2)
	v_sub_f32_e32 v97, v97, v98
	v_fmac_f32_e32 v105, 0x32a5705f, v96
	v_cvt_i32_f32_e32 v98, v98
	s_delay_alu instid0(VALU_DEP_2) | instskip(NEXT) | instid1(VALU_DEP_1)
	v_add_f32_e32 v97, v97, v105
	v_exp_f32_e32 v97, v97
	s_delay_alu instid0(TRANS32_DEP_1) | instskip(SKIP_1) | instid1(VALU_DEP_1)
	v_ldexp_f32 v97, v97, v98
	s_wait_alu 0xfffd
	v_cndmask_b32_e32 v97, 0, v97, vcc_lo
	v_cmp_nlt_f32_e32 vcc_lo, 0x42b17218, v96
	s_wait_alu 0xfffd
	s_delay_alu instid0(VALU_DEP_2) | instskip(NEXT) | instid1(VALU_DEP_1)
	v_cndmask_b32_e32 v96, 0x7f800000, v97, vcc_lo
	v_add_f32_e32 v96, 1.0, v96
	s_delay_alu instid0(VALU_DEP_1) | instskip(NEXT) | instid1(TRANS32_DEP_1)
	v_rcp_f32_e32 v96, v96
	v_fma_f32 v105, v96, -2.0, 1.0
.LBB25_628:                             ;   in Loop: Header=BB25_506 Depth=2
	s_wait_alu 0xfffe
	s_and_not1_saveexec_b32 s3, s3
	s_cbranch_execz .LBB25_630
; %bb.629:                              ;   in Loop: Header=BB25_506 Depth=2
	v_mul_f32_e32 v96, v30, v30
	s_delay_alu instid0(VALU_DEP_1) | instskip(NEXT) | instid1(VALU_DEP_1)
	v_fmaak_f32 v97, s39, v96, 0x3ca908c9
	v_fmaak_f32 v97, v96, v97, 0xbd5c1c4e
	s_delay_alu instid0(VALU_DEP_1) | instskip(NEXT) | instid1(VALU_DEP_1)
	v_fmaak_f32 v97, v96, v97, 0x3e088382
	v_fmaak_f32 v97, v96, v97, 0xbeaaaa99
	s_delay_alu instid0(VALU_DEP_1) | instskip(NEXT) | instid1(VALU_DEP_1)
	v_mul_f32_e64 v97, |v30|, v97
	v_fma_f32 v105, v96, v97, |v30|
.LBB25_630:                             ;   in Loop: Header=BB25_506 Depth=2
	s_wait_alu 0xfffe
	s_or_b32 exec_lo, exec_lo, s3
	v_cmp_ngt_f32_e64 s3, 0x3f200000, |v31|
                                        ; implicit-def: $vgpr106
	s_and_saveexec_b32 s4, s3
	s_wait_alu 0xfffe
	s_xor_b32 s3, exec_lo, s4
	s_cbranch_execz .LBB25_632
; %bb.631:                              ;   in Loop: Header=BB25_506 Depth=2
	v_add_f32_e64 v96, |v31|, |v31|
	s_delay_alu instid0(VALU_DEP_1) | instskip(SKIP_1) | instid1(VALU_DEP_2)
	v_mul_f32_e32 v97, 0x3fb8aa3b, v96
	v_cmp_ngt_f32_e32 vcc_lo, 0xc2ce8ed0, v96
	v_rndne_f32_e32 v98, v97
	v_fma_f32 v106, 0x3fb8aa3b, v96, -v97
	s_delay_alu instid0(VALU_DEP_1) | instskip(SKIP_1) | instid1(VALU_DEP_2)
	v_dual_sub_f32 v97, v97, v98 :: v_dual_fmac_f32 v106, 0x32a5705f, v96
	v_cvt_i32_f32_e32 v98, v98
	v_add_f32_e32 v97, v97, v106
	s_delay_alu instid0(VALU_DEP_1) | instskip(NEXT) | instid1(TRANS32_DEP_1)
	v_exp_f32_e32 v97, v97
	v_ldexp_f32 v97, v97, v98
	s_wait_alu 0xfffd
	s_delay_alu instid0(VALU_DEP_1) | instskip(SKIP_2) | instid1(VALU_DEP_2)
	v_cndmask_b32_e32 v97, 0, v97, vcc_lo
	v_cmp_nlt_f32_e32 vcc_lo, 0x42b17218, v96
	s_wait_alu 0xfffd
	v_cndmask_b32_e32 v96, 0x7f800000, v97, vcc_lo
	s_delay_alu instid0(VALU_DEP_1) | instskip(NEXT) | instid1(VALU_DEP_1)
	v_add_f32_e32 v96, 1.0, v96
	v_rcp_f32_e32 v96, v96
	s_delay_alu instid0(TRANS32_DEP_1)
	v_fma_f32 v106, v96, -2.0, 1.0
.LBB25_632:                             ;   in Loop: Header=BB25_506 Depth=2
	s_wait_alu 0xfffe
	s_and_not1_saveexec_b32 s3, s3
	s_cbranch_execz .LBB25_634
; %bb.633:                              ;   in Loop: Header=BB25_506 Depth=2
	v_mul_f32_e32 v96, v31, v31
	s_delay_alu instid0(VALU_DEP_1) | instskip(NEXT) | instid1(VALU_DEP_1)
	v_fmaak_f32 v97, s39, v96, 0x3ca908c9
	v_fmaak_f32 v97, v96, v97, 0xbd5c1c4e
	s_delay_alu instid0(VALU_DEP_1) | instskip(NEXT) | instid1(VALU_DEP_1)
	v_fmaak_f32 v97, v96, v97, 0x3e088382
	v_fmaak_f32 v97, v96, v97, 0xbeaaaa99
	s_delay_alu instid0(VALU_DEP_1) | instskip(NEXT) | instid1(VALU_DEP_1)
	v_mul_f32_e64 v97, |v31|, v97
	v_fma_f32 v106, v96, v97, |v31|
.LBB25_634:                             ;   in Loop: Header=BB25_506 Depth=2
	s_wait_alu 0xfffe
	s_or_b32 exec_lo, exec_lo, s3
	v_bfi_b32 v98, 0x7fffffff, v195, v2
	v_bfi_b32 v2, 0x7fffffff, v199, v6
	v_bfi_b32 v6, 0x7fffffff, v154, v10
	v_bfi_b32 v10, 0x7fffffff, v158, v13
	v_bfi_b32 v13, 0x7fffffff, v157, v14
	v_bfi_b32 v14, 0x7fffffff, v128, v16
	v_bfi_b32 v16, 0x7fffffff, v130, v18
	v_bfi_b32 v18, 0x7fffffff, v132, v20
	v_bfi_b32 v20, 0x7fffffff, v134, v22
	v_bfi_b32 v22, 0x7fffffff, v100, v25
	scratch_load_b32 v100, off, off offset:68 ; 4-byte Folded Reload
	v_bfi_b32 v25, 0x7fffffff, v103, v28
	v_bfi_b32 v28, 0x7fffffff, v106, v31
	;; [unrolled: 1-line block ×11, first 2 shown]
	v_add_nc_u32_e32 v99, 0x4400, v210
	v_bfi_b32 v96, 0x7fffffff, v250, v0
	v_bfi_b32 v0, 0x7fffffff, v197, v4
	;; [unrolled: 1-line block ×8, first 2 shown]
	v_add_co_u32 v29, vcc_lo, v176, v243
	v_bfi_b32 v27, 0x7fffffff, v105, v30
	s_wait_alu 0xfffd
	v_add_co_ci_u32_e64 v30, null, 0, v246, vcc_lo
	v_add_co_u32 v103, vcc_lo, v212, v243
	s_wait_alu 0xfffd
	v_add_co_ci_u32_e64 v104, null, 0, v251, vcc_lo
	v_bfi_b32 v3, 0x7fffffff, v196, v3
	v_bfi_b32 v7, 0x7fffffff, v200, v7
	s_add_co_i32 s56, s56, -1
	v_add_nc_u32_e32 v127, 0x3000, v241
	s_wait_alu 0xfffe
	s_cmp_lg_u32 s56, 0
	s_wait_loadcnt 0x0
	v_add_nc_u32_e32 v31, 0x4400, v100
	ds_load_2addr_b32 v[107:108], v31 offset1:1
	ds_load_b32 v121, v100 offset:17416
	ds_load_2addr_b32 v[109:110], v99 offset1:1
	ds_load_b32 v122, v207 offset:17408
	s_clause 0x1
	scratch_load_b32 v101, off, off offset:72
	scratch_load_b32 v102, off, off offset:76
	v_add_nc_u32_e32 v100, 0x4400, v211
	s_wait_dscnt 0x3
	v_fma_mix_f32 v123, s7, v96, v107 op_sel_hi:[0,0,1]
	s_wait_dscnt 0x2
	v_fma_mix_f32 v0, s7, v0, v121 op_sel_hi:[0,0,1]
	v_add_nc_u32_e32 v31, 0x4400, v209
	s_wait_dscnt 0x0
	v_fma_mix_f32 v2, s7, v2, v122 op_sel_hi:[0,0,1]
	v_add_nc_u32_e32 v99, 0x4400, v248
	v_fma_mix_f32 v124, s7, v97, v107 op_sel:[0,0,1] op_sel_hi:[0,0,1]
	v_fma_mix_f32 v125, s7, v98, v108 op_sel_hi:[0,0,1]
	v_fma_mix_f32 v126, s7, v3, v108 op_sel:[0,0,1] op_sel_hi:[0,0,1]
	v_add_f32_e32 v3, 0x40051340, v123
	v_fma_mix_f32 v1, s7, v1, v121 op_sel:[0,0,1] op_sel_hi:[0,0,1]
	s_wait_loadcnt 0x1
	v_add_nc_u32_e32 v101, 0x4400, v101
	s_wait_loadcnt 0x0
	v_add_nc_u32_e32 v102, 0x4400, v102
	ds_load_2addr_b32 v[111:112], v31 offset1:1
	ds_load_2addr_b32 v[113:114], v99 offset1:1
	;; [unrolled: 1-line block ×5, first 2 shown]
	global_load_b128 v[99:102], v[29:30], off
	global_load_b128 v[103:106], v[103:104], off
	v_add_co_u32 v29, vcc_lo, v245, v243
	s_wait_loadcnt 0x1
	ds_store_b128 v234, v[99:102]
	s_wait_loadcnt 0x0
	ds_store_b128 v201, v[103:106]
	s_wait_alu 0xfffd
	v_add_co_ci_u32_e64 v30, null, 0, v178, vcc_lo
	v_add_co_u32 v103, vcc_lo, v179, v243
	s_wait_alu 0xfffd
	v_add_co_ci_u32_e64 v104, null, 0, v244, vcc_lo
	global_load_b128 v[99:102], v[29:30], off
	global_load_b128 v[103:106], v[103:104], off
	v_add_co_u32 v29, vcc_lo, v249, v243
	s_wait_loadcnt 0x1
	ds_store_b128 v202, v[99:102]
	s_wait_loadcnt 0x0
	ds_store_b128 v204, v[103:106]
	s_wait_alu 0xfffd
	v_add_co_ci_u32_e64 v30, null, 0, v237, vcc_lo
	v_add_co_u32 v103, vcc_lo, v252, v243
	s_wait_alu 0xfffd
	v_add_co_ci_u32_e64 v104, null, 0, v247, vcc_lo
	;; [unrolled: 12-line block ×3, first 2 shown]
	global_load_b128 v[99:102], v[29:30], off
	global_load_b128 v[103:106], v[103:104], off
	s_wait_loadcnt 0x1
	ds_store_b128 v205, v[99:102]
	s_wait_loadcnt 0x0
	ds_store_b128 v208, v[103:106]
	v_fma_mix_f32 v103, s7, v6, v110 op_sel_hi:[0,0,1]
	v_add_f32_e32 v6, 0x40051340, v124
	v_fma_mix_f32 v101, s7, v4, v109 op_sel_hi:[0,0,1]
	v_fma_mix_f32 v104, s7, v8, v110 op_sel:[0,0,1] op_sel_hi:[0,0,1]
	v_add_f32_e32 v8, 0x40051340, v126
	s_wait_dscnt 0xc
	v_fma_mix_f32 v108, s7, v9, v111 op_sel_hi:[0,0,1]
	v_max3_num_f32 v3, v177, v3, v6
	v_add_f32_e32 v6, 0x40051340, v125
	v_fma_mix_f32 v102, s7, v5, v109 op_sel:[0,0,1] op_sel_hi:[0,0,1]
	s_wait_dscnt 0xb
	v_fma_mix_f32 v29, s7, v14, v113 op_sel_hi:[0,0,1]
	v_fma_mix_f32 v31, s7, v16, v114 op_sel_hi:[0,0,1]
	v_fma_mix_f32 v107, s7, v10, v111 op_sel:[0,0,1] op_sel_hi:[0,0,1]
	v_max3_num_f32 v3, v3, v6, v8
	v_add_f32_e32 v6, 0x40051340, v0
	v_add_f32_e32 v8, 0x40051340, v1
	v_fma_mix_f32 v106, s7, v13, v112 op_sel_hi:[0,0,1]
	v_fma_mix_f32 v105, s7, v12, v112 op_sel:[0,0,1] op_sel_hi:[0,0,1]
	s_wait_dscnt 0xa
	v_fma_mix_f32 v100, s7, v18, v115 op_sel_hi:[0,0,1]
	v_fma_mix_f32 v30, s7, v15, v113 op_sel:[0,0,1] op_sel_hi:[0,0,1]
	v_max3_num_f32 v3, v3, v6, v8
	v_fma_mix_f32 v6, s7, v7, v122 op_sel:[0,0,1] op_sel_hi:[0,0,1]
	v_add_f32_e32 v7, 0x40051340, v2
	v_fma_mix_f32 v98, s7, v20, v116 op_sel_hi:[0,0,1]
	v_fma_mix_f32 v96, s7, v17, v114 op_sel:[0,0,1] op_sel_hi:[0,0,1]
	s_wait_dscnt 0x9
	v_fma_mix_f32 v4, s7, v21, v117 op_sel_hi:[0,0,1]
	v_add_f32_e32 v8, 0x40051340, v6
	v_fma_mix_f32 v99, s7, v19, v115 op_sel:[0,0,1] op_sel_hi:[0,0,1]
	v_fma_mix_f32 v10, s7, v23, v118 op_sel_hi:[0,0,1]
	v_fma_mix_f32 v97, s7, v11, v116 op_sel:[0,0,1] op_sel_hi:[0,0,1]
	s_wait_dscnt 0x8
	v_fma_mix_f32 v13, s7, v27, v120 op_sel_hi:[0,0,1]
	v_max3_num_f32 v3, v3, v7, v8
	v_dual_add_f32 v7, 0x40051340, v101 :: v_dual_add_f32 v8, 0x40051340, v102
	v_fma_mix_f32 v5, s7, v22, v117 op_sel:[0,0,1] op_sel_hi:[0,0,1]
	v_fma_mix_f32 v15, s7, v25, v119 op_sel_hi:[0,0,1]
	v_fma_mix_f32 v11, s7, v24, v118 op_sel:[0,0,1] op_sel_hi:[0,0,1]
	v_fma_mix_f32 v14, s7, v26, v119 op_sel:[0,0,1] op_sel_hi:[0,0,1]
	v_max3_num_f32 v3, v3, v7, v8
	v_dual_add_f32 v7, 0x40051340, v103 :: v_dual_add_f32 v8, 0x40051340, v104
	v_fma_mix_f32 v12, s7, v28, v120 op_sel:[0,0,1] op_sel_hi:[0,0,1]
	v_add_nc_u32_e32 v122, 0x400, v238
	s_wait_dscnt 0x0
	s_barrier_signal -1
	v_max3_num_f32 v3, v3, v7, v8
	v_dual_add_f32 v7, 0x40051340, v108 :: v_dual_add_f32 v8, 0x40051340, v107
	s_barrier_wait -1
	global_inv scope:SCOPE_SE
	ds_load_2addr_b32 v[25:26], v122 offset0:16 offset1:32
	ds_load_2addr_b32 v[109:110], v239 offset1:16
	ds_load_2addr_b32 v[111:112], v241 offset1:16
	ds_load_2addr_b32 v[27:28], v122 offset0:84 offset1:100
	ds_load_2addr_b32 v[113:114], v238 offset0:136 offset1:152
	;; [unrolled: 1-line block ×3, first 2 shown]
	v_max3_num_f32 v3, v3, v7, v8
	v_dual_add_f32 v7, 0x40051340, v106 :: v_dual_add_f32 v8, 0x40051340, v105
	ds_load_2addr_b32 v[117:118], v238 offset1:16
	ds_load_2addr_b32 v[119:120], v238 offset0:68 offset1:84
	v_max3_num_f32 v3, v3, v7, v8
	v_dual_add_f32 v7, 0x40051340, v29 :: v_dual_add_f32 v8, 0x40051340, v30
	s_delay_alu instid0(VALU_DEP_1) | instskip(SKIP_3) | instid1(VALU_DEP_2)
	v_max3_num_f32 v3, v3, v7, v8
	v_dual_add_f32 v7, 0x40051340, v31 :: v_dual_add_f32 v8, 0x40051340, v96
	s_wait_dscnt 0x5
	v_perm_b32 v24, v111, v109, 0x5040100
	v_max3_num_f32 v3, v3, v7, v8
	v_dual_add_f32 v7, 0x40051340, v100 :: v_dual_add_f32 v8, 0x40051340, v99
	s_delay_alu instid0(VALU_DEP_1) | instskip(SKIP_1) | instid1(VALU_DEP_1)
	v_max3_num_f32 v3, v3, v7, v8
	v_dual_add_f32 v7, 0x40051340, v98 :: v_dual_add_f32 v8, 0x40051340, v97
	v_max3_num_f32 v3, v3, v7, v8
	v_dual_add_f32 v7, 0x40051340, v4 :: v_dual_add_f32 v8, 0x40051340, v5
	s_delay_alu instid0(VALU_DEP_1) | instskip(SKIP_1) | instid1(VALU_DEP_1)
	v_max3_num_f32 v3, v3, v7, v8
	v_dual_add_f32 v7, 0x40051340, v10 :: v_dual_add_f32 v8, 0x40051340, v11
	;; [unrolled: 5-line block ×3, first 2 shown]
	v_max3_num_f32 v3, v3, v7, v8
	ds_bpermute_b32 v7, v242, v3
	s_wait_dscnt 0x0
	v_max_num_f32_e32 v7, v7, v7
	s_delay_alu instid0(VALU_DEP_1) | instskip(NEXT) | instid1(VALU_DEP_1)
	v_max_num_f32_e32 v250, v3, v7
	v_sub_f32_e32 v0, v0, v250
	v_sub_f32_e32 v1, v1, v250
	;; [unrolled: 1-line block ×4, first 2 shown]
	s_delay_alu instid0(VALU_DEP_4) | instskip(NEXT) | instid1(VALU_DEP_4)
	v_dual_sub_f32 v98, v98, v250 :: v_dual_mul_f32 v3, 0x3fb8aa3b, v0
	v_cmp_ngt_f32_e32 vcc_lo, 0xc2ce8ed0, v1
	s_delay_alu instid0(VALU_DEP_4) | instskip(NEXT) | instid1(VALU_DEP_4)
	v_cmp_ngt_f32_e64 s3, 0xc2ce8ed0, v2
	v_cmp_ngt_f32_e64 s4, 0xc2ce8ed0, v6
	;; [unrolled: 1-line block ×3, first 2 shown]
	v_fma_f32 v7, 0x3fb8aa3b, v0, -v3
	v_rndne_f32_e32 v8, v3
	v_sub_f32_e32 v14, v14, v250
	v_sub_f32_e32 v4, v4, v250
	;; [unrolled: 1-line block ×3, first 2 shown]
	v_fmac_f32_e32 v7, 0x32a5705f, v0
	v_sub_f32_e32 v3, v3, v8
	v_cvt_i32_f32_e32 v8, v8
	s_delay_alu instid0(VALU_DEP_2) | instskip(SKIP_1) | instid1(VALU_DEP_2)
	v_dual_sub_f32 v10, v10, v250 :: v_dual_add_f32 v3, v3, v7
	v_mul_f32_e32 v7, 0x3fb8aa3b, v1
	v_exp_f32_e32 v3, v3
	s_delay_alu instid0(VALU_DEP_1) | instskip(SKIP_1) | instid1(VALU_DEP_2)
	v_fma_f32 v9, 0x3fb8aa3b, v1, -v7
	v_rndne_f32_e32 v16, v7
	v_fmac_f32_e32 v9, 0x32a5705f, v1
	s_delay_alu instid0(VALU_DEP_2) | instskip(NEXT) | instid1(TRANS32_DEP_1)
	v_sub_f32_e32 v7, v7, v16
	v_ldexp_f32 v3, v3, v8
	v_cvt_i32_f32_e32 v8, v16
	s_delay_alu instid0(VALU_DEP_3)
	v_add_f32_e32 v7, v7, v9
	v_mul_f32_e32 v9, 0x3fb8aa3b, v2
	s_wait_alu 0xf1ff
	v_cndmask_b32_e64 v3, 0, v3, s5
	v_cmp_nlt_f32_e64 s5, 0x42b17218, v0
	v_exp_f32_e32 v7, v7
	v_fma_f32 v17, 0x3fb8aa3b, v2, -v9
	v_rndne_f32_e32 v18, v9
	s_delay_alu instid0(VALU_DEP_2) | instskip(NEXT) | instid1(VALU_DEP_2)
	v_fmac_f32_e32 v17, 0x32a5705f, v2
	v_sub_f32_e32 v9, v9, v18
	s_delay_alu instid0(TRANS32_DEP_1) | instskip(NEXT) | instid1(VALU_DEP_2)
	v_ldexp_f32 v7, v7, v8
	v_add_f32_e32 v9, v9, v17
	v_mul_f32_e32 v17, 0x3fb8aa3b, v6
	s_delay_alu instid0(VALU_DEP_2) | instskip(NEXT) | instid1(VALU_DEP_1)
	v_exp_f32_e32 v8, v9
	v_fma_f32 v19, 0x3fb8aa3b, v6, -v17
	v_rndne_f32_e32 v20, v17
	v_cvt_i32_f32_e32 v9, v18
	s_delay_alu instid0(VALU_DEP_3) | instskip(NEXT) | instid1(VALU_DEP_3)
	v_fmac_f32_e32 v19, 0x32a5705f, v6
	v_sub_f32_e32 v17, v17, v20
	v_cvt_i32_f32_e32 v16, v20
	s_delay_alu instid0(TRANS32_DEP_1) | instid1(VALU_DEP_4)
	v_ldexp_f32 v8, v8, v9
	s_delay_alu instid0(VALU_DEP_3) | instskip(NEXT) | instid1(VALU_DEP_1)
	v_add_f32_e32 v17, v17, v19
	v_exp_f32_e32 v9, v17
	s_delay_alu instid0(TRANS32_DEP_1)
	v_ldexp_f32 v9, v9, v16
	s_wait_alu 0xfffd
	v_cndmask_b32_e32 v16, 0, v7, vcc_lo
	v_cmp_nlt_f32_e32 vcc_lo, 0x42b17218, v1
	v_cndmask_b32_e64 v1, 0, v8, s3
	v_cmp_nlt_f32_e64 s3, 0x42b17218, v2
	v_cndmask_b32_e64 v2, 0, v9, s4
	v_cmp_nlt_f32_e64 s4, 0x42b17218, v6
	s_wait_alu 0xf1ff
	v_cndmask_b32_e64 v8, 0x7f800000, v3, s5
	s_wait_alu 0xfffd
	v_cndmask_b32_e32 v9, 0x7f800000, v16, vcc_lo
	v_cndmask_b32_e64 v6, 0x7f800000, v1, s3
	v_sub_f32_e32 v5, v5, v250
	v_cndmask_b32_e64 v7, 0x7f800000, v2, s4
	v_cvt_f16_f32_e32 v0, v8
	v_cvt_f16_f32_e32 v16, v9
	;; [unrolled: 1-line block ×3, first 2 shown]
	v_sub_f32_e32 v15, v15, v250
	v_cvt_f16_f32_e32 v2, v7
	s_delay_alu instid0(VALU_DEP_1) | instskip(SKIP_2) | instid1(VALU_DEP_1)
	v_pack_b32_f16 v3, v1, v2
	v_pack_b32_f16 v2, v0, v16
	v_sub_f32_e32 v0, v126, v250
	v_mul_f32_e32 v1, 0x3fb8aa3b, v0
	v_cmp_ngt_f32_e32 vcc_lo, 0xc2ce8ed0, v0
	s_delay_alu instid0(VALU_DEP_2) | instskip(SKIP_1) | instid1(VALU_DEP_1)
	v_fma_f32 v16, 0x3fb8aa3b, v0, -v1
	v_rndne_f32_e32 v17, v1
	v_dual_fmac_f32 v16, 0x32a5705f, v0 :: v_dual_sub_f32 v1, v1, v17
	v_cvt_i32_f32_e32 v17, v17
	s_delay_alu instid0(VALU_DEP_2) | instskip(SKIP_2) | instid1(VALU_DEP_3)
	v_add_f32_e32 v1, v1, v16
	v_sub_f32_e32 v16, v125, v250
	v_add_nc_u32_e32 v125, 0x1000, v238
	v_exp_f32_e32 v1, v1
	s_delay_alu instid0(VALU_DEP_2) | instskip(SKIP_1) | instid1(VALU_DEP_2)
	v_mul_f32_e32 v18, 0x3fb8aa3b, v16
	v_cmp_ngt_f32_e64 s3, 0xc2ce8ed0, v16
	v_fma_f32 v19, 0x3fb8aa3b, v16, -v18
	v_rndne_f32_e32 v20, v18
	s_delay_alu instid0(TRANS32_DEP_1) | instskip(NEXT) | instid1(VALU_DEP_3)
	v_ldexp_f32 v1, v1, v17
	v_fmac_f32_e32 v19, 0x32a5705f, v16
	s_wait_alu 0xfffd
	s_delay_alu instid0(VALU_DEP_2) | instskip(SKIP_1) | instid1(VALU_DEP_2)
	v_dual_sub_f32 v18, v18, v20 :: v_dual_cndmask_b32 v1, 0, v1
	v_cmp_nlt_f32_e32 vcc_lo, 0x42b17218, v0
	v_add_f32_e32 v18, v18, v19
	s_delay_alu instid0(VALU_DEP_1)
	v_exp_f32_e32 v17, v18
	v_cvt_i32_f32_e32 v18, v20
	s_delay_alu instid0(TRANS32_DEP_1) | instid1(VALU_DEP_1)
	v_ldexp_f32 v17, v17, v18
	s_wait_alu 0xf1ff
	s_delay_alu instid0(VALU_DEP_1) | instskip(SKIP_4) | instid1(VALU_DEP_2)
	v_cndmask_b32_e64 v0, 0, v17, s3
	v_cmp_nlt_f32_e64 s3, 0x42b17218, v16
	s_wait_alu 0xfffd
	v_cndmask_b32_e32 v17, 0x7f800000, v1, vcc_lo
	s_wait_alu 0xf1ff
	v_cndmask_b32_e64 v16, 0x7f800000, v0, s3
	s_delay_alu instid0(VALU_DEP_2)
	v_cvt_f16_f32_e32 v1, v17
	v_sub_f32_e32 v11, v11, v250
	v_sub_f32_e32 v12, v12, v250
	;; [unrolled: 1-line block ×3, first 2 shown]
	v_cvt_f16_f32_e32 v0, v16
	v_sub_f32_e32 v29, v29, v250
	s_delay_alu instid0(VALU_DEP_2) | instskip(SKIP_2) | instid1(VALU_DEP_2)
	v_pack_b32_f16 v1, v0, v1
	v_sub_f32_e32 v0, v124, v250
	v_add_nc_u32_e32 v124, 0x1000, v241
	v_mul_f32_e32 v18, 0x3fb8aa3b, v0
	v_cmp_ngt_f32_e32 vcc_lo, 0xc2ce8ed0, v0
	s_delay_alu instid0(VALU_DEP_2) | instskip(SKIP_1) | instid1(VALU_DEP_2)
	v_fma_f32 v19, 0x3fb8aa3b, v0, -v18
	v_rndne_f32_e32 v20, v18
	v_fmac_f32_e32 v19, 0x32a5705f, v0
	s_delay_alu instid0(VALU_DEP_2) | instskip(SKIP_1) | instid1(VALU_DEP_2)
	v_sub_f32_e32 v18, v18, v20
	v_cvt_i32_f32_e32 v20, v20
	v_dual_add_f32 v18, v18, v19 :: v_dual_sub_f32 v19, v123, v250
	v_add_nc_u32_e32 v123, 0x1000, v239
	s_delay_alu instid0(VALU_DEP_2) | instskip(NEXT) | instid1(VALU_DEP_2)
	v_exp_f32_e32 v18, v18
	v_mul_f32_e32 v21, 0x3fb8aa3b, v19
	v_cmp_ngt_f32_e64 s3, 0xc2ce8ed0, v19
	s_delay_alu instid0(VALU_DEP_2) | instskip(SKIP_1) | instid1(TRANS32_DEP_1)
	v_fma_f32 v22, 0x3fb8aa3b, v19, -v21
	v_rndne_f32_e32 v23, v21
	v_ldexp_f32 v18, v18, v20
	s_delay_alu instid0(VALU_DEP_3) | instskip(SKIP_1) | instid1(VALU_DEP_2)
	v_fmac_f32_e32 v22, 0x32a5705f, v19
	s_wait_alu 0xfffd
	v_dual_sub_f32 v21, v21, v23 :: v_dual_cndmask_b32 v18, 0, v18
	v_cmp_nlt_f32_e32 vcc_lo, 0x42b17218, v0
	s_delay_alu instid0(VALU_DEP_2) | instskip(NEXT) | instid1(VALU_DEP_1)
	v_add_f32_e32 v21, v21, v22
	v_exp_f32_e32 v20, v21
	v_cvt_i32_f32_e32 v21, v23
	s_delay_alu instid0(TRANS32_DEP_1) | instid1(VALU_DEP_1)
	v_ldexp_f32 v20, v20, v21
	s_wait_alu 0xf1ff
	s_delay_alu instid0(VALU_DEP_1) | instskip(SKIP_4) | instid1(VALU_DEP_2)
	v_cndmask_b32_e64 v0, 0, v20, s3
	v_cmp_nlt_f32_e64 s3, 0x42b17218, v19
	s_wait_alu 0xfffd
	v_cndmask_b32_e32 v20, 0x7f800000, v18, vcc_lo
	s_wait_alu 0xf1ff
	v_cndmask_b32_e64 v19, 0x7f800000, v0, s3
	s_delay_alu instid0(VALU_DEP_2) | instskip(NEXT) | instid1(VALU_DEP_2)
	v_cvt_f16_f32_e32 v18, v20
	v_cvt_f16_f32_e32 v0, v19
	s_delay_alu instid0(VALU_DEP_1) | instskip(SKIP_1) | instid1(VALU_DEP_1)
	v_pack_b32_f16 v0, v0, v18
	v_sub_f32_e32 v18, v177, v250
	v_mul_f32_e32 v21, 0x3fb8aa3b, v18
	v_cmp_ngt_f32_e32 vcc_lo, 0xc2ce8ed0, v18
	s_delay_alu instid0(VALU_DEP_2) | instskip(SKIP_1) | instid1(VALU_DEP_1)
	v_fma_f32 v22, 0x3fb8aa3b, v18, -v21
	v_rndne_f32_e32 v23, v21
	v_dual_fmac_f32 v22, 0x32a5705f, v18 :: v_dual_sub_f32 v21, v21, v23
	s_delay_alu instid0(VALU_DEP_1) | instskip(SKIP_2) | instid1(VALU_DEP_3)
	v_add_f32_e32 v21, v21, v22
	v_cvt_i32_f32_e32 v22, v23
	v_perm_b32 v23, v27, v25, 0x5040100
	v_exp_f32_e32 v21, v21
	s_delay_alu instid0(TRANS32_DEP_1) | instskip(SKIP_2) | instid1(VALU_DEP_2)
	v_ldexp_f32 v21, v21, v22
	v_perm_b32 v22, v115, v113, 0x5040100
	s_wait_alu 0xfffd
	v_cndmask_b32_e32 v21, 0, v21, vcc_lo
	v_cmp_nlt_f32_e32 vcc_lo, 0x42b17218, v18
	s_wait_alu 0xfffd
	s_delay_alu instid0(VALU_DEP_2) | instskip(SKIP_2) | instid1(VALU_DEP_2)
	v_cndmask_b32_e32 v21, 0x7f800000, v21, vcc_lo
	v_cmp_le_f32_e32 vcc_lo, 0xc1a00000, v18
	s_wait_alu 0xfffd
	v_cndmask_b32_e32 v18, 0, v21, vcc_lo
	s_delay_alu instid0(VALU_DEP_1) | instskip(NEXT) | instid1(VALU_DEP_1)
	v_cvt_f16_f32_e32 v21, v18
	v_and_b32_e32 v21, 0xffff, v21
	s_delay_alu instid0(VALU_DEP_1) | instskip(SKIP_1) | instid1(VALU_DEP_2)
	v_mul_u32_u24_e32 v121, 0x10001, v21
	v_perm_b32 v21, v119, v117, 0x5040100
	v_pk_mul_f16 v60, v60, v121
	v_pk_mul_f16 v61, v61, v121
	;; [unrolled: 1-line block ×8, first 2 shown]
	v_wmma_f16_16x16x16_f16 v[60:63], v[21:24], v[0:3], v[60:63]
	v_perm_b32 v21, v119, v117, 0x7060302
	v_perm_b32 v22, v115, v113, 0x7060302
	;; [unrolled: 1-line block ×6, first 2 shown]
	v_pk_mul_f16 v56, v56, v121
	v_pk_mul_f16 v57, v57, v121
	v_wmma_f16_16x16x16_f16 v[52:55], v[21:24], v[0:3], v[52:55]
	v_perm_b32 v23, v28, v26, 0x7060302
	v_perm_b32 v26, v116, v114, 0x5040100
	v_perm_b32 v28, v112, v110, 0x5040100
	v_pk_mul_f16 v58, v58, v121
	v_pk_mul_f16 v59, v59, v121
	v_perm_b32 v22, v116, v114, 0x7060302
	v_perm_b32 v21, v120, v118, 0x7060302
	;; [unrolled: 1-line block ×3, first 2 shown]
	v_pk_mul_f16 v48, v48, v121
	v_wmma_f16_16x16x16_f16 v[56:59], v[25:28], v[0:3], v[56:59]
	ds_load_2addr_b32 v[25:26], v122 offset0:48 offset1:64
	ds_load_2addr_b32 v[27:28], v122 offset0:116 offset1:132
	ds_load_2addr_b32 v[109:110], v239 offset0:32 offset1:48
	ds_load_2addr_b32 v[111:112], v241 offset0:32 offset1:48
	ds_load_2addr_b32 v[113:114], v238 offset0:168 offset1:184
	ds_load_2addr_b32 v[115:116], v238 offset0:236 offset1:252
	ds_load_2addr_b32 v[117:118], v238 offset0:32 offset1:48
	ds_load_2addr_b32 v[119:120], v238 offset0:100 offset1:116
	v_pk_mul_f16 v49, v49, v121
	v_pk_mul_f16 v50, v50, v121
	;; [unrolled: 1-line block ×7, first 2 shown]
	v_wmma_f16_16x16x16_f16 v[48:51], v[21:24], v[0:3], v[48:51]
	v_pk_mul_f16 v40, v40, v121
	v_pk_mul_f16 v41, v41, v121
	;; [unrolled: 1-line block ×7, first 2 shown]
	s_wait_dscnt 0x6
	v_perm_b32 v23, v27, v25, 0x5040100
	v_pk_mul_f16 v39, v39, v121
	s_wait_dscnt 0x4
	v_perm_b32 v24, v111, v109, 0x5040100
	s_wait_dscnt 0x2
	v_perm_b32 v22, v115, v113, 0x5040100
	;; [unrolled: 2-line block ×3, first 2 shown]
	v_pk_mul_f16 v32, v32, v121
	v_pk_mul_f16 v33, v33, v121
	;; [unrolled: 1-line block ×4, first 2 shown]
	v_wmma_f16_16x16x16_f16 v[44:47], v[21:24], v[0:3], v[44:47]
	v_perm_b32 v21, v119, v117, 0x7060302
	v_perm_b32 v22, v115, v113, 0x7060302
	;; [unrolled: 1-line block ×6, first 2 shown]
	v_add_nc_u32_e32 v122, 0x1400, v238
	s_delay_alu instid0(VALU_DEP_4)
	v_wmma_f16_16x16x16_f16 v[40:43], v[21:24], v[0:3], v[40:43]
	v_perm_b32 v22, v116, v114, 0x7060302
	v_perm_b32 v23, v28, v26, 0x7060302
	;; [unrolled: 1-line block ×6, first 2 shown]
	s_delay_alu instid0(VALU_DEP_2) | instskip(NEXT) | instid1(VALU_DEP_2)
	v_wmma_f16_16x16x16_f16 v[36:39], v[25:28], v[0:3], v[36:39]
	v_wmma_f16_16x16x16_f16 v[32:35], v[21:24], v[0:3], v[32:35]
	v_sub_f32_e32 v0, v108, v250
	s_delay_alu instid0(VALU_DEP_1) | instskip(SKIP_1) | instid1(VALU_DEP_2)
	v_mul_f32_e32 v1, 0x3fb8aa3b, v0
	v_cmp_ngt_f32_e64 s5, 0xc2ce8ed0, v0
	v_fma_f32 v2, 0x3fb8aa3b, v0, -v1
	v_rndne_f32_e32 v3, v1
	s_delay_alu instid0(VALU_DEP_1) | instskip(SKIP_1) | instid1(VALU_DEP_2)
	v_dual_fmac_f32 v2, 0x32a5705f, v0 :: v_dual_sub_f32 v1, v1, v3
	v_cvt_i32_f32_e32 v3, v3
	v_add_f32_e32 v1, v1, v2
	v_sub_f32_e32 v2, v107, v250
	s_delay_alu instid0(VALU_DEP_2) | instskip(NEXT) | instid1(VALU_DEP_1)
	v_exp_f32_e32 v1, v1
	v_mul_f32_e32 v21, 0x3fb8aa3b, v2
	v_cmp_ngt_f32_e32 vcc_lo, 0xc2ce8ed0, v2
	s_delay_alu instid0(VALU_DEP_2) | instskip(SKIP_1) | instid1(TRANS32_DEP_1)
	v_fma_f32 v22, 0x3fb8aa3b, v2, -v21
	v_rndne_f32_e32 v23, v21
	v_ldexp_f32 v1, v1, v3
	s_delay_alu instid0(VALU_DEP_2) | instskip(SKIP_1) | instid1(VALU_DEP_2)
	v_dual_fmac_f32 v22, 0x32a5705f, v2 :: v_dual_sub_f32 v21, v21, v23
	s_wait_alu 0xf1ff
	v_cndmask_b32_e64 v1, 0, v1, s5
	v_cmp_nlt_f32_e64 s5, 0x42b17218, v0
	s_delay_alu instid0(VALU_DEP_3) | instskip(NEXT) | instid1(VALU_DEP_1)
	v_add_f32_e32 v21, v21, v22
	v_exp_f32_e32 v3, v21
	v_cvt_i32_f32_e32 v21, v23
	s_delay_alu instid0(TRANS32_DEP_1) | instid1(VALU_DEP_1)
	v_ldexp_f32 v3, v3, v21
	v_sub_f32_e32 v21, v106, v250
	s_wait_alu 0xfffd
	s_delay_alu instid0(VALU_DEP_1)
	v_dual_cndmask_b32 v3, 0, v3 :: v_dual_mul_f32 v22, 0x3fb8aa3b, v21
	v_cmp_nlt_f32_e32 vcc_lo, 0x42b17218, v2
	v_sub_f32_e32 v2, v105, v250
	v_cmp_ngt_f32_e64 s3, 0xc2ce8ed0, v21
	ds_load_2addr_b32 v[105:106], v122 offset0:80 offset1:96
	ds_load_2addr_b32 v[108:109], v123 offset0:64 offset1:80
	;; [unrolled: 1-line block ×4, first 2 shown]
	v_fma_f32 v23, 0x3fb8aa3b, v21, -v22
	v_rndne_f32_e32 v24, v22
	v_cmp_ngt_f32_e64 s4, 0xc2ce8ed0, v2
	s_wait_alu 0xfffd
	v_cndmask_b32_e32 v3, 0x7f800000, v3, vcc_lo
	ds_load_2addr_b32 v[114:115], v125 offset0:200 offset1:216
	ds_load_2addr_b32 v[116:117], v122 offset0:12 offset1:28
	v_dual_fmac_f32 v23, 0x32a5705f, v21 :: v_dual_sub_f32 v22, v22, v24
	v_cvt_i32_f32_e32 v24, v24
	ds_load_2addr_b32 v[118:119], v125 offset0:64 offset1:80
	ds_load_2addr_b32 v[120:121], v125 offset0:132 offset1:148
	v_dual_add_f32 v22, v22, v23 :: v_dual_mul_f32 v23, 0x3fb8aa3b, v2
	s_delay_alu instid0(VALU_DEP_1) | instskip(NEXT) | instid1(VALU_DEP_1)
	v_exp_f32_e32 v22, v22
	v_fma_f32 v25, 0x3fb8aa3b, v2, -v23
	v_rndne_f32_e32 v26, v23
	s_wait_dscnt 0x4
	v_perm_b32 v107, v113, v106, 0x5040100
	s_delay_alu instid0(VALU_DEP_3) | instskip(NEXT) | instid1(VALU_DEP_3)
	v_fmac_f32_e32 v25, 0x32a5705f, v2
	v_sub_f32_e32 v23, v23, v26
	s_delay_alu instid0(TRANS32_DEP_1) | instskip(SKIP_1) | instid1(VALU_DEP_3)
	v_ldexp_f32 v22, v22, v24
	v_cvt_i32_f32_e32 v24, v26
	v_add_f32_e32 v23, v23, v25
	s_wait_alu 0xf1ff
	s_delay_alu instid0(VALU_DEP_3) | instskip(SKIP_1) | instid1(VALU_DEP_3)
	v_cndmask_b32_e64 v22, 0, v22, s3
	v_cmp_nlt_f32_e64 s3, 0x42b17218, v21
	v_exp_f32_e32 v23, v23
	s_wait_alu 0xf1ff
	s_delay_alu instid0(VALU_DEP_1) | instskip(NEXT) | instid1(VALU_DEP_1)
	v_cndmask_b32_e64 v0, 0x7f800000, v22, s3
	v_cvt_f16_f32_e32 v22, v0
	s_delay_alu instid0(TRANS32_DEP_1) | instskip(SKIP_1) | instid1(VALU_DEP_2)
	v_ldexp_f32 v23, v23, v24
	v_cvt_f16_f32_e32 v24, v3
	v_cndmask_b32_e64 v21, 0, v23, s4
	v_cmp_nlt_f32_e64 s4, 0x42b17218, v2
	v_cndmask_b32_e64 v2, 0x7f800000, v1, s5
	s_wait_alu 0xf1ff
	s_delay_alu instid0(VALU_DEP_2) | instskip(NEXT) | instid1(VALU_DEP_2)
	v_cndmask_b32_e64 v1, 0x7f800000, v21, s4
	v_cvt_f16_f32_e32 v21, v2
	s_delay_alu instid0(VALU_DEP_2) | instskip(NEXT) | instid1(VALU_DEP_2)
	v_cvt_f16_f32_e32 v23, v1
	v_pack_b32_f16 v27, v21, v24
	v_sub_f32_e32 v21, v104, v250
	s_delay_alu instid0(VALU_DEP_3) | instskip(NEXT) | instid1(VALU_DEP_2)
	v_pack_b32_f16 v28, v22, v23
	v_mul_f32_e32 v22, 0x3fb8aa3b, v21
	v_cmp_ngt_f32_e32 vcc_lo, 0xc2ce8ed0, v21
	s_delay_alu instid0(VALU_DEP_2) | instskip(SKIP_1) | instid1(VALU_DEP_1)
	v_fma_f32 v23, 0x3fb8aa3b, v21, -v22
	v_rndne_f32_e32 v24, v22
	v_dual_fmac_f32 v23, 0x32a5705f, v21 :: v_dual_sub_f32 v22, v22, v24
	v_cvt_i32_f32_e32 v24, v24
	s_delay_alu instid0(VALU_DEP_2) | instskip(NEXT) | instid1(VALU_DEP_1)
	v_dual_add_f32 v22, v22, v23 :: v_dual_sub_f32 v23, v103, v250
	v_exp_f32_e32 v22, v22
	s_delay_alu instid0(VALU_DEP_1) | instskip(SKIP_1) | instid1(VALU_DEP_2)
	v_mul_f32_e32 v25, 0x3fb8aa3b, v23
	v_cmp_ngt_f32_e64 s3, 0xc2ce8ed0, v23
	v_fma_f32 v26, 0x3fb8aa3b, v23, -v25
	v_rndne_f32_e32 v103, v25
	s_delay_alu instid0(TRANS32_DEP_1) | instskip(NEXT) | instid1(VALU_DEP_3)
	v_ldexp_f32 v22, v22, v24
	v_fmac_f32_e32 v26, 0x32a5705f, v23
	s_wait_alu 0xfffd
	s_delay_alu instid0(VALU_DEP_2) | instskip(SKIP_1) | instid1(VALU_DEP_2)
	v_dual_sub_f32 v25, v25, v103 :: v_dual_cndmask_b32 v22, 0, v22
	v_cmp_nlt_f32_e32 vcc_lo, 0x42b17218, v21
	v_add_f32_e32 v25, v25, v26
	s_wait_alu 0xfffd
	s_delay_alu instid0(VALU_DEP_3) | instskip(NEXT) | instid1(VALU_DEP_2)
	v_cndmask_b32_e32 v22, 0x7f800000, v22, vcc_lo
	v_exp_f32_e32 v24, v25
	v_cvt_i32_f32_e32 v25, v103
	s_delay_alu instid0(TRANS32_DEP_1) | instid1(VALU_DEP_1)
	v_ldexp_f32 v24, v24, v25
	s_wait_alu 0xf1ff
	s_delay_alu instid0(VALU_DEP_1) | instskip(SKIP_3) | instid1(VALU_DEP_2)
	v_cndmask_b32_e64 v21, 0, v24, s3
	v_cmp_nlt_f32_e64 s3, 0x42b17218, v23
	v_cvt_f16_f32_e32 v24, v22
	s_wait_alu 0xf1ff
	v_cndmask_b32_e64 v21, 0x7f800000, v21, s3
	s_delay_alu instid0(VALU_DEP_1) | instskip(NEXT) | instid1(VALU_DEP_1)
	v_cvt_f16_f32_e32 v23, v21
	v_pack_b32_f16 v26, v23, v24
	v_sub_f32_e32 v23, v102, v250
	s_delay_alu instid0(VALU_DEP_1) | instskip(SKIP_1) | instid1(VALU_DEP_2)
	v_mul_f32_e32 v24, 0x3fb8aa3b, v23
	v_cmp_ngt_f32_e32 vcc_lo, 0xc2ce8ed0, v23
	v_fma_f32 v25, 0x3fb8aa3b, v23, -v24
	v_rndne_f32_e32 v102, v24
	s_delay_alu instid0(VALU_DEP_1) | instskip(SKIP_1) | instid1(VALU_DEP_2)
	v_dual_fmac_f32 v25, 0x32a5705f, v23 :: v_dual_sub_f32 v24, v24, v102
	v_cvt_i32_f32_e32 v102, v102
	v_dual_add_f32 v24, v24, v25 :: v_dual_sub_f32 v25, v101, v250
	s_delay_alu instid0(VALU_DEP_1) | instskip(NEXT) | instid1(VALU_DEP_1)
	v_exp_f32_e32 v24, v24
	v_mul_f32_e32 v101, 0x3fb8aa3b, v25
	v_cmp_ngt_f32_e64 s3, 0xc2ce8ed0, v25
	s_delay_alu instid0(VALU_DEP_2) | instskip(SKIP_1) | instid1(TRANS32_DEP_1)
	v_fma_f32 v103, 0x3fb8aa3b, v25, -v101
	v_rndne_f32_e32 v104, v101
	v_ldexp_f32 v24, v24, v102
	s_delay_alu instid0(VALU_DEP_3) | instskip(NEXT) | instid1(VALU_DEP_3)
	v_fmac_f32_e32 v103, 0x32a5705f, v25
	v_sub_f32_e32 v101, v101, v104
	v_cvt_i32_f32_e32 v102, v104
	v_perm_b32 v104, v110, v108, 0x5040100
	s_wait_alu 0xfffd
	v_cndmask_b32_e32 v24, 0, v24, vcc_lo
	v_cmp_nlt_f32_e32 vcc_lo, 0x42b17218, v23
	v_add_f32_e32 v101, v101, v103
	v_perm_b32 v103, v112, v105, 0x5040100
	s_wait_alu 0xfffd
	v_cndmask_b32_e32 v24, 0x7f800000, v24, vcc_lo
	s_delay_alu instid0(VALU_DEP_3) | instskip(NEXT) | instid1(TRANS32_DEP_1)
	v_exp_f32_e32 v101, v101
	v_ldexp_f32 v101, v101, v102
	s_wait_dscnt 0x2
	v_perm_b32 v102, v116, v114, 0x5040100
	s_wait_alu 0xf1ff
	s_delay_alu instid0(VALU_DEP_2) | instskip(SKIP_3) | instid1(VALU_DEP_2)
	v_cndmask_b32_e64 v23, 0, v101, s3
	v_cmp_nlt_f32_e64 s3, 0x42b17218, v25
	v_cvt_f16_f32_e32 v101, v24
	s_wait_alu 0xf1ff
	v_cndmask_b32_e64 v23, 0x7f800000, v23, s3
	v_cmp_ngt_f32_e64 s3, 0xc2ce8ed0, v98
	s_delay_alu instid0(VALU_DEP_2) | instskip(NEXT) | instid1(VALU_DEP_1)
	v_cvt_f16_f32_e32 v25, v23
	v_pack_b32_f16 v25, v25, v101
	s_wait_dscnt 0x0
	v_perm_b32 v101, v120, v118, 0x5040100
	s_delay_alu instid0(VALU_DEP_1)
	v_wmma_f16_16x16x16_f16 v[60:63], v[101:104], v[25:28], v[60:63]
	v_perm_b32 v101, v120, v118, 0x7060302
	v_perm_b32 v102, v116, v114, 0x7060302
	;; [unrolled: 1-line block ×6, first 2 shown]
	s_delay_alu instid0(VALU_DEP_3)
	v_wmma_f16_16x16x16_f16 v[52:55], v[101:104], v[25:28], v[52:55]
	v_perm_b32 v103, v113, v106, 0x7060302
	v_perm_b32 v106, v117, v115, 0x5040100
	v_perm_b32 v102, v117, v115, 0x7060302
	v_perm_b32 v104, v111, v109, 0x7060302
	v_perm_b32 v101, v121, v119, 0x7060302
	s_delay_alu instid0(VALU_DEP_4)
	v_wmma_f16_16x16x16_f16 v[56:59], v[105:108], v[25:28], v[56:59]
	ds_load_2addr_b32 v[108:109], v122 offset0:44 offset1:60
	ds_load_2addr_b32 v[111:112], v122 offset0:112 offset1:128
	ds_load_2addr_b32 v[115:116], v122 offset0:180 offset1:196
	ds_load_2addr_b32 v[117:118], v125 offset0:232 offset1:248
	v_wmma_f16_16x16x16_f16 v[48:51], v[101:104], v[25:28], v[48:51]
	s_wait_dscnt 0x1
	v_perm_b32 v107, v115, v111, 0x7060302
	s_wait_dscnt 0x0
	v_perm_b32 v106, v108, v117, 0x7060302
	v_perm_b32 v111, v115, v111, 0x5040100
	;; [unrolled: 1-line block ×5, first 2 shown]
	ds_load_2addr_b32 v[116:117], v125 offset0:96 offset1:112
	ds_load_2addr_b32 v[120:121], v125 offset0:164 offset1:180
	v_perm_b32 v114, v109, v118, 0x7060302
	v_perm_b32 v118, v109, v118, 0x5040100
	v_add_nc_u32_e32 v125, 0x2000, v238
	s_wait_dscnt 0x0
	v_perm_b32 v105, v120, v116, 0x7060302
	v_perm_b32 v109, v120, v116, 0x5040100
	;; [unrolled: 1-line block ×4, first 2 shown]
	ds_load_2addr_b32 v[120:121], v123 offset0:96 offset1:112
	ds_load_2addr_b32 v[122:123], v124 offset0:96 offset1:112
	v_add_nc_u32_e32 v124, 0x2000, v241
	s_wait_dscnt 0x0
	v_perm_b32 v112, v122, v120, 0x5040100
	v_perm_b32 v108, v122, v120, 0x7060302
	;; [unrolled: 1-line block ×4, first 2 shown]
	s_delay_alu instid0(VALU_DEP_4) | instskip(NEXT) | instid1(VALU_DEP_4)
	v_wmma_f16_16x16x16_f16 v[44:47], v[109:112], v[25:28], v[44:47]
	v_wmma_f16_16x16x16_f16 v[40:43], v[105:108], v[25:28], v[40:43]
	s_delay_alu instid0(VALU_DEP_4) | instskip(NEXT) | instid1(VALU_DEP_4)
	v_wmma_f16_16x16x16_f16 v[36:39], v[117:120], v[25:28], v[36:39]
	v_wmma_f16_16x16x16_f16 v[32:35], v[113:116], v[25:28], v[32:35]
	v_dual_sub_f32 v25, v100, v250 :: v_dual_add_nc_u32 v116, 0x2000, v239
	v_add_nc_u32_e32 v115, 0x2400, v238
	s_delay_alu instid0(VALU_DEP_2) | instskip(SKIP_1) | instid1(VALU_DEP_2)
	v_mul_f32_e32 v26, 0x3fb8aa3b, v25
	v_cmp_ngt_f32_e64 s5, 0xc2ce8ed0, v25
	v_fma_f32 v27, 0x3fb8aa3b, v25, -v26
	v_rndne_f32_e32 v28, v26
	s_delay_alu instid0(VALU_DEP_1) | instskip(SKIP_1) | instid1(VALU_DEP_2)
	v_dual_fmac_f32 v27, 0x32a5705f, v25 :: v_dual_sub_f32 v26, v26, v28
	v_cvt_i32_f32_e32 v28, v28
	v_dual_add_f32 v26, v26, v27 :: v_dual_sub_f32 v27, v99, v250
	s_delay_alu instid0(VALU_DEP_1) | instskip(NEXT) | instid1(VALU_DEP_1)
	v_exp_f32_e32 v26, v26
	v_mul_f32_e32 v99, 0x3fb8aa3b, v27
	v_cmp_ngt_f32_e32 vcc_lo, 0xc2ce8ed0, v27
	s_delay_alu instid0(VALU_DEP_2) | instskip(SKIP_1) | instid1(TRANS32_DEP_1)
	v_fma_f32 v100, 0x3fb8aa3b, v27, -v99
	v_rndne_f32_e32 v101, v99
	v_ldexp_f32 v26, v26, v28
	s_delay_alu instid0(VALU_DEP_2) | instskip(SKIP_1) | instid1(VALU_DEP_2)
	v_dual_fmac_f32 v100, 0x32a5705f, v27 :: v_dual_sub_f32 v99, v99, v101
	s_wait_alu 0xf1ff
	v_cndmask_b32_e64 v26, 0, v26, s5
	v_cmp_nlt_f32_e64 s5, 0x42b17218, v25
	s_delay_alu instid0(VALU_DEP_3) | instskip(SKIP_1) | instid1(VALU_DEP_2)
	v_add_f32_e32 v99, v99, v100
	s_wait_alu 0xf1ff
	v_cndmask_b32_e64 v117, 0x7f800000, v26, s5
	s_delay_alu instid0(VALU_DEP_2) | instskip(SKIP_2) | instid1(VALU_DEP_3)
	v_exp_f32_e32 v28, v99
	v_cvt_i32_f32_e32 v99, v101
	v_cmp_ngt_f32_e64 s5, 0xc2ce8ed0, v15
	v_cvt_f16_f32_e32 v25, v117
	s_delay_alu instid0(TRANS32_DEP_1) | instid1(VALU_DEP_3)
	v_ldexp_f32 v28, v28, v99
	s_wait_alu 0xfffd
	s_delay_alu instid0(VALU_DEP_1) | instskip(NEXT) | instid1(VALU_DEP_1)
	v_dual_mul_f32 v99, 0x3fb8aa3b, v98 :: v_dual_cndmask_b32 v28, 0, v28
	v_fma_f32 v100, 0x3fb8aa3b, v98, -v99
	v_rndne_f32_e32 v101, v99
	v_cmp_nlt_f32_e32 vcc_lo, 0x42b17218, v27
	v_sub_f32_e32 v27, v97, v250
	s_delay_alu instid0(VALU_DEP_3) | instskip(SKIP_2) | instid1(VALU_DEP_3)
	v_dual_fmac_f32 v100, 0x32a5705f, v98 :: v_dual_sub_f32 v99, v99, v101
	s_wait_alu 0xfffd
	v_cndmask_b32_e32 v120, 0x7f800000, v28, vcc_lo
	v_mul_f32_e32 v97, 0x3fb8aa3b, v27
	v_cmp_ngt_f32_e64 s4, 0xc2ce8ed0, v27
	v_add_f32_e32 v99, v99, v100
	s_delay_alu instid0(VALU_DEP_3) | instskip(SKIP_1) | instid1(VALU_DEP_3)
	v_fma_f32 v100, 0x3fb8aa3b, v27, -v97
	v_rndne_f32_e32 v102, v97
	v_exp_f32_e32 v99, v99
	s_delay_alu instid0(VALU_DEP_1) | instskip(NEXT) | instid1(VALU_DEP_1)
	v_dual_fmac_f32 v100, 0x32a5705f, v27 :: v_dual_sub_f32 v97, v97, v102
	v_add_f32_e32 v97, v97, v100
	v_cvt_i32_f32_e32 v100, v101
	s_delay_alu instid0(VALU_DEP_2)
	v_exp_f32_e32 v97, v97
	s_delay_alu instid0(TRANS32_DEP_2) | instid1(VALU_DEP_1)
	v_ldexp_f32 v99, v99, v100
	v_cvt_i32_f32_e32 v100, v102
	s_delay_alu instid0(VALU_DEP_2)
	v_cndmask_b32_e64 v99, 0, v99, s3
	v_cmp_nlt_f32_e64 s3, 0x42b17218, v98
	s_delay_alu instid0(TRANS32_DEP_1) | instid1(VALU_DEP_3)
	v_ldexp_f32 v97, v97, v100
	s_wait_alu 0xf1ff
	s_delay_alu instid0(VALU_DEP_2) | instskip(SKIP_1) | instid1(VALU_DEP_3)
	v_cndmask_b32_e64 v118, 0x7f800000, v99, s3
	v_cmp_ngt_f32_e64 s3, 0xc2ce8ed0, v31
	v_cndmask_b32_e64 v97, 0, v97, s4
	v_cmp_nlt_f32_e64 s4, 0x42b17218, v27
	s_delay_alu instid0(VALU_DEP_4) | instskip(SKIP_1) | instid1(VALU_DEP_2)
	v_cvt_f16_f32_e32 v26, v118
	s_wait_alu 0xf1ff
	v_cndmask_b32_e64 v119, 0x7f800000, v97, s4
	v_cvt_f16_f32_e32 v97, v120
	v_cmp_ngt_f32_e64 s4, 0xc2ce8ed0, v12
	s_delay_alu instid0(VALU_DEP_3) | instskip(NEXT) | instid1(VALU_DEP_1)
	v_cvt_f16_f32_e32 v27, v119
	v_pack_b32_f16 v28, v26, v27
	s_delay_alu instid0(VALU_DEP_4) | instskip(SKIP_1) | instid1(VALU_DEP_1)
	v_pack_b32_f16 v27, v25, v97
	v_sub_f32_e32 v25, v96, v250
	v_mul_f32_e32 v26, 0x3fb8aa3b, v25
	v_cmp_ngt_f32_e32 vcc_lo, 0xc2ce8ed0, v25
	s_delay_alu instid0(VALU_DEP_2) | instskip(SKIP_1) | instid1(VALU_DEP_2)
	v_fma_f32 v96, 0x3fb8aa3b, v25, -v26
	v_rndne_f32_e32 v97, v26
	v_fmac_f32_e32 v96, 0x32a5705f, v25
	s_delay_alu instid0(VALU_DEP_2) | instskip(SKIP_1) | instid1(VALU_DEP_2)
	v_sub_f32_e32 v26, v26, v97
	v_cvt_i32_f32_e32 v97, v97
	v_add_f32_e32 v26, v26, v96
	v_mul_f32_e32 v96, 0x3fb8aa3b, v31
	s_delay_alu instid0(VALU_DEP_2) | instskip(NEXT) | instid1(VALU_DEP_1)
	v_exp_f32_e32 v26, v26
	v_fma_f32 v98, 0x3fb8aa3b, v31, -v96
	v_rndne_f32_e32 v99, v96
	s_delay_alu instid0(VALU_DEP_2) | instskip(NEXT) | instid1(VALU_DEP_2)
	v_fmac_f32_e32 v98, 0x32a5705f, v31
	v_sub_f32_e32 v96, v96, v99
	s_delay_alu instid0(TRANS32_DEP_1) | instskip(SKIP_1) | instid1(VALU_DEP_3)
	v_ldexp_f32 v26, v26, v97
	v_cvt_i32_f32_e32 v97, v99
	v_add_f32_e32 v96, v96, v98
	s_wait_alu 0xfffd
	s_delay_alu instid0(VALU_DEP_3) | instskip(SKIP_1) | instid1(VALU_DEP_3)
	v_cndmask_b32_e32 v26, 0, v26, vcc_lo
	v_cmp_nlt_f32_e32 vcc_lo, 0x42b17218, v25
	v_exp_f32_e32 v96, v96
	s_wait_alu 0xfffd
	s_delay_alu instid0(VALU_DEP_2) | instskip(NEXT) | instid1(VALU_DEP_1)
	v_cndmask_b32_e32 v121, 0x7f800000, v26, vcc_lo
	v_cvt_f16_f32_e32 v26, v121
	s_delay_alu instid0(TRANS32_DEP_1) | instskip(NEXT) | instid1(VALU_DEP_1)
	v_ldexp_f32 v96, v96, v97
	v_cndmask_b32_e64 v25, 0, v96, s3
	v_cmp_nlt_f32_e64 s3, 0x42b17218, v31
	s_wait_alu 0xf1ff
	s_delay_alu instid0(VALU_DEP_1) | instskip(SKIP_1) | instid1(VALU_DEP_2)
	v_cndmask_b32_e64 v31, 0x7f800000, v25, s3
	v_cmp_ngt_f32_e64 s3, 0xc2ce8ed0, v29
	v_cvt_f16_f32_e32 v25, v31
	s_delay_alu instid0(VALU_DEP_1) | instskip(SKIP_1) | instid1(VALU_DEP_1)
	v_pack_b32_f16 v26, v25, v26
	v_sub_f32_e32 v25, v30, v250
	v_mul_f32_e32 v30, 0x3fb8aa3b, v25
	v_cmp_ngt_f32_e32 vcc_lo, 0xc2ce8ed0, v25
	s_delay_alu instid0(VALU_DEP_2) | instskip(SKIP_1) | instid1(VALU_DEP_2)
	v_fma_f32 v96, 0x3fb8aa3b, v25, -v30
	v_rndne_f32_e32 v97, v30
	v_fmac_f32_e32 v96, 0x32a5705f, v25
	s_delay_alu instid0(VALU_DEP_2) | instskip(SKIP_1) | instid1(VALU_DEP_2)
	v_sub_f32_e32 v30, v30, v97
	v_cvt_i32_f32_e32 v97, v97
	v_add_f32_e32 v30, v30, v96
	v_mul_f32_e32 v96, 0x3fb8aa3b, v29
	s_delay_alu instid0(VALU_DEP_2) | instskip(NEXT) | instid1(VALU_DEP_1)
	v_exp_f32_e32 v30, v30
	v_fma_f32 v98, 0x3fb8aa3b, v29, -v96
	v_rndne_f32_e32 v99, v96
	s_delay_alu instid0(VALU_DEP_2) | instskip(NEXT) | instid1(VALU_DEP_2)
	v_fmac_f32_e32 v98, 0x32a5705f, v29
	v_sub_f32_e32 v96, v96, v99
	s_delay_alu instid0(TRANS32_DEP_1) | instskip(SKIP_1) | instid1(VALU_DEP_3)
	v_ldexp_f32 v30, v30, v97
	v_cvt_i32_f32_e32 v97, v99
	v_add_f32_e32 v96, v96, v98
	s_wait_alu 0xfffd
	s_delay_alu instid0(VALU_DEP_3) | instskip(SKIP_1) | instid1(VALU_DEP_3)
	v_cndmask_b32_e32 v30, 0, v30, vcc_lo
	v_cmp_nlt_f32_e32 vcc_lo, 0x42b17218, v25
	v_exp_f32_e32 v96, v96
	s_wait_alu 0xfffd
	s_delay_alu instid0(VALU_DEP_2) | instskip(SKIP_1) | instid1(TRANS32_DEP_1)
	v_cndmask_b32_e32 v123, 0x7f800000, v30, vcc_lo
	v_cmp_ngt_f32_e32 vcc_lo, 0xc2ce8ed0, v14
	v_ldexp_f32 v96, v96, v97
	s_wait_alu 0xf1ff
	s_delay_alu instid0(VALU_DEP_1) | instskip(SKIP_3) | instid1(VALU_DEP_2)
	v_cndmask_b32_e64 v25, 0, v96, s3
	v_cmp_nlt_f32_e64 s3, 0x42b17218, v29
	v_cvt_f16_f32_e32 v29, v123
	s_wait_alu 0xf1ff
	v_cndmask_b32_e64 v122, 0x7f800000, v25, s3
	v_cmp_ngt_f32_e64 s3, 0xc2ce8ed0, v13
	s_delay_alu instid0(VALU_DEP_2) | instskip(NEXT) | instid1(VALU_DEP_1)
	v_cvt_f16_f32_e32 v25, v122
	v_pack_b32_f16 v25, v25, v29
	ds_load_2addr_b32 v[29:30], v115 offset0:144 offset1:160
	ds_load_2addr_b32 v[103:104], v116 offset0:128 offset1:144
	;; [unrolled: 1-line block ×8, first 2 shown]
	s_wait_dscnt 0x5
	v_perm_b32 v99, v105, v103, 0x5040100
	s_wait_dscnt 0x4
	v_perm_b32 v98, v100, v29, 0x5040100
	;; [unrolled: 2-line block ×4, first 2 shown]
	v_perm_b32 v102, v101, v30, 0x5040100
	s_delay_alu instid0(VALU_DEP_2)
	v_wmma_f16_16x16x16_f16 v[60:63], v[96:99], v[25:28], v[60:63]
	v_perm_b32 v96, v113, v111, 0x7060302
	v_perm_b32 v97, v109, v107, 0x7060302
	v_perm_b32 v98, v100, v29, 0x7060302
	v_perm_b32 v99, v105, v103, 0x7060302
	v_perm_b32 v100, v114, v112, 0x5040100
	v_perm_b32 v103, v106, v104, 0x5040100
	v_add_nc_u32_e32 v29, 0x2600, v238
	s_delay_alu instid0(VALU_DEP_4)
	v_wmma_f16_16x16x16_f16 v[52:55], v[96:99], v[25:28], v[52:55]
	v_perm_b32 v98, v101, v30, 0x7060302
	v_perm_b32 v101, v110, v108, 0x5040100
	;; [unrolled: 1-line block ×5, first 2 shown]
	s_delay_alu instid0(VALU_DEP_4)
	v_wmma_f16_16x16x16_f16 v[56:59], v[100:103], v[25:28], v[56:59]
	ds_load_2addr_b32 v[29:30], v29 offset0:116 offset1:132
	ds_load_2addr_b32 v[103:104], v115 offset0:40 offset1:56
	;; [unrolled: 1-line block ×4, first 2 shown]
	v_wmma_f16_16x16x16_f16 v[48:51], v[96:99], v[25:28], v[48:51]
	s_wait_dscnt 0x1
	v_perm_b32 v102, v29, v106, 0x5040100
	s_wait_dscnt 0x0
	v_perm_b32 v101, v110, v103, 0x5040100
	v_perm_b32 v105, v110, v103, 0x7060302
	;; [unrolled: 1-line block ×7, first 2 shown]
	ds_load_2addr_b32 v[29:30], v125 offset0:160 offset1:176
	ds_load_2addr_b32 v[111:112], v125 offset0:228 offset1:244
	s_wait_dscnt 0x0
	v_perm_b32 v104, v111, v29, 0x7060302
	v_perm_b32 v100, v111, v29, 0x5040100
	;; [unrolled: 1-line block ×4, first 2 shown]
	ds_load_2addr_b32 v[29:30], v116 offset0:160 offset1:176
	ds_load_2addr_b32 v[115:116], v124 offset0:160 offset1:176
	s_wait_dscnt 0x0
	v_perm_b32 v103, v115, v29, 0x5040100
	v_perm_b32 v107, v115, v29, 0x7060302
	;; [unrolled: 1-line block ×4, first 2 shown]
	s_delay_alu instid0(VALU_DEP_4) | instskip(NEXT) | instid1(VALU_DEP_4)
	v_wmma_f16_16x16x16_f16 v[44:47], v[100:103], v[25:28], v[44:47]
	v_wmma_f16_16x16x16_f16 v[40:43], v[104:107], v[25:28], v[40:43]
	s_delay_alu instid0(VALU_DEP_4) | instskip(NEXT) | instid1(VALU_DEP_4)
	v_wmma_f16_16x16x16_f16 v[36:39], v[112:115], v[25:28], v[36:39]
	v_wmma_f16_16x16x16_f16 v[32:35], v[108:111], v[25:28], v[32:35]
	v_mul_f32_e32 v25, 0x3fb8aa3b, v15
	v_add_nc_u32_e32 v111, 0x3000, v239
	v_add_nc_u32_e32 v107, 0x3400, v238
	;; [unrolled: 1-line block ×4, first 2 shown]
	v_fma_f32 v26, 0x3fb8aa3b, v15, -v25
	v_rndne_f32_e32 v27, v25
	s_delay_alu instid0(VALU_DEP_2) | instskip(NEXT) | instid1(VALU_DEP_2)
	v_fmac_f32_e32 v26, 0x32a5705f, v15
	v_sub_f32_e32 v25, v25, v27
	v_cvt_i32_f32_e32 v27, v27
	s_delay_alu instid0(VALU_DEP_2) | instskip(SKIP_1) | instid1(VALU_DEP_2)
	v_add_f32_e32 v25, v25, v26
	v_mul_f32_e32 v26, 0x3fb8aa3b, v14
	v_exp_f32_e32 v25, v25
	s_delay_alu instid0(VALU_DEP_1) | instskip(SKIP_1) | instid1(VALU_DEP_2)
	v_fma_f32 v28, 0x3fb8aa3b, v14, -v26
	v_rndne_f32_e32 v29, v26
	v_fmac_f32_e32 v28, 0x32a5705f, v14
	s_delay_alu instid0(VALU_DEP_2) | instskip(NEXT) | instid1(TRANS32_DEP_1)
	v_sub_f32_e32 v26, v26, v29
	v_ldexp_f32 v25, v25, v27
	v_cvt_i32_f32_e32 v27, v29
	s_delay_alu instid0(VALU_DEP_3) | instskip(NEXT) | instid1(VALU_DEP_1)
	v_add_f32_e32 v26, v26, v28
	v_exp_f32_e32 v26, v26
	s_delay_alu instid0(TRANS32_DEP_1) | instskip(SKIP_1) | instid1(VALU_DEP_1)
	v_ldexp_f32 v26, v26, v27
	s_wait_alu 0xfffd
	v_dual_mul_f32 v27, 0x3fb8aa3b, v13 :: v_dual_cndmask_b32 v26, 0, v26
	s_delay_alu instid0(VALU_DEP_1) | instskip(SKIP_2) | instid1(VALU_DEP_3)
	v_fma_f32 v28, 0x3fb8aa3b, v13, -v27
	v_rndne_f32_e32 v29, v27
	v_cmp_nlt_f32_e32 vcc_lo, 0x42b17218, v14
	v_fmac_f32_e32 v28, 0x32a5705f, v13
	s_delay_alu instid0(VALU_DEP_3) | instskip(SKIP_3) | instid1(VALU_DEP_3)
	v_sub_f32_e32 v27, v27, v29
	s_wait_alu 0xfffd
	v_cndmask_b32_e32 v115, 0x7f800000, v26, vcc_lo
	v_cmp_ngt_f32_e32 vcc_lo, 0xc2ce8ed0, v11
	v_add_f32_e32 v27, v27, v28
	v_mul_f32_e32 v28, 0x3fb8aa3b, v12
	s_delay_alu instid0(VALU_DEP_2) | instskip(NEXT) | instid1(VALU_DEP_1)
	v_exp_f32_e32 v14, v27
	v_fma_f32 v30, 0x3fb8aa3b, v12, -v28
	v_rndne_f32_e32 v96, v28
	v_cvt_i32_f32_e32 v27, v29
	s_delay_alu instid0(VALU_DEP_3) | instskip(NEXT) | instid1(VALU_DEP_3)
	v_fmac_f32_e32 v30, 0x32a5705f, v12
	v_sub_f32_e32 v28, v28, v96
	s_delay_alu instid0(TRANS32_DEP_1) | instid1(VALU_DEP_3)
	v_ldexp_f32 v14, v14, v27
	s_delay_alu instid0(VALU_DEP_2) | instskip(SKIP_1) | instid1(VALU_DEP_2)
	v_add_f32_e32 v28, v28, v30
	s_wait_alu 0xf1ff
	v_cndmask_b32_e64 v14, 0, v14, s3
	v_cmp_nlt_f32_e64 s3, 0x42b17218, v13
	s_delay_alu instid0(VALU_DEP_3) | instskip(SKIP_2) | instid1(VALU_DEP_2)
	v_exp_f32_e32 v27, v28
	v_cvt_i32_f32_e32 v28, v96
	s_wait_alu 0xf1ff
	v_cndmask_b32_e64 v113, 0x7f800000, v14, s3
	v_cmp_ngt_f32_e64 s3, 0xc2ce8ed0, v10
	s_delay_alu instid0(TRANS32_DEP_1) | instid1(VALU_DEP_3)
	v_ldexp_f32 v27, v27, v28
	s_delay_alu instid0(VALU_DEP_1)
	v_cndmask_b32_e64 v13, 0, v27, s4
	v_cmp_nlt_f32_e64 s4, 0x42b17218, v12
	v_cndmask_b32_e64 v12, 0, v25, s5
	v_cmp_nlt_f32_e64 s5, 0x42b17218, v15
	v_cvt_f16_f32_e32 v15, v115
	s_wait_alu 0xf1ff
	v_cndmask_b32_e64 v114, 0x7f800000, v13, s4
	v_cvt_f16_f32_e32 v13, v113
	v_cndmask_b32_e64 v112, 0x7f800000, v12, s5
	s_delay_alu instid0(VALU_DEP_3) | instskip(NEXT) | instid1(VALU_DEP_2)
	v_cvt_f16_f32_e32 v14, v114
	v_cvt_f16_f32_e32 v12, v112
	s_delay_alu instid0(VALU_DEP_2) | instskip(SKIP_1) | instid1(VALU_DEP_3)
	v_pack_b32_f16 v13, v13, v14
	v_mul_f32_e32 v14, 0x3fb8aa3b, v11
	v_pack_b32_f16 v12, v12, v15
	s_delay_alu instid0(VALU_DEP_2) | instskip(SKIP_1) | instid1(VALU_DEP_1)
	v_fma_f32 v15, 0x3fb8aa3b, v11, -v14
	v_rndne_f32_e32 v25, v14
	v_dual_fmac_f32 v15, 0x32a5705f, v11 :: v_dual_sub_f32 v14, v14, v25
	v_cvt_i32_f32_e32 v25, v25
	s_delay_alu instid0(VALU_DEP_2) | instskip(NEXT) | instid1(VALU_DEP_1)
	v_dual_add_f32 v14, v14, v15 :: v_dual_mul_f32 v15, 0x3fb8aa3b, v10
	v_exp_f32_e32 v14, v14
	s_delay_alu instid0(VALU_DEP_1) | instskip(SKIP_1) | instid1(VALU_DEP_2)
	v_fma_f32 v26, 0x3fb8aa3b, v10, -v15
	v_rndne_f32_e32 v27, v15
	v_fmac_f32_e32 v26, 0x32a5705f, v10
	s_delay_alu instid0(TRANS32_DEP_1) | instskip(NEXT) | instid1(VALU_DEP_3)
	v_ldexp_f32 v14, v14, v25
	v_sub_f32_e32 v15, v15, v27
	v_cvt_i32_f32_e32 v25, v27
	s_wait_alu 0xfffd
	s_delay_alu instid0(VALU_DEP_3) | instskip(NEXT) | instid1(VALU_DEP_3)
	v_cndmask_b32_e32 v14, 0, v14, vcc_lo
	v_add_f32_e32 v15, v15, v26
	v_cmp_nlt_f32_e32 vcc_lo, 0x42b17218, v11
	s_delay_alu instid0(VALU_DEP_2) | instskip(SKIP_3) | instid1(TRANS32_DEP_1)
	v_exp_f32_e32 v15, v15
	s_wait_alu 0xfffd
	v_cndmask_b32_e32 v124, 0x7f800000, v14, vcc_lo
	v_cmp_ngt_f32_e32 vcc_lo, 0xc2ce8ed0, v5
	v_ldexp_f32 v15, v15, v25
	s_delay_alu instid0(VALU_DEP_1) | instskip(SKIP_2) | instid1(VALU_DEP_1)
	v_cndmask_b32_e64 v11, 0, v15, s3
	v_cmp_nlt_f32_e64 s3, 0x42b17218, v10
	s_wait_alu 0xf1ff
	v_cndmask_b32_e64 v116, 0x7f800000, v11, s3
	v_cvt_f16_f32_e32 v11, v124
	v_cmp_ngt_f32_e64 s3, 0xc2ce8ed0, v4
	s_delay_alu instid0(VALU_DEP_3) | instskip(NEXT) | instid1(VALU_DEP_1)
	v_cvt_f16_f32_e32 v10, v116
	v_pack_b32_f16 v11, v10, v11
	v_mul_f32_e32 v10, 0x3fb8aa3b, v5
	s_delay_alu instid0(VALU_DEP_1) | instskip(SKIP_1) | instid1(VALU_DEP_2)
	v_fma_f32 v14, 0x3fb8aa3b, v5, -v10
	v_rndne_f32_e32 v15, v10
	v_fmac_f32_e32 v14, 0x32a5705f, v5
	s_delay_alu instid0(VALU_DEP_2) | instskip(SKIP_1) | instid1(VALU_DEP_2)
	v_sub_f32_e32 v10, v10, v15
	v_cvt_i32_f32_e32 v15, v15
	v_add_f32_e32 v10, v10, v14
	v_mul_f32_e32 v14, 0x3fb8aa3b, v4
	s_delay_alu instid0(VALU_DEP_1) | instskip(SKIP_1) | instid1(VALU_DEP_1)
	v_fma_f32 v25, 0x3fb8aa3b, v4, -v14
	v_rndne_f32_e32 v26, v14
	v_dual_fmac_f32 v25, 0x32a5705f, v4 :: v_dual_sub_f32 v14, v14, v26
	v_exp_f32_e32 v10, v10
	s_delay_alu instid0(VALU_DEP_1) | instskip(NEXT) | instid1(VALU_DEP_1)
	v_add_f32_e32 v14, v14, v25
	v_exp_f32_e32 v14, v14
	s_delay_alu instid0(TRANS32_DEP_2) | instskip(SKIP_2) | instid1(VALU_DEP_2)
	v_ldexp_f32 v10, v10, v15
	v_cvt_i32_f32_e32 v15, v26
	s_wait_alu 0xfffd
	v_cndmask_b32_e32 v10, 0, v10, vcc_lo
	v_cmp_nlt_f32_e32 vcc_lo, 0x42b17218, v5
	s_delay_alu instid0(TRANS32_DEP_1) | instid1(VALU_DEP_3)
	v_ldexp_f32 v14, v14, v15
	s_wait_alu 0xfffd
	s_delay_alu instid0(VALU_DEP_3)
	v_cndmask_b32_e32 v126, 0x7f800000, v10, vcc_lo
	v_add_co_u32 v213, vcc_lo, 0x80, v213
	s_wait_alu 0xf1ff
	v_cndmask_b32_e64 v5, 0, v14, s3
	v_cmp_nlt_f32_e64 s3, 0x42b17218, v4
	s_wait_alu 0xfffd
	v_add_co_ci_u32_e64 v214, null, 0, v214, vcc_lo
	v_add_co_u32 v215, vcc_lo, 0x80, v215
	s_wait_alu 0xf1ff
	v_cndmask_b32_e64 v125, 0x7f800000, v5, s3
	v_cvt_f16_f32_e32 v5, v126
	s_wait_alu 0xfffd
	v_add_co_ci_u32_e64 v216, null, 0, v216, vcc_lo
	v_add_co_u32 v217, vcc_lo, 0x80, v217
	v_cvt_f16_f32_e32 v4, v125
	s_wait_alu 0xfffd
	v_add_co_ci_u32_e64 v218, null, 0, v218, vcc_lo
	v_add_co_u32 v219, vcc_lo, 0x80, v219
	s_delay_alu instid0(VALU_DEP_3)
	v_pack_b32_f16 v10, v4, v5
	ds_load_2addr_b32 v[4:5], v107 offset0:208 offset1:224
	ds_load_2addr_b32 v[14:15], v111 offset0:192 offset1:208
	;; [unrolled: 1-line block ×8, first 2 shown]
	s_wait_alu 0xfffd
	v_add_co_ci_u32_e64 v220, null, 0, v220, vcc_lo
	v_add_co_u32 v221, vcc_lo, 0x80, v221
	s_wait_alu 0xfffd
	v_add_co_ci_u32_e64 v222, null, 0, v222, vcc_lo
	v_add_co_u32 v223, vcc_lo, 0x80, v223
	;; [unrolled: 3-line block ×4, first 2 shown]
	s_wait_dscnt 0x5
	v_perm_b32 v28, v29, v14, 0x5040100
	s_wait_dscnt 0x4
	v_perm_b32 v27, v98, v4, 0x5040100
	;; [unrolled: 2-line block ×4, first 2 shown]
	s_wait_alu 0xfffd
	v_add_co_ci_u32_e64 v228, null, 0, v228, vcc_lo
	v_add_co_u32 v176, vcc_lo, v176, s68
	s_delay_alu instid0(VALU_DEP_3)
	v_wmma_f16_16x16x16_f16 v[60:63], v[25:28], v[10:13], v[60:63]
	v_perm_b32 v25, v104, v102, 0x7060302
	v_perm_b32 v26, v100, v96, 0x7060302
	;; [unrolled: 1-line block ×6, first 2 shown]
	v_add_nc_u32_e32 v4, 0x3600, v238
	s_wait_alu 0xfffd
	v_add_co_ci_u32_e64 v246, null, s69, v246, vcc_lo
	v_wmma_f16_16x16x16_f16 v[52:55], v[25:28], v[10:13], v[52:55]
	v_perm_b32 v26, v101, v97, 0x7060302
	v_perm_b32 v97, v101, v97, 0x5040100
	;; [unrolled: 1-line block ×6, first 2 shown]
	v_add_co_u32 v212, vcc_lo, v212, s68
	s_delay_alu instid0(VALU_DEP_4)
	v_wmma_f16_16x16x16_f16 v[56:59], v[96:99], v[10:13], v[56:59]
	ds_load_2addr_b32 v[4:5], v4 offset0:112 offset1:128
	ds_load_2addr_b32 v[14:15], v106 offset0:52 offset1:68
	;; [unrolled: 1-line block ×4, first 2 shown]
	s_wait_alu 0xfffd
	v_add_co_ci_u32_e64 v251, null, s69, v251, vcc_lo
	v_add_co_u32 v245, vcc_lo, v245, s68
	s_wait_alu 0xfffd
	v_add_co_ci_u32_e64 v178, null, s69, v178, vcc_lo
	v_add_co_u32 v179, vcc_lo, v179, s68
	;; [unrolled: 3-line block ×4, first 2 shown]
	s_wait_alu 0xfffd
	v_add_co_ci_u32_e64 v247, null, s69, v247, vcc_lo
	s_wait_dscnt 0x2
	v_perm_b32 v98, v14, v4, 0x7060302
	v_perm_b32 v102, v14, v4, 0x5040100
	;; [unrolled: 1-line block ×4, first 2 shown]
	ds_load_2addr_b32 v[4:5], v108 offset0:224 offset1:240
	ds_load_2addr_b32 v[14:15], v107 offset0:36 offset1:52
	s_wait_dscnt 0x2
	v_perm_b32 v105, v100, v30, 0x7060302
	v_perm_b32 v109, v100, v30, 0x5040100
	;; [unrolled: 1-line block ×4, first 2 shown]
	v_add_co_u32 v229, vcc_lo, v229, s68
	s_wait_alu 0xfffd
	v_add_co_ci_u32_e64 v230, null, s69, v230, vcc_lo
	v_add_co_u32 v231, vcc_lo, v231, s68
	s_wait_alu 0xfffd
	v_add_co_ci_u32_e64 v233, null, s69, v233, vcc_lo
	;; [unrolled: 3-line block ×4, first 2 shown]
	s_wait_dscnt 0x0
	v_perm_b32 v96, v14, v4, 0x7060302
	v_perm_b32 v100, v14, v4, 0x5040100
	;; [unrolled: 1-line block ×4, first 2 shown]
	ds_load_2addr_b32 v[4:5], v111 offset0:224 offset1:240
	ds_load_2addr_b32 v[14:15], v127 offset0:224 offset1:240
	v_add_co_u32 v181, vcc_lo, v181, s70
	s_wait_alu 0xfffd
	v_add_co_ci_u32_e64 v182, null, s71, v182, vcc_lo
	v_add_co_u32 v183, vcc_lo, v183, s70
	s_wait_alu 0xfffd
	v_add_co_ci_u32_e64 v184, null, s71, v184, vcc_lo
	;; [unrolled: 3-line block ×5, first 2 shown]
	s_wait_dscnt 0x0
	v_perm_b32 v103, v14, v4, 0x5040100
	v_perm_b32 v99, v14, v4, 0x7060302
	v_add_f32_e32 v4, v19, v20
	v_perm_b32 v111, v15, v5, 0x5040100
	v_perm_b32 v107, v15, v5, 0x7060302
	v_add_co_u32 v191, vcc_lo, v191, s70
	s_delay_alu instid0(VALU_DEP_4)
	v_add_f32_e32 v4, v16, v4
	v_wmma_f16_16x16x16_f16 v[48:51], v[25:28], v[10:13], v[48:51]
	v_wmma_f16_16x16x16_f16 v[44:47], v[100:103], v[10:13], v[44:47]
	;; [unrolled: 1-line block ×4, first 2 shown]
	v_add_f32_e32 v4, v17, v4
	v_wmma_f16_16x16x16_f16 v[32:35], v[104:107], v[10:13], v[32:35]
	s_wait_alu 0xfffd
	v_add_co_ci_u32_e64 v192, null, s71, v192, vcc_lo
	s_wait_loadcnt 0x0
	v_add_f32_e32 v4, v8, v4
	s_barrier_signal -1
	s_barrier_wait -1
	global_inv scope:SCOPE_SE
	v_add_f32_e32 v4, v9, v4
	s_delay_alu instid0(VALU_DEP_1) | instskip(NEXT) | instid1(VALU_DEP_1)
	v_add_f32_e32 v4, v6, v4
	v_add_f32_e32 v4, v7, v4
	s_delay_alu instid0(VALU_DEP_1) | instskip(NEXT) | instid1(VALU_DEP_1)
	v_add_f32_e32 v4, v23, v4
	;; [unrolled: 3-line block ×13, first 2 shown]
	v_add_f32_e32 v177, v114, v0
	s_delay_alu instid0(VALU_DEP_1)
	v_fmac_f32_e32 v177, v193, v18
	s_cbranch_scc0 .LBB25_637
; %bb.635:                              ;   in Loop: Header=BB25_506 Depth=2
	s_delay_alu instid0(VALU_DEP_1)
	v_mov_b32_e32 v193, v177
	v_mov_b32_e32 v177, v250
	s_branch .LBB25_506
.LBB25_636:                             ;   in Loop: Header=BB25_9 Depth=1
	v_dual_mov_b32 v63, 0 :: v_dual_mov_b32 v250, 0xfeffffff
	v_mov_b32_e32 v55, 0
	v_mov_b32_e32 v177, 0
	s_mov_b64 s[4:5], 0
	s_delay_alu instid0(VALU_DEP_3) | instskip(NEXT) | instid1(VALU_DEP_3)
	v_dual_mov_b32 v62, v63 :: v_dual_mov_b32 v61, v63
	v_mov_b32_e32 v54, v55
	v_dual_mov_b32 v60, v63 :: v_dual_mov_b32 v53, v55
	v_dual_mov_b32 v52, v55 :: v_dual_mov_b32 v59, v63
	;; [unrolled: 1-line block ×13, first 2 shown]
	v_mov_b32_e32 v32, v55
	s_branch .LBB25_638
.LBB25_637:                             ;   in Loop: Header=BB25_9 Depth=1
	scratch_load_b32 v0, off, off offset:352 th:TH_LOAD_LU ; 4-byte Folded Reload
	v_dual_mov_b32 v188, v201 :: v_dual_mov_b32 v189, v202
	v_dual_mov_b32 v190, v203 :: v_dual_mov_b32 v191, v204
	;; [unrolled: 1-line block ×7, first 2 shown]
	s_lshl_b32 s56, s44, 6
	s_wait_alu 0xfffe
	s_mov_b64 s[4:5], s[56:57]
	s_wait_loadcnt 0x0
	v_mad_co_i64_i32 v[14:15], null, v0, s38, 0
	scratch_load_b32 v0, off, off offset:356 th:TH_LOAD_LU ; 4-byte Folded Reload
	s_wait_loadcnt 0x0
	v_mad_co_i64_i32 v[6:7], null, v0, s38, 0
	scratch_load_b32 v0, off, off offset:360 th:TH_LOAD_LU ; 4-byte Folded Reload
	;; [unrolled: 3-line block ×6, first 2 shown]
	s_wait_loadcnt 0x0
	v_mad_co_i64_i32 v[2:3], null, v0, s38, 0
	s_clause 0x11
	scratch_load_b32 v0, off, off offset:380 th:TH_LOAD_LU
	scratch_load_b32 v202, off, off offset:68
	scratch_load_b32 v203, off, off offset:72
	;; [unrolled: 1-line block ×4, first 2 shown]
	scratch_load_b64 v[208:209], off, off offset:400
	scratch_load_b64 v[210:211], off, off offset:408
	;; [unrolled: 1-line block ×8, first 2 shown]
	scratch_load_b32 v237, off, off offset:468
	scratch_load_b32 v249, off, off offset:472
	;; [unrolled: 1-line block ×5, first 2 shown]
	s_wait_loadcnt 0x11
	v_mad_co_i64_i32 v[0:1], null, v0, s38, 0
.LBB25_638:                             ;   in Loop: Header=BB25_9 Depth=1
	scratch_load_b32 v16, off, off offset:84 ; 4-byte Folded Reload
	s_wait_alu 0xfffe
	s_lshl_b64 s[82:83], s[4:5], 1
	v_lshlrev_b64_e32 v[14:15], 1, v[14:15]
	s_add_nc_u64 s[80:81], s[80:81], s[82:83]
	v_lshlrev_b64_e32 v[6:7], 1, v[6:7]
	v_lshlrev_b64_e32 v[10:11], 1, v[10:11]
	;; [unrolled: 1-line block ×7, first 2 shown]
                                        ; implicit-def: $vgpr176
	s_wait_loadcnt 0x0
	v_lshlrev_b32_e32 v16, 1, v16
	s_wait_alu 0xfffe
	s_delay_alu instid0(VALU_DEP_1)
	v_add_co_u32 v16, s3, s80, v16
	s_wait_alu 0xf1ff
	v_add_co_ci_u32_e64 v17, null, s81, 0, s3
	s_mul_u64 s[80:81], s[4:5], s[34:35]
	v_add_co_u32 v14, vcc_lo, v16, v14
	s_wait_alu 0xfffd
	v_add_co_ci_u32_e64 v15, null, v17, v15, vcc_lo
	v_add_co_u32 v6, vcc_lo, v16, v6
	s_wait_alu 0xfffd
	v_add_co_ci_u32_e64 v7, null, v17, v7, vcc_lo
	;; [unrolled: 3-line block ×8, first 2 shown]
	s_clause 0x7
	global_load_b32 v14, v[14:15], off
	global_load_b32 v6, v[6:7], off
	;; [unrolled: 1-line block ×8, first 2 shown]
	scratch_load_b32 v0, off, off           ; 4-byte Folded Reload
	v_add_nc_u32_e32 v1, 0, v200
	s_wait_alu 0xfffe
	s_lshl_b64 s[80:81], s[80:81], 2
	s_wait_alu 0xfffe
	s_add_nc_u64 s[78:79], s[78:79], s[80:81]
	s_wait_loadcnt 0x0
	v_add_nc_u32_e32 v9, v1, v0
	s_delay_alu instid0(VALU_DEP_1)
	v_add_nc_u32_e32 v0, 0x4400, v9
	ds_store_2addr_b32 v0, v14, v6 offset1:144
	v_add_nc_u32_e32 v0, 0x4800, v9
	v_add_nc_u32_e32 v6, 0x5000, v9
	ds_store_2addr_b32 v0, v7, v10 offset0:32 offset1:176
	v_add_nc_u32_e32 v0, 0x4c00, v9
	ds_store_2addr_b32 v6, v2, v3 offset0:96 offset1:240
	ds_store_2addr_b32 v0, v8, v4 offset0:64 offset1:208
	s_clause 0x1
	scratch_load_b64 v[0:1], off, off offset:4
	scratch_load_b64 v[4:5], off, off offset:12
	s_wait_loadcnt 0x1
	s_wait_alu 0xfffe
	v_add_co_u32 v0, vcc_lo, s78, v0
	s_wait_alu 0xfffd
	v_add_co_ci_u32_e64 v1, null, s79, v1, vcc_lo
	s_delay_alu instid0(VALU_DEP_2) | instskip(SKIP_1) | instid1(VALU_DEP_2)
	v_add_co_u32 v0, vcc_lo, v0, v240
	s_wait_alu 0xfffd
	v_add_co_ci_u32_e64 v1, null, 0, v1, vcc_lo
	s_wait_loadcnt 0x0
	v_add_co_u32 v4, vcc_lo, s78, v4
	s_wait_alu 0xfffd
	v_add_co_ci_u32_e64 v5, null, s79, v5, vcc_lo
	s_delay_alu instid0(VALU_DEP_2) | instskip(SKIP_1) | instid1(VALU_DEP_2)
	v_add_co_u32 v4, vcc_lo, v4, v240
	s_wait_alu 0xfffd
	v_add_co_ci_u32_e64 v5, null, 0, v5, vcc_lo
	s_clause 0x1
	global_load_b128 v[0:3], v[0:1], off
	global_load_b128 v[4:7], v[4:5], off
	s_wait_loadcnt 0x1
	ds_store_b128 v201, v[0:3]
	s_wait_loadcnt 0x0
	ds_store_b128 v188, v[4:7]
	s_clause 0x1
	scratch_load_b64 v[0:1], off, off offset:20
	scratch_load_b64 v[2:3], off, off offset:28
	s_wait_loadcnt 0x1
	v_add_co_u32 v0, vcc_lo, s78, v0
	s_wait_alu 0xfffd
	v_add_co_ci_u32_e64 v1, null, s79, v1, vcc_lo
	s_wait_loadcnt 0x0
	v_add_co_u32 v2, vcc_lo, s78, v2
	s_wait_alu 0xfffd
	v_add_co_ci_u32_e64 v3, null, s79, v3, vcc_lo
	v_add_co_u32 v0, vcc_lo, v0, v240
	s_wait_alu 0xfffd
	v_add_co_ci_u32_e64 v1, null, 0, v1, vcc_lo
	v_add_co_u32 v4, vcc_lo, v2, v240
	s_wait_alu 0xfffd
	v_add_co_ci_u32_e64 v5, null, 0, v3, vcc_lo
	s_clause 0x1
	global_load_b128 v[0:3], v[0:1], off
	global_load_b128 v[4:7], v[4:5], off
	s_wait_loadcnt 0x1
	ds_store_b128 v189, v[0:3]
	s_wait_loadcnt 0x0
	ds_store_b128 v191, v[4:7]
	s_clause 0x1
	scratch_load_b64 v[0:1], off, off offset:36
	scratch_load_b64 v[2:3], off, off offset:44
	s_wait_loadcnt 0x1
	v_add_co_u32 v0, vcc_lo, s78, v0
	s_wait_alu 0xfffd
	v_add_co_ci_u32_e64 v1, null, s79, v1, vcc_lo
	s_wait_loadcnt 0x0
	v_add_co_u32 v2, vcc_lo, s78, v2
	s_wait_alu 0xfffd
	v_add_co_ci_u32_e64 v3, null, s79, v3, vcc_lo
	v_add_co_u32 v0, vcc_lo, v0, v240
	s_wait_alu 0xfffd
	v_add_co_ci_u32_e64 v1, null, 0, v1, vcc_lo
	;; [unrolled: 24-line block ×3, first 2 shown]
	v_add_co_u32 v4, vcc_lo, v2, v240
	s_wait_alu 0xfffd
	v_add_co_ci_u32_e64 v5, null, 0, v3, vcc_lo
	s_clause 0x1
	global_load_b128 v[0:3], v[0:1], off
	global_load_b128 v[4:7], v[4:5], off
	s_wait_loadcnt 0x1
	ds_store_b128 v192, v[0:3]
	s_wait_loadcnt 0x0
	ds_store_b128 v195, v[4:7]
	s_wait_storecnt_dscnt 0x0
	s_barrier_signal -1
	s_barrier_wait -1
	global_inv scope:SCOPE_SE
	ds_load_b128 v[8:11], v253
	ds_load_b128 v[12:15], v253 offset:32
	s_wait_dscnt 0x1
	v_wmma_f32_16x16x16_f16 v[0:7], v[8:11], v[92:95], 0
	s_wait_dscnt 0x0
	s_delay_alu instid0(VALU_DEP_1)
	v_wmma_f32_16x16x16_f16 v[0:7], v[12:15], v[88:91], v[0:7]
	ds_load_b128 v[8:11], v253 offset:64
	ds_load_b128 v[12:15], v253 offset:96
	s_wait_dscnt 0x1
	v_wmma_f32_16x16x16_f16 v[0:7], v[8:11], v[84:87], v[0:7]
	s_wait_dscnt 0x0
	s_delay_alu instid0(VALU_DEP_1)
	v_wmma_f32_16x16x16_f16 v[0:7], v[12:15], v[80:83], v[0:7]
	ds_load_b128 v[8:11], v253 offset:128
	;; [unrolled: 7-line block ×3, first 2 shown]
	ds_load_b128 v[12:15], v253 offset:224
	ds_load_b128 v[172:175], v253 offset:4352
	;; [unrolled: 1-line block ×25, first 2 shown]
	s_wait_loadcnt_dscnt 0x0
	s_barrier_signal -1
	s_barrier_wait -1
	global_inv scope:SCOPE_SE
	v_wmma_f32_16x16x16_f16 v[0:7], v[8:11], v[68:71], v[0:7]
	s_delay_alu instid0(VALU_DEP_1) | instskip(NEXT) | instid1(VALU_DEP_1)
	v_wmma_f32_16x16x16_f16 v[0:7], v[12:15], v[64:67], v[0:7]
	v_cmp_ngt_f32_e64 s3, 0x3f200000, |v0|
	s_and_saveexec_b32 s44, s3
	s_wait_alu 0xfffe
	s_xor_b32 s3, exec_lo, s44
	s_cbranch_execz .LBB25_640
; %bb.639:                              ;   in Loop: Header=BB25_9 Depth=1
	v_add_f32_e64 v8, |v0|, |v0|
	s_delay_alu instid0(VALU_DEP_1) | instskip(SKIP_1) | instid1(VALU_DEP_2)
	v_mul_f32_e32 v9, 0x3fb8aa3b, v8
	v_cmp_ngt_f32_e32 vcc_lo, 0xc2ce8ed0, v8
	v_rndne_f32_e32 v10, v9
	v_fma_f32 v11, 0x3fb8aa3b, v8, -v9
	s_delay_alu instid0(VALU_DEP_2) | instskip(NEXT) | instid1(VALU_DEP_2)
	v_sub_f32_e32 v9, v9, v10
	v_fmac_f32_e32 v11, 0x32a5705f, v8
	v_cvt_i32_f32_e32 v10, v10
	s_delay_alu instid0(VALU_DEP_2) | instskip(NEXT) | instid1(VALU_DEP_1)
	v_add_f32_e32 v9, v9, v11
	v_exp_f32_e32 v9, v9
	s_delay_alu instid0(TRANS32_DEP_1) | instskip(SKIP_1) | instid1(VALU_DEP_1)
	v_ldexp_f32 v9, v9, v10
	s_wait_alu 0xfffd
	v_cndmask_b32_e32 v9, 0, v9, vcc_lo
	v_cmp_nlt_f32_e32 vcc_lo, 0x42b17218, v8
	s_wait_alu 0xfffd
	s_delay_alu instid0(VALU_DEP_2) | instskip(NEXT) | instid1(VALU_DEP_1)
	v_cndmask_b32_e32 v8, 0x7f800000, v9, vcc_lo
	v_add_f32_e32 v8, 1.0, v8
	s_delay_alu instid0(VALU_DEP_1) | instskip(NEXT) | instid1(TRANS32_DEP_1)
	v_rcp_f32_e32 v8, v8
	v_fma_f32 v176, v8, -2.0, 1.0
.LBB25_640:                             ;   in Loop: Header=BB25_9 Depth=1
	s_wait_alu 0xfffe
	s_and_not1_saveexec_b32 s3, s3
	s_cbranch_execz .LBB25_642
; %bb.641:                              ;   in Loop: Header=BB25_9 Depth=1
	v_mul_f32_e32 v8, v0, v0
	s_delay_alu instid0(VALU_DEP_1) | instskip(NEXT) | instid1(VALU_DEP_1)
	v_fmaak_f32 v9, s39, v8, 0x3ca908c9
	v_fmaak_f32 v9, v8, v9, 0xbd5c1c4e
	s_delay_alu instid0(VALU_DEP_1) | instskip(NEXT) | instid1(VALU_DEP_1)
	v_fmaak_f32 v9, v8, v9, 0x3e088382
	v_fmaak_f32 v9, v8, v9, 0xbeaaaa99
	s_delay_alu instid0(VALU_DEP_1) | instskip(NEXT) | instid1(VALU_DEP_1)
	v_mul_f32_e64 v9, |v0|, v9
	v_fma_f32 v176, v8, v9, |v0|
.LBB25_642:                             ;   in Loop: Header=BB25_9 Depth=1
	s_wait_alu 0xfffe
	s_or_b32 exec_lo, exec_lo, s3
	v_cmp_ngt_f32_e64 s3, 0x3f200000, |v1|
                                        ; implicit-def: $vgpr178
	s_and_saveexec_b32 s44, s3
	s_wait_alu 0xfffe
	s_xor_b32 s3, exec_lo, s44
	s_cbranch_execz .LBB25_644
; %bb.643:                              ;   in Loop: Header=BB25_9 Depth=1
	v_add_f32_e64 v8, |v1|, |v1|
	s_delay_alu instid0(VALU_DEP_1) | instskip(SKIP_1) | instid1(VALU_DEP_2)
	v_mul_f32_e32 v9, 0x3fb8aa3b, v8
	v_cmp_ngt_f32_e32 vcc_lo, 0xc2ce8ed0, v8
	v_rndne_f32_e32 v10, v9
	v_fma_f32 v11, 0x3fb8aa3b, v8, -v9
	s_delay_alu instid0(VALU_DEP_2) | instskip(NEXT) | instid1(VALU_DEP_2)
	v_sub_f32_e32 v9, v9, v10
	v_fmac_f32_e32 v11, 0x32a5705f, v8
	v_cvt_i32_f32_e32 v10, v10
	s_delay_alu instid0(VALU_DEP_2) | instskip(NEXT) | instid1(VALU_DEP_1)
	v_add_f32_e32 v9, v9, v11
	v_exp_f32_e32 v9, v9
	s_delay_alu instid0(TRANS32_DEP_1) | instskip(SKIP_1) | instid1(VALU_DEP_1)
	v_ldexp_f32 v9, v9, v10
	s_wait_alu 0xfffd
	v_cndmask_b32_e32 v9, 0, v9, vcc_lo
	v_cmp_nlt_f32_e32 vcc_lo, 0x42b17218, v8
	s_wait_alu 0xfffd
	s_delay_alu instid0(VALU_DEP_2) | instskip(NEXT) | instid1(VALU_DEP_1)
	v_cndmask_b32_e32 v8, 0x7f800000, v9, vcc_lo
	v_add_f32_e32 v8, 1.0, v8
	s_delay_alu instid0(VALU_DEP_1) | instskip(NEXT) | instid1(TRANS32_DEP_1)
	v_rcp_f32_e32 v8, v8
	v_fma_f32 v178, v8, -2.0, 1.0
.LBB25_644:                             ;   in Loop: Header=BB25_9 Depth=1
	s_wait_alu 0xfffe
	s_and_not1_saveexec_b32 s3, s3
	s_cbranch_execz .LBB25_646
; %bb.645:                              ;   in Loop: Header=BB25_9 Depth=1
	v_mul_f32_e32 v8, v1, v1
	s_delay_alu instid0(VALU_DEP_1) | instskip(NEXT) | instid1(VALU_DEP_1)
	v_fmaak_f32 v9, s39, v8, 0x3ca908c9
	v_fmaak_f32 v9, v8, v9, 0xbd5c1c4e
	s_delay_alu instid0(VALU_DEP_1) | instskip(NEXT) | instid1(VALU_DEP_1)
	v_fmaak_f32 v9, v8, v9, 0x3e088382
	v_fmaak_f32 v9, v8, v9, 0xbeaaaa99
	s_delay_alu instid0(VALU_DEP_1) | instskip(NEXT) | instid1(VALU_DEP_1)
	v_mul_f32_e64 v9, |v1|, v9
	v_fma_f32 v178, v8, v9, |v1|
.LBB25_646:                             ;   in Loop: Header=BB25_9 Depth=1
	s_wait_alu 0xfffe
	s_or_b32 exec_lo, exec_lo, s3
	v_cmp_ngt_f32_e64 s3, 0x3f200000, |v2|
                                        ; implicit-def: $vgpr179
	s_and_saveexec_b32 s44, s3
	s_wait_alu 0xfffe
	s_xor_b32 s3, exec_lo, s44
	s_cbranch_execz .LBB25_648
; %bb.647:                              ;   in Loop: Header=BB25_9 Depth=1
	v_add_f32_e64 v8, |v2|, |v2|
	s_delay_alu instid0(VALU_DEP_1) | instskip(SKIP_1) | instid1(VALU_DEP_2)
	v_mul_f32_e32 v9, 0x3fb8aa3b, v8
	v_cmp_ngt_f32_e32 vcc_lo, 0xc2ce8ed0, v8
	v_rndne_f32_e32 v10, v9
	v_fma_f32 v11, 0x3fb8aa3b, v8, -v9
	s_delay_alu instid0(VALU_DEP_2) | instskip(NEXT) | instid1(VALU_DEP_2)
	v_sub_f32_e32 v9, v9, v10
	v_fmac_f32_e32 v11, 0x32a5705f, v8
	v_cvt_i32_f32_e32 v10, v10
	s_delay_alu instid0(VALU_DEP_2) | instskip(NEXT) | instid1(VALU_DEP_1)
	v_add_f32_e32 v9, v9, v11
	v_exp_f32_e32 v9, v9
	s_delay_alu instid0(TRANS32_DEP_1) | instskip(SKIP_1) | instid1(VALU_DEP_1)
	v_ldexp_f32 v9, v9, v10
	s_wait_alu 0xfffd
	v_cndmask_b32_e32 v9, 0, v9, vcc_lo
	v_cmp_nlt_f32_e32 vcc_lo, 0x42b17218, v8
	s_wait_alu 0xfffd
	s_delay_alu instid0(VALU_DEP_2) | instskip(NEXT) | instid1(VALU_DEP_1)
	v_cndmask_b32_e32 v8, 0x7f800000, v9, vcc_lo
	v_add_f32_e32 v8, 1.0, v8
	s_delay_alu instid0(VALU_DEP_1) | instskip(NEXT) | instid1(TRANS32_DEP_1)
	v_rcp_f32_e32 v8, v8
	v_fma_f32 v179, v8, -2.0, 1.0
.LBB25_648:                             ;   in Loop: Header=BB25_9 Depth=1
	s_wait_alu 0xfffe
	s_and_not1_saveexec_b32 s3, s3
	s_cbranch_execz .LBB25_650
; %bb.649:                              ;   in Loop: Header=BB25_9 Depth=1
	v_mul_f32_e32 v8, v2, v2
	s_delay_alu instid0(VALU_DEP_1) | instskip(NEXT) | instid1(VALU_DEP_1)
	v_fmaak_f32 v9, s39, v8, 0x3ca908c9
	v_fmaak_f32 v9, v8, v9, 0xbd5c1c4e
	s_delay_alu instid0(VALU_DEP_1) | instskip(NEXT) | instid1(VALU_DEP_1)
	v_fmaak_f32 v9, v8, v9, 0x3e088382
	v_fmaak_f32 v9, v8, v9, 0xbeaaaa99
	s_delay_alu instid0(VALU_DEP_1) | instskip(NEXT) | instid1(VALU_DEP_1)
	v_mul_f32_e64 v9, |v2|, v9
	v_fma_f32 v179, v8, v9, |v2|
.LBB25_650:                             ;   in Loop: Header=BB25_9 Depth=1
	s_wait_alu 0xfffe
	s_or_b32 exec_lo, exec_lo, s3
	v_cmp_ngt_f32_e64 s3, 0x3f200000, |v3|
                                        ; implicit-def: $vgpr180
	s_and_saveexec_b32 s44, s3
	s_wait_alu 0xfffe
	s_xor_b32 s3, exec_lo, s44
	s_cbranch_execz .LBB25_652
; %bb.651:                              ;   in Loop: Header=BB25_9 Depth=1
	v_add_f32_e64 v8, |v3|, |v3|
	s_delay_alu instid0(VALU_DEP_1) | instskip(SKIP_1) | instid1(VALU_DEP_2)
	v_mul_f32_e32 v9, 0x3fb8aa3b, v8
	v_cmp_ngt_f32_e32 vcc_lo, 0xc2ce8ed0, v8
	v_rndne_f32_e32 v10, v9
	v_fma_f32 v11, 0x3fb8aa3b, v8, -v9
	s_delay_alu instid0(VALU_DEP_2) | instskip(NEXT) | instid1(VALU_DEP_2)
	v_sub_f32_e32 v9, v9, v10
	v_fmac_f32_e32 v11, 0x32a5705f, v8
	v_cvt_i32_f32_e32 v10, v10
	s_delay_alu instid0(VALU_DEP_2) | instskip(NEXT) | instid1(VALU_DEP_1)
	v_add_f32_e32 v9, v9, v11
	v_exp_f32_e32 v9, v9
	s_delay_alu instid0(TRANS32_DEP_1) | instskip(SKIP_1) | instid1(VALU_DEP_1)
	v_ldexp_f32 v9, v9, v10
	s_wait_alu 0xfffd
	v_cndmask_b32_e32 v9, 0, v9, vcc_lo
	v_cmp_nlt_f32_e32 vcc_lo, 0x42b17218, v8
	s_wait_alu 0xfffd
	s_delay_alu instid0(VALU_DEP_2) | instskip(NEXT) | instid1(VALU_DEP_1)
	v_cndmask_b32_e32 v8, 0x7f800000, v9, vcc_lo
	v_add_f32_e32 v8, 1.0, v8
	s_delay_alu instid0(VALU_DEP_1) | instskip(NEXT) | instid1(TRANS32_DEP_1)
	v_rcp_f32_e32 v8, v8
	v_fma_f32 v180, v8, -2.0, 1.0
.LBB25_652:                             ;   in Loop: Header=BB25_9 Depth=1
	s_wait_alu 0xfffe
	s_and_not1_saveexec_b32 s3, s3
	s_cbranch_execz .LBB25_654
; %bb.653:                              ;   in Loop: Header=BB25_9 Depth=1
	v_mul_f32_e32 v8, v3, v3
	s_delay_alu instid0(VALU_DEP_1) | instskip(NEXT) | instid1(VALU_DEP_1)
	v_fmaak_f32 v9, s39, v8, 0x3ca908c9
	v_fmaak_f32 v9, v8, v9, 0xbd5c1c4e
	s_delay_alu instid0(VALU_DEP_1) | instskip(NEXT) | instid1(VALU_DEP_1)
	v_fmaak_f32 v9, v8, v9, 0x3e088382
	v_fmaak_f32 v9, v8, v9, 0xbeaaaa99
	s_delay_alu instid0(VALU_DEP_1) | instskip(NEXT) | instid1(VALU_DEP_1)
	v_mul_f32_e64 v9, |v3|, v9
	v_fma_f32 v180, v8, v9, |v3|
.LBB25_654:                             ;   in Loop: Header=BB25_9 Depth=1
	s_wait_alu 0xfffe
	s_or_b32 exec_lo, exec_lo, s3
	v_cmp_ngt_f32_e64 s3, 0x3f200000, |v4|
                                        ; implicit-def: $vgpr181
	s_and_saveexec_b32 s44, s3
	s_wait_alu 0xfffe
	s_xor_b32 s3, exec_lo, s44
	s_cbranch_execz .LBB25_656
; %bb.655:                              ;   in Loop: Header=BB25_9 Depth=1
	v_add_f32_e64 v8, |v4|, |v4|
	s_delay_alu instid0(VALU_DEP_1) | instskip(SKIP_1) | instid1(VALU_DEP_2)
	v_mul_f32_e32 v9, 0x3fb8aa3b, v8
	v_cmp_ngt_f32_e32 vcc_lo, 0xc2ce8ed0, v8
	v_rndne_f32_e32 v10, v9
	v_fma_f32 v11, 0x3fb8aa3b, v8, -v9
	s_delay_alu instid0(VALU_DEP_2) | instskip(NEXT) | instid1(VALU_DEP_2)
	v_sub_f32_e32 v9, v9, v10
	v_fmac_f32_e32 v11, 0x32a5705f, v8
	v_cvt_i32_f32_e32 v10, v10
	s_delay_alu instid0(VALU_DEP_2) | instskip(NEXT) | instid1(VALU_DEP_1)
	v_add_f32_e32 v9, v9, v11
	v_exp_f32_e32 v9, v9
	s_delay_alu instid0(TRANS32_DEP_1) | instskip(SKIP_1) | instid1(VALU_DEP_1)
	v_ldexp_f32 v9, v9, v10
	s_wait_alu 0xfffd
	v_cndmask_b32_e32 v9, 0, v9, vcc_lo
	v_cmp_nlt_f32_e32 vcc_lo, 0x42b17218, v8
	s_wait_alu 0xfffd
	s_delay_alu instid0(VALU_DEP_2) | instskip(NEXT) | instid1(VALU_DEP_1)
	v_cndmask_b32_e32 v8, 0x7f800000, v9, vcc_lo
	v_add_f32_e32 v8, 1.0, v8
	s_delay_alu instid0(VALU_DEP_1) | instskip(NEXT) | instid1(TRANS32_DEP_1)
	v_rcp_f32_e32 v8, v8
	v_fma_f32 v181, v8, -2.0, 1.0
.LBB25_656:                             ;   in Loop: Header=BB25_9 Depth=1
	s_wait_alu 0xfffe
	s_and_not1_saveexec_b32 s3, s3
	s_cbranch_execz .LBB25_658
; %bb.657:                              ;   in Loop: Header=BB25_9 Depth=1
	v_mul_f32_e32 v8, v4, v4
	s_delay_alu instid0(VALU_DEP_1) | instskip(NEXT) | instid1(VALU_DEP_1)
	v_fmaak_f32 v9, s39, v8, 0x3ca908c9
	v_fmaak_f32 v9, v8, v9, 0xbd5c1c4e
	s_delay_alu instid0(VALU_DEP_1) | instskip(NEXT) | instid1(VALU_DEP_1)
	v_fmaak_f32 v9, v8, v9, 0x3e088382
	v_fmaak_f32 v9, v8, v9, 0xbeaaaa99
	s_delay_alu instid0(VALU_DEP_1) | instskip(NEXT) | instid1(VALU_DEP_1)
	v_mul_f32_e64 v9, |v4|, v9
	v_fma_f32 v181, v8, v9, |v4|
.LBB25_658:                             ;   in Loop: Header=BB25_9 Depth=1
	s_wait_alu 0xfffe
	s_or_b32 exec_lo, exec_lo, s3
	v_cmp_ngt_f32_e64 s3, 0x3f200000, |v5|
                                        ; implicit-def: $vgpr182
	s_and_saveexec_b32 s44, s3
	s_wait_alu 0xfffe
	s_xor_b32 s3, exec_lo, s44
	s_cbranch_execz .LBB25_660
; %bb.659:                              ;   in Loop: Header=BB25_9 Depth=1
	v_add_f32_e64 v8, |v5|, |v5|
	s_delay_alu instid0(VALU_DEP_1) | instskip(SKIP_1) | instid1(VALU_DEP_2)
	v_mul_f32_e32 v9, 0x3fb8aa3b, v8
	v_cmp_ngt_f32_e32 vcc_lo, 0xc2ce8ed0, v8
	v_rndne_f32_e32 v10, v9
	v_fma_f32 v11, 0x3fb8aa3b, v8, -v9
	s_delay_alu instid0(VALU_DEP_2) | instskip(NEXT) | instid1(VALU_DEP_2)
	v_sub_f32_e32 v9, v9, v10
	v_fmac_f32_e32 v11, 0x32a5705f, v8
	v_cvt_i32_f32_e32 v10, v10
	s_delay_alu instid0(VALU_DEP_2) | instskip(NEXT) | instid1(VALU_DEP_1)
	v_add_f32_e32 v9, v9, v11
	v_exp_f32_e32 v9, v9
	s_delay_alu instid0(TRANS32_DEP_1) | instskip(SKIP_1) | instid1(VALU_DEP_1)
	v_ldexp_f32 v9, v9, v10
	s_wait_alu 0xfffd
	v_cndmask_b32_e32 v9, 0, v9, vcc_lo
	v_cmp_nlt_f32_e32 vcc_lo, 0x42b17218, v8
	s_wait_alu 0xfffd
	s_delay_alu instid0(VALU_DEP_2) | instskip(NEXT) | instid1(VALU_DEP_1)
	v_cndmask_b32_e32 v8, 0x7f800000, v9, vcc_lo
	v_add_f32_e32 v8, 1.0, v8
	s_delay_alu instid0(VALU_DEP_1) | instskip(NEXT) | instid1(TRANS32_DEP_1)
	v_rcp_f32_e32 v8, v8
	v_fma_f32 v182, v8, -2.0, 1.0
.LBB25_660:                             ;   in Loop: Header=BB25_9 Depth=1
	s_wait_alu 0xfffe
	s_and_not1_saveexec_b32 s3, s3
	s_cbranch_execz .LBB25_662
; %bb.661:                              ;   in Loop: Header=BB25_9 Depth=1
	v_mul_f32_e32 v8, v5, v5
	s_delay_alu instid0(VALU_DEP_1) | instskip(NEXT) | instid1(VALU_DEP_1)
	v_fmaak_f32 v9, s39, v8, 0x3ca908c9
	v_fmaak_f32 v9, v8, v9, 0xbd5c1c4e
	s_delay_alu instid0(VALU_DEP_1) | instskip(NEXT) | instid1(VALU_DEP_1)
	v_fmaak_f32 v9, v8, v9, 0x3e088382
	v_fmaak_f32 v9, v8, v9, 0xbeaaaa99
	s_delay_alu instid0(VALU_DEP_1) | instskip(NEXT) | instid1(VALU_DEP_1)
	v_mul_f32_e64 v9, |v5|, v9
	v_fma_f32 v182, v8, v9, |v5|
.LBB25_662:                             ;   in Loop: Header=BB25_9 Depth=1
	s_wait_alu 0xfffe
	s_or_b32 exec_lo, exec_lo, s3
	v_cmp_ngt_f32_e64 s3, 0x3f200000, |v6|
                                        ; implicit-def: $vgpr183
	s_and_saveexec_b32 s44, s3
	s_wait_alu 0xfffe
	s_xor_b32 s3, exec_lo, s44
	s_cbranch_execz .LBB25_664
; %bb.663:                              ;   in Loop: Header=BB25_9 Depth=1
	v_add_f32_e64 v8, |v6|, |v6|
	s_delay_alu instid0(VALU_DEP_1) | instskip(SKIP_1) | instid1(VALU_DEP_2)
	v_mul_f32_e32 v9, 0x3fb8aa3b, v8
	v_cmp_ngt_f32_e32 vcc_lo, 0xc2ce8ed0, v8
	v_rndne_f32_e32 v10, v9
	v_fma_f32 v11, 0x3fb8aa3b, v8, -v9
	s_delay_alu instid0(VALU_DEP_2) | instskip(NEXT) | instid1(VALU_DEP_2)
	v_sub_f32_e32 v9, v9, v10
	v_fmac_f32_e32 v11, 0x32a5705f, v8
	v_cvt_i32_f32_e32 v10, v10
	s_delay_alu instid0(VALU_DEP_2) | instskip(NEXT) | instid1(VALU_DEP_1)
	v_add_f32_e32 v9, v9, v11
	v_exp_f32_e32 v9, v9
	s_delay_alu instid0(TRANS32_DEP_1) | instskip(SKIP_1) | instid1(VALU_DEP_1)
	v_ldexp_f32 v9, v9, v10
	s_wait_alu 0xfffd
	v_cndmask_b32_e32 v9, 0, v9, vcc_lo
	v_cmp_nlt_f32_e32 vcc_lo, 0x42b17218, v8
	s_wait_alu 0xfffd
	s_delay_alu instid0(VALU_DEP_2) | instskip(NEXT) | instid1(VALU_DEP_1)
	v_cndmask_b32_e32 v8, 0x7f800000, v9, vcc_lo
	v_add_f32_e32 v8, 1.0, v8
	s_delay_alu instid0(VALU_DEP_1) | instskip(NEXT) | instid1(TRANS32_DEP_1)
	v_rcp_f32_e32 v8, v8
	v_fma_f32 v183, v8, -2.0, 1.0
.LBB25_664:                             ;   in Loop: Header=BB25_9 Depth=1
	s_wait_alu 0xfffe
	s_and_not1_saveexec_b32 s3, s3
	s_cbranch_execz .LBB25_666
; %bb.665:                              ;   in Loop: Header=BB25_9 Depth=1
	v_mul_f32_e32 v8, v6, v6
	s_delay_alu instid0(VALU_DEP_1) | instskip(NEXT) | instid1(VALU_DEP_1)
	v_fmaak_f32 v9, s39, v8, 0x3ca908c9
	v_fmaak_f32 v9, v8, v9, 0xbd5c1c4e
	s_delay_alu instid0(VALU_DEP_1) | instskip(NEXT) | instid1(VALU_DEP_1)
	v_fmaak_f32 v9, v8, v9, 0x3e088382
	v_fmaak_f32 v9, v8, v9, 0xbeaaaa99
	s_delay_alu instid0(VALU_DEP_1) | instskip(NEXT) | instid1(VALU_DEP_1)
	v_mul_f32_e64 v9, |v6|, v9
	v_fma_f32 v183, v8, v9, |v6|
.LBB25_666:                             ;   in Loop: Header=BB25_9 Depth=1
	s_wait_alu 0xfffe
	s_or_b32 exec_lo, exec_lo, s3
	v_cmp_ngt_f32_e64 s3, 0x3f200000, |v7|
                                        ; implicit-def: $vgpr184
	s_and_saveexec_b32 s44, s3
	s_wait_alu 0xfffe
	s_xor_b32 s3, exec_lo, s44
	s_cbranch_execz .LBB25_668
; %bb.667:                              ;   in Loop: Header=BB25_9 Depth=1
	v_add_f32_e64 v8, |v7|, |v7|
	s_delay_alu instid0(VALU_DEP_1) | instskip(SKIP_1) | instid1(VALU_DEP_2)
	v_mul_f32_e32 v9, 0x3fb8aa3b, v8
	v_cmp_ngt_f32_e32 vcc_lo, 0xc2ce8ed0, v8
	v_rndne_f32_e32 v10, v9
	v_fma_f32 v11, 0x3fb8aa3b, v8, -v9
	s_delay_alu instid0(VALU_DEP_2) | instskip(NEXT) | instid1(VALU_DEP_2)
	v_sub_f32_e32 v9, v9, v10
	v_fmac_f32_e32 v11, 0x32a5705f, v8
	v_cvt_i32_f32_e32 v10, v10
	s_delay_alu instid0(VALU_DEP_2) | instskip(NEXT) | instid1(VALU_DEP_1)
	v_add_f32_e32 v9, v9, v11
	v_exp_f32_e32 v9, v9
	s_delay_alu instid0(TRANS32_DEP_1) | instskip(SKIP_1) | instid1(VALU_DEP_1)
	v_ldexp_f32 v9, v9, v10
	s_wait_alu 0xfffd
	v_cndmask_b32_e32 v9, 0, v9, vcc_lo
	v_cmp_nlt_f32_e32 vcc_lo, 0x42b17218, v8
	s_wait_alu 0xfffd
	s_delay_alu instid0(VALU_DEP_2) | instskip(NEXT) | instid1(VALU_DEP_1)
	v_cndmask_b32_e32 v8, 0x7f800000, v9, vcc_lo
	v_add_f32_e32 v8, 1.0, v8
	s_delay_alu instid0(VALU_DEP_1) | instskip(NEXT) | instid1(TRANS32_DEP_1)
	v_rcp_f32_e32 v8, v8
	v_fma_f32 v184, v8, -2.0, 1.0
.LBB25_668:                             ;   in Loop: Header=BB25_9 Depth=1
	s_wait_alu 0xfffe
	s_and_not1_saveexec_b32 s3, s3
	s_cbranch_execz .LBB25_670
; %bb.669:                              ;   in Loop: Header=BB25_9 Depth=1
	v_mul_f32_e32 v8, v7, v7
	s_delay_alu instid0(VALU_DEP_1) | instskip(NEXT) | instid1(VALU_DEP_1)
	v_fmaak_f32 v9, s39, v8, 0x3ca908c9
	v_fmaak_f32 v9, v8, v9, 0xbd5c1c4e
	s_delay_alu instid0(VALU_DEP_1) | instskip(NEXT) | instid1(VALU_DEP_1)
	v_fmaak_f32 v9, v8, v9, 0x3e088382
	v_fmaak_f32 v9, v8, v9, 0xbeaaaa99
	s_delay_alu instid0(VALU_DEP_1) | instskip(NEXT) | instid1(VALU_DEP_1)
	v_mul_f32_e64 v9, |v7|, v9
	v_fma_f32 v184, v8, v9, |v7|
.LBB25_670:                             ;   in Loop: Header=BB25_9 Depth=1
	s_wait_alu 0xfffe
	s_or_b32 exec_lo, exec_lo, s3
	v_wmma_f32_16x16x16_f16 v[8:15], v[172:175], v[92:95], 0
	s_delay_alu instid0(VALU_DEP_1) | instskip(NEXT) | instid1(VALU_DEP_1)
	v_wmma_f32_16x16x16_f16 v[8:15], v[168:171], v[88:91], v[8:15]
	v_wmma_f32_16x16x16_f16 v[8:15], v[164:167], v[84:87], v[8:15]
	s_delay_alu instid0(VALU_DEP_1) | instskip(NEXT) | instid1(VALU_DEP_1)
	v_wmma_f32_16x16x16_f16 v[8:15], v[160:163], v[80:83], v[8:15]
	;; [unrolled: 3-line block ×3, first 2 shown]
                                        ; implicit-def: $vgpr152
	v_wmma_f32_16x16x16_f16 v[8:15], v[20:23], v[68:71], v[8:15]
	s_delay_alu instid0(VALU_DEP_1) | instskip(NEXT) | instid1(VALU_DEP_1)
	v_wmma_f32_16x16x16_f16 v[8:15], v[16:19], v[64:67], v[8:15]
	v_cmp_ngt_f32_e64 s3, 0x3f200000, |v8|
	s_and_saveexec_b32 s44, s3
	s_wait_alu 0xfffe
	s_xor_b32 s3, exec_lo, s44
	s_cbranch_execz .LBB25_672
; %bb.671:                              ;   in Loop: Header=BB25_9 Depth=1
	v_add_f32_e64 v16, |v8|, |v8|
	s_delay_alu instid0(VALU_DEP_1) | instskip(SKIP_1) | instid1(VALU_DEP_2)
	v_mul_f32_e32 v17, 0x3fb8aa3b, v16
	v_cmp_ngt_f32_e32 vcc_lo, 0xc2ce8ed0, v16
	v_rndne_f32_e32 v18, v17
	v_fma_f32 v19, 0x3fb8aa3b, v16, -v17
	s_delay_alu instid0(VALU_DEP_2) | instskip(NEXT) | instid1(VALU_DEP_2)
	v_sub_f32_e32 v17, v17, v18
	v_fmac_f32_e32 v19, 0x32a5705f, v16
	v_cvt_i32_f32_e32 v18, v18
	s_delay_alu instid0(VALU_DEP_2) | instskip(NEXT) | instid1(VALU_DEP_1)
	v_add_f32_e32 v17, v17, v19
	v_exp_f32_e32 v17, v17
	s_delay_alu instid0(TRANS32_DEP_1) | instskip(SKIP_1) | instid1(VALU_DEP_1)
	v_ldexp_f32 v17, v17, v18
	s_wait_alu 0xfffd
	v_cndmask_b32_e32 v17, 0, v17, vcc_lo
	v_cmp_nlt_f32_e32 vcc_lo, 0x42b17218, v16
	s_wait_alu 0xfffd
	s_delay_alu instid0(VALU_DEP_2) | instskip(NEXT) | instid1(VALU_DEP_1)
	v_cndmask_b32_e32 v16, 0x7f800000, v17, vcc_lo
	v_add_f32_e32 v16, 1.0, v16
	s_delay_alu instid0(VALU_DEP_1) | instskip(NEXT) | instid1(TRANS32_DEP_1)
	v_rcp_f32_e32 v16, v16
	v_fma_f32 v152, v16, -2.0, 1.0
.LBB25_672:                             ;   in Loop: Header=BB25_9 Depth=1
	s_wait_alu 0xfffe
	s_and_not1_saveexec_b32 s3, s3
	s_cbranch_execz .LBB25_674
; %bb.673:                              ;   in Loop: Header=BB25_9 Depth=1
	v_mul_f32_e32 v16, v8, v8
	s_delay_alu instid0(VALU_DEP_1) | instskip(NEXT) | instid1(VALU_DEP_1)
	v_fmaak_f32 v17, s39, v16, 0x3ca908c9
	v_fmaak_f32 v17, v16, v17, 0xbd5c1c4e
	s_delay_alu instid0(VALU_DEP_1) | instskip(NEXT) | instid1(VALU_DEP_1)
	v_fmaak_f32 v17, v16, v17, 0x3e088382
	v_fmaak_f32 v17, v16, v17, 0xbeaaaa99
	s_delay_alu instid0(VALU_DEP_1) | instskip(NEXT) | instid1(VALU_DEP_1)
	v_mul_f32_e64 v17, |v8|, v17
	v_fma_f32 v152, v16, v17, |v8|
.LBB25_674:                             ;   in Loop: Header=BB25_9 Depth=1
	s_wait_alu 0xfffe
	s_or_b32 exec_lo, exec_lo, s3
	v_cmp_ngt_f32_e64 s3, 0x3f200000, |v9|
                                        ; implicit-def: $vgpr153
	s_and_saveexec_b32 s44, s3
	s_wait_alu 0xfffe
	s_xor_b32 s3, exec_lo, s44
	s_cbranch_execz .LBB25_676
; %bb.675:                              ;   in Loop: Header=BB25_9 Depth=1
	v_add_f32_e64 v16, |v9|, |v9|
	s_delay_alu instid0(VALU_DEP_1) | instskip(SKIP_1) | instid1(VALU_DEP_2)
	v_mul_f32_e32 v17, 0x3fb8aa3b, v16
	v_cmp_ngt_f32_e32 vcc_lo, 0xc2ce8ed0, v16
	v_rndne_f32_e32 v18, v17
	v_fma_f32 v19, 0x3fb8aa3b, v16, -v17
	s_delay_alu instid0(VALU_DEP_2) | instskip(NEXT) | instid1(VALU_DEP_2)
	v_sub_f32_e32 v17, v17, v18
	v_fmac_f32_e32 v19, 0x32a5705f, v16
	v_cvt_i32_f32_e32 v18, v18
	s_delay_alu instid0(VALU_DEP_2) | instskip(NEXT) | instid1(VALU_DEP_1)
	v_add_f32_e32 v17, v17, v19
	v_exp_f32_e32 v17, v17
	s_delay_alu instid0(TRANS32_DEP_1) | instskip(SKIP_1) | instid1(VALU_DEP_1)
	v_ldexp_f32 v17, v17, v18
	s_wait_alu 0xfffd
	v_cndmask_b32_e32 v17, 0, v17, vcc_lo
	v_cmp_nlt_f32_e32 vcc_lo, 0x42b17218, v16
	s_wait_alu 0xfffd
	s_delay_alu instid0(VALU_DEP_2) | instskip(NEXT) | instid1(VALU_DEP_1)
	v_cndmask_b32_e32 v16, 0x7f800000, v17, vcc_lo
	v_add_f32_e32 v16, 1.0, v16
	s_delay_alu instid0(VALU_DEP_1) | instskip(NEXT) | instid1(TRANS32_DEP_1)
	v_rcp_f32_e32 v16, v16
	v_fma_f32 v153, v16, -2.0, 1.0
.LBB25_676:                             ;   in Loop: Header=BB25_9 Depth=1
	s_wait_alu 0xfffe
	s_and_not1_saveexec_b32 s3, s3
	s_cbranch_execz .LBB25_678
; %bb.677:                              ;   in Loop: Header=BB25_9 Depth=1
	v_mul_f32_e32 v16, v9, v9
	s_delay_alu instid0(VALU_DEP_1) | instskip(NEXT) | instid1(VALU_DEP_1)
	v_fmaak_f32 v17, s39, v16, 0x3ca908c9
	v_fmaak_f32 v17, v16, v17, 0xbd5c1c4e
	s_delay_alu instid0(VALU_DEP_1) | instskip(NEXT) | instid1(VALU_DEP_1)
	v_fmaak_f32 v17, v16, v17, 0x3e088382
	v_fmaak_f32 v17, v16, v17, 0xbeaaaa99
	s_delay_alu instid0(VALU_DEP_1) | instskip(NEXT) | instid1(VALU_DEP_1)
	v_mul_f32_e64 v17, |v9|, v17
	v_fma_f32 v153, v16, v17, |v9|
.LBB25_678:                             ;   in Loop: Header=BB25_9 Depth=1
	s_wait_alu 0xfffe
	s_or_b32 exec_lo, exec_lo, s3
	v_cmp_ngt_f32_e64 s3, 0x3f200000, |v10|
                                        ; implicit-def: $vgpr154
	s_and_saveexec_b32 s44, s3
	s_wait_alu 0xfffe
	s_xor_b32 s3, exec_lo, s44
	s_cbranch_execz .LBB25_680
; %bb.679:                              ;   in Loop: Header=BB25_9 Depth=1
	v_add_f32_e64 v16, |v10|, |v10|
	s_delay_alu instid0(VALU_DEP_1) | instskip(SKIP_1) | instid1(VALU_DEP_2)
	v_mul_f32_e32 v17, 0x3fb8aa3b, v16
	v_cmp_ngt_f32_e32 vcc_lo, 0xc2ce8ed0, v16
	v_rndne_f32_e32 v18, v17
	v_fma_f32 v19, 0x3fb8aa3b, v16, -v17
	s_delay_alu instid0(VALU_DEP_2) | instskip(NEXT) | instid1(VALU_DEP_2)
	v_sub_f32_e32 v17, v17, v18
	v_fmac_f32_e32 v19, 0x32a5705f, v16
	v_cvt_i32_f32_e32 v18, v18
	s_delay_alu instid0(VALU_DEP_2) | instskip(NEXT) | instid1(VALU_DEP_1)
	v_add_f32_e32 v17, v17, v19
	v_exp_f32_e32 v17, v17
	s_delay_alu instid0(TRANS32_DEP_1) | instskip(SKIP_1) | instid1(VALU_DEP_1)
	v_ldexp_f32 v17, v17, v18
	s_wait_alu 0xfffd
	v_cndmask_b32_e32 v17, 0, v17, vcc_lo
	v_cmp_nlt_f32_e32 vcc_lo, 0x42b17218, v16
	s_wait_alu 0xfffd
	s_delay_alu instid0(VALU_DEP_2) | instskip(NEXT) | instid1(VALU_DEP_1)
	v_cndmask_b32_e32 v16, 0x7f800000, v17, vcc_lo
	v_add_f32_e32 v16, 1.0, v16
	s_delay_alu instid0(VALU_DEP_1) | instskip(NEXT) | instid1(TRANS32_DEP_1)
	v_rcp_f32_e32 v16, v16
	v_fma_f32 v154, v16, -2.0, 1.0
.LBB25_680:                             ;   in Loop: Header=BB25_9 Depth=1
	s_wait_alu 0xfffe
	s_and_not1_saveexec_b32 s3, s3
	s_cbranch_execz .LBB25_682
; %bb.681:                              ;   in Loop: Header=BB25_9 Depth=1
	v_mul_f32_e32 v16, v10, v10
	s_delay_alu instid0(VALU_DEP_1) | instskip(NEXT) | instid1(VALU_DEP_1)
	v_fmaak_f32 v17, s39, v16, 0x3ca908c9
	v_fmaak_f32 v17, v16, v17, 0xbd5c1c4e
	s_delay_alu instid0(VALU_DEP_1) | instskip(NEXT) | instid1(VALU_DEP_1)
	v_fmaak_f32 v17, v16, v17, 0x3e088382
	v_fmaak_f32 v17, v16, v17, 0xbeaaaa99
	s_delay_alu instid0(VALU_DEP_1) | instskip(NEXT) | instid1(VALU_DEP_1)
	v_mul_f32_e64 v17, |v10|, v17
	v_fma_f32 v154, v16, v17, |v10|
.LBB25_682:                             ;   in Loop: Header=BB25_9 Depth=1
	s_wait_alu 0xfffe
	s_or_b32 exec_lo, exec_lo, s3
	v_cmp_ngt_f32_e64 s3, 0x3f200000, |v11|
                                        ; implicit-def: $vgpr155
	s_and_saveexec_b32 s44, s3
	s_wait_alu 0xfffe
	s_xor_b32 s3, exec_lo, s44
	s_cbranch_execz .LBB25_684
; %bb.683:                              ;   in Loop: Header=BB25_9 Depth=1
	v_add_f32_e64 v16, |v11|, |v11|
	s_delay_alu instid0(VALU_DEP_1) | instskip(SKIP_1) | instid1(VALU_DEP_2)
	v_mul_f32_e32 v17, 0x3fb8aa3b, v16
	v_cmp_ngt_f32_e32 vcc_lo, 0xc2ce8ed0, v16
	v_rndne_f32_e32 v18, v17
	v_fma_f32 v19, 0x3fb8aa3b, v16, -v17
	s_delay_alu instid0(VALU_DEP_2) | instskip(NEXT) | instid1(VALU_DEP_2)
	v_sub_f32_e32 v17, v17, v18
	v_fmac_f32_e32 v19, 0x32a5705f, v16
	v_cvt_i32_f32_e32 v18, v18
	s_delay_alu instid0(VALU_DEP_2) | instskip(NEXT) | instid1(VALU_DEP_1)
	v_add_f32_e32 v17, v17, v19
	v_exp_f32_e32 v17, v17
	s_delay_alu instid0(TRANS32_DEP_1) | instskip(SKIP_1) | instid1(VALU_DEP_1)
	v_ldexp_f32 v17, v17, v18
	s_wait_alu 0xfffd
	v_cndmask_b32_e32 v17, 0, v17, vcc_lo
	v_cmp_nlt_f32_e32 vcc_lo, 0x42b17218, v16
	s_wait_alu 0xfffd
	s_delay_alu instid0(VALU_DEP_2) | instskip(NEXT) | instid1(VALU_DEP_1)
	v_cndmask_b32_e32 v16, 0x7f800000, v17, vcc_lo
	v_add_f32_e32 v16, 1.0, v16
	s_delay_alu instid0(VALU_DEP_1) | instskip(NEXT) | instid1(TRANS32_DEP_1)
	v_rcp_f32_e32 v16, v16
	v_fma_f32 v155, v16, -2.0, 1.0
.LBB25_684:                             ;   in Loop: Header=BB25_9 Depth=1
	s_wait_alu 0xfffe
	s_and_not1_saveexec_b32 s3, s3
	s_cbranch_execz .LBB25_686
; %bb.685:                              ;   in Loop: Header=BB25_9 Depth=1
	v_mul_f32_e32 v16, v11, v11
	s_delay_alu instid0(VALU_DEP_1) | instskip(NEXT) | instid1(VALU_DEP_1)
	v_fmaak_f32 v17, s39, v16, 0x3ca908c9
	v_fmaak_f32 v17, v16, v17, 0xbd5c1c4e
	s_delay_alu instid0(VALU_DEP_1) | instskip(NEXT) | instid1(VALU_DEP_1)
	v_fmaak_f32 v17, v16, v17, 0x3e088382
	v_fmaak_f32 v17, v16, v17, 0xbeaaaa99
	s_delay_alu instid0(VALU_DEP_1) | instskip(NEXT) | instid1(VALU_DEP_1)
	v_mul_f32_e64 v17, |v11|, v17
	v_fma_f32 v155, v16, v17, |v11|
.LBB25_686:                             ;   in Loop: Header=BB25_9 Depth=1
	s_wait_alu 0xfffe
	s_or_b32 exec_lo, exec_lo, s3
	v_cmp_ngt_f32_e64 s3, 0x3f200000, |v12|
                                        ; implicit-def: $vgpr156
	s_and_saveexec_b32 s44, s3
	s_wait_alu 0xfffe
	s_xor_b32 s3, exec_lo, s44
	s_cbranch_execz .LBB25_688
; %bb.687:                              ;   in Loop: Header=BB25_9 Depth=1
	v_add_f32_e64 v16, |v12|, |v12|
	s_delay_alu instid0(VALU_DEP_1) | instskip(SKIP_1) | instid1(VALU_DEP_2)
	v_mul_f32_e32 v17, 0x3fb8aa3b, v16
	v_cmp_ngt_f32_e32 vcc_lo, 0xc2ce8ed0, v16
	v_rndne_f32_e32 v18, v17
	v_fma_f32 v19, 0x3fb8aa3b, v16, -v17
	s_delay_alu instid0(VALU_DEP_2) | instskip(NEXT) | instid1(VALU_DEP_2)
	v_sub_f32_e32 v17, v17, v18
	v_fmac_f32_e32 v19, 0x32a5705f, v16
	v_cvt_i32_f32_e32 v18, v18
	s_delay_alu instid0(VALU_DEP_2) | instskip(NEXT) | instid1(VALU_DEP_1)
	v_add_f32_e32 v17, v17, v19
	v_exp_f32_e32 v17, v17
	s_delay_alu instid0(TRANS32_DEP_1) | instskip(SKIP_1) | instid1(VALU_DEP_1)
	v_ldexp_f32 v17, v17, v18
	s_wait_alu 0xfffd
	v_cndmask_b32_e32 v17, 0, v17, vcc_lo
	v_cmp_nlt_f32_e32 vcc_lo, 0x42b17218, v16
	s_wait_alu 0xfffd
	s_delay_alu instid0(VALU_DEP_2) | instskip(NEXT) | instid1(VALU_DEP_1)
	v_cndmask_b32_e32 v16, 0x7f800000, v17, vcc_lo
	v_add_f32_e32 v16, 1.0, v16
	s_delay_alu instid0(VALU_DEP_1) | instskip(NEXT) | instid1(TRANS32_DEP_1)
	v_rcp_f32_e32 v16, v16
	v_fma_f32 v156, v16, -2.0, 1.0
.LBB25_688:                             ;   in Loop: Header=BB25_9 Depth=1
	s_wait_alu 0xfffe
	s_and_not1_saveexec_b32 s3, s3
	s_cbranch_execz .LBB25_690
; %bb.689:                              ;   in Loop: Header=BB25_9 Depth=1
	v_mul_f32_e32 v16, v12, v12
	s_delay_alu instid0(VALU_DEP_1) | instskip(NEXT) | instid1(VALU_DEP_1)
	v_fmaak_f32 v17, s39, v16, 0x3ca908c9
	v_fmaak_f32 v17, v16, v17, 0xbd5c1c4e
	s_delay_alu instid0(VALU_DEP_1) | instskip(NEXT) | instid1(VALU_DEP_1)
	v_fmaak_f32 v17, v16, v17, 0x3e088382
	v_fmaak_f32 v17, v16, v17, 0xbeaaaa99
	s_delay_alu instid0(VALU_DEP_1) | instskip(NEXT) | instid1(VALU_DEP_1)
	v_mul_f32_e64 v17, |v12|, v17
	v_fma_f32 v156, v16, v17, |v12|
.LBB25_690:                             ;   in Loop: Header=BB25_9 Depth=1
	s_wait_alu 0xfffe
	s_or_b32 exec_lo, exec_lo, s3
	v_cmp_ngt_f32_e64 s3, 0x3f200000, |v13|
                                        ; implicit-def: $vgpr158
	s_and_saveexec_b32 s44, s3
	s_wait_alu 0xfffe
	s_xor_b32 s3, exec_lo, s44
	s_cbranch_execz .LBB25_692
; %bb.691:                              ;   in Loop: Header=BB25_9 Depth=1
	v_add_f32_e64 v16, |v13|, |v13|
	s_delay_alu instid0(VALU_DEP_1) | instskip(SKIP_1) | instid1(VALU_DEP_2)
	v_mul_f32_e32 v17, 0x3fb8aa3b, v16
	v_cmp_ngt_f32_e32 vcc_lo, 0xc2ce8ed0, v16
	v_rndne_f32_e32 v18, v17
	v_fma_f32 v19, 0x3fb8aa3b, v16, -v17
	s_delay_alu instid0(VALU_DEP_2) | instskip(NEXT) | instid1(VALU_DEP_2)
	v_sub_f32_e32 v17, v17, v18
	v_fmac_f32_e32 v19, 0x32a5705f, v16
	v_cvt_i32_f32_e32 v18, v18
	s_delay_alu instid0(VALU_DEP_2) | instskip(NEXT) | instid1(VALU_DEP_1)
	v_add_f32_e32 v17, v17, v19
	v_exp_f32_e32 v17, v17
	s_delay_alu instid0(TRANS32_DEP_1) | instskip(SKIP_1) | instid1(VALU_DEP_1)
	v_ldexp_f32 v17, v17, v18
	s_wait_alu 0xfffd
	v_cndmask_b32_e32 v17, 0, v17, vcc_lo
	v_cmp_nlt_f32_e32 vcc_lo, 0x42b17218, v16
	s_wait_alu 0xfffd
	s_delay_alu instid0(VALU_DEP_2) | instskip(NEXT) | instid1(VALU_DEP_1)
	v_cndmask_b32_e32 v16, 0x7f800000, v17, vcc_lo
	v_add_f32_e32 v16, 1.0, v16
	s_delay_alu instid0(VALU_DEP_1) | instskip(NEXT) | instid1(TRANS32_DEP_1)
	v_rcp_f32_e32 v16, v16
	v_fma_f32 v158, v16, -2.0, 1.0
.LBB25_692:                             ;   in Loop: Header=BB25_9 Depth=1
	s_wait_alu 0xfffe
	s_and_not1_saveexec_b32 s3, s3
	s_cbranch_execz .LBB25_694
; %bb.693:                              ;   in Loop: Header=BB25_9 Depth=1
	v_mul_f32_e32 v16, v13, v13
	s_delay_alu instid0(VALU_DEP_1) | instskip(NEXT) | instid1(VALU_DEP_1)
	v_fmaak_f32 v17, s39, v16, 0x3ca908c9
	v_fmaak_f32 v17, v16, v17, 0xbd5c1c4e
	s_delay_alu instid0(VALU_DEP_1) | instskip(NEXT) | instid1(VALU_DEP_1)
	v_fmaak_f32 v17, v16, v17, 0x3e088382
	v_fmaak_f32 v17, v16, v17, 0xbeaaaa99
	s_delay_alu instid0(VALU_DEP_1) | instskip(NEXT) | instid1(VALU_DEP_1)
	v_mul_f32_e64 v17, |v13|, v17
	v_fma_f32 v158, v16, v17, |v13|
.LBB25_694:                             ;   in Loop: Header=BB25_9 Depth=1
	s_wait_alu 0xfffe
	s_or_b32 exec_lo, exec_lo, s3
	v_cmp_ngt_f32_e64 s3, 0x3f200000, |v14|
                                        ; implicit-def: $vgpr157
	s_and_saveexec_b32 s44, s3
	s_wait_alu 0xfffe
	s_xor_b32 s3, exec_lo, s44
	s_cbranch_execz .LBB25_696
; %bb.695:                              ;   in Loop: Header=BB25_9 Depth=1
	v_add_f32_e64 v16, |v14|, |v14|
	s_delay_alu instid0(VALU_DEP_1) | instskip(SKIP_1) | instid1(VALU_DEP_2)
	v_mul_f32_e32 v17, 0x3fb8aa3b, v16
	v_cmp_ngt_f32_e32 vcc_lo, 0xc2ce8ed0, v16
	v_rndne_f32_e32 v18, v17
	v_fma_f32 v19, 0x3fb8aa3b, v16, -v17
	s_delay_alu instid0(VALU_DEP_2) | instskip(NEXT) | instid1(VALU_DEP_2)
	v_sub_f32_e32 v17, v17, v18
	v_fmac_f32_e32 v19, 0x32a5705f, v16
	v_cvt_i32_f32_e32 v18, v18
	s_delay_alu instid0(VALU_DEP_2) | instskip(NEXT) | instid1(VALU_DEP_1)
	v_add_f32_e32 v17, v17, v19
	v_exp_f32_e32 v17, v17
	s_delay_alu instid0(TRANS32_DEP_1) | instskip(SKIP_1) | instid1(VALU_DEP_1)
	v_ldexp_f32 v17, v17, v18
	s_wait_alu 0xfffd
	v_cndmask_b32_e32 v17, 0, v17, vcc_lo
	v_cmp_nlt_f32_e32 vcc_lo, 0x42b17218, v16
	s_wait_alu 0xfffd
	s_delay_alu instid0(VALU_DEP_2) | instskip(NEXT) | instid1(VALU_DEP_1)
	v_cndmask_b32_e32 v16, 0x7f800000, v17, vcc_lo
	v_add_f32_e32 v16, 1.0, v16
	s_delay_alu instid0(VALU_DEP_1) | instskip(NEXT) | instid1(TRANS32_DEP_1)
	v_rcp_f32_e32 v16, v16
	v_fma_f32 v157, v16, -2.0, 1.0
.LBB25_696:                             ;   in Loop: Header=BB25_9 Depth=1
	s_wait_alu 0xfffe
	s_and_not1_saveexec_b32 s3, s3
	s_cbranch_execz .LBB25_698
; %bb.697:                              ;   in Loop: Header=BB25_9 Depth=1
	v_mul_f32_e32 v16, v14, v14
	s_delay_alu instid0(VALU_DEP_1) | instskip(NEXT) | instid1(VALU_DEP_1)
	v_fmaak_f32 v17, s39, v16, 0x3ca908c9
	v_fmaak_f32 v17, v16, v17, 0xbd5c1c4e
	s_delay_alu instid0(VALU_DEP_1) | instskip(NEXT) | instid1(VALU_DEP_1)
	v_fmaak_f32 v17, v16, v17, 0x3e088382
	v_fmaak_f32 v17, v16, v17, 0xbeaaaa99
	s_delay_alu instid0(VALU_DEP_1) | instskip(NEXT) | instid1(VALU_DEP_1)
	v_mul_f32_e64 v17, |v14|, v17
	v_fma_f32 v157, v16, v17, |v14|
.LBB25_698:                             ;   in Loop: Header=BB25_9 Depth=1
	s_wait_alu 0xfffe
	s_or_b32 exec_lo, exec_lo, s3
	v_cmp_ngt_f32_e64 s3, 0x3f200000, |v15|
                                        ; implicit-def: $vgpr159
	s_and_saveexec_b32 s44, s3
	s_wait_alu 0xfffe
	s_xor_b32 s3, exec_lo, s44
	s_cbranch_execz .LBB25_700
; %bb.699:                              ;   in Loop: Header=BB25_9 Depth=1
	v_add_f32_e64 v16, |v15|, |v15|
	s_delay_alu instid0(VALU_DEP_1) | instskip(SKIP_1) | instid1(VALU_DEP_2)
	v_mul_f32_e32 v17, 0x3fb8aa3b, v16
	v_cmp_ngt_f32_e32 vcc_lo, 0xc2ce8ed0, v16
	v_rndne_f32_e32 v18, v17
	v_fma_f32 v19, 0x3fb8aa3b, v16, -v17
	s_delay_alu instid0(VALU_DEP_2) | instskip(NEXT) | instid1(VALU_DEP_2)
	v_sub_f32_e32 v17, v17, v18
	v_fmac_f32_e32 v19, 0x32a5705f, v16
	v_cvt_i32_f32_e32 v18, v18
	s_delay_alu instid0(VALU_DEP_2) | instskip(NEXT) | instid1(VALU_DEP_1)
	v_add_f32_e32 v17, v17, v19
	v_exp_f32_e32 v17, v17
	s_delay_alu instid0(TRANS32_DEP_1) | instskip(SKIP_1) | instid1(VALU_DEP_1)
	v_ldexp_f32 v17, v17, v18
	s_wait_alu 0xfffd
	v_cndmask_b32_e32 v17, 0, v17, vcc_lo
	v_cmp_nlt_f32_e32 vcc_lo, 0x42b17218, v16
	s_wait_alu 0xfffd
	s_delay_alu instid0(VALU_DEP_2) | instskip(NEXT) | instid1(VALU_DEP_1)
	v_cndmask_b32_e32 v16, 0x7f800000, v17, vcc_lo
	v_add_f32_e32 v16, 1.0, v16
	s_delay_alu instid0(VALU_DEP_1) | instskip(NEXT) | instid1(TRANS32_DEP_1)
	v_rcp_f32_e32 v16, v16
	v_fma_f32 v159, v16, -2.0, 1.0
.LBB25_700:                             ;   in Loop: Header=BB25_9 Depth=1
	s_wait_alu 0xfffe
	s_and_not1_saveexec_b32 s3, s3
	s_cbranch_execz .LBB25_702
; %bb.701:                              ;   in Loop: Header=BB25_9 Depth=1
	v_mul_f32_e32 v16, v15, v15
	s_delay_alu instid0(VALU_DEP_1) | instskip(NEXT) | instid1(VALU_DEP_1)
	v_fmaak_f32 v17, s39, v16, 0x3ca908c9
	v_fmaak_f32 v17, v16, v17, 0xbd5c1c4e
	s_delay_alu instid0(VALU_DEP_1) | instskip(NEXT) | instid1(VALU_DEP_1)
	v_fmaak_f32 v17, v16, v17, 0x3e088382
	v_fmaak_f32 v17, v16, v17, 0xbeaaaa99
	s_delay_alu instid0(VALU_DEP_1) | instskip(NEXT) | instid1(VALU_DEP_1)
	v_mul_f32_e64 v17, |v15|, v17
	v_fma_f32 v159, v16, v17, |v15|
.LBB25_702:                             ;   in Loop: Header=BB25_9 Depth=1
	s_wait_alu 0xfffe
	s_or_b32 exec_lo, exec_lo, s3
	v_wmma_f32_16x16x16_f16 v[16:23], v[148:151], v[92:95], 0
	s_delay_alu instid0(VALU_DEP_1) | instskip(NEXT) | instid1(VALU_DEP_1)
	v_wmma_f32_16x16x16_f16 v[16:23], v[144:147], v[88:91], v[16:23]
	v_wmma_f32_16x16x16_f16 v[16:23], v[140:143], v[84:87], v[16:23]
	s_delay_alu instid0(VALU_DEP_1) | instskip(NEXT) | instid1(VALU_DEP_1)
	v_wmma_f32_16x16x16_f16 v[16:23], v[136:139], v[80:83], v[16:23]
	v_wmma_f32_16x16x16_f16 v[16:23], v[132:135], v[76:79], v[16:23]
	s_delay_alu instid0(VALU_DEP_1) | instskip(NEXT) | instid1(VALU_DEP_1)
	v_wmma_f32_16x16x16_f16 v[16:23], v[128:131], v[72:75], v[16:23]
                                        ; implicit-def: $vgpr128
	v_wmma_f32_16x16x16_f16 v[16:23], v[28:31], v[68:71], v[16:23]
	s_delay_alu instid0(VALU_DEP_1) | instskip(NEXT) | instid1(VALU_DEP_1)
	v_wmma_f32_16x16x16_f16 v[16:23], v[24:27], v[64:67], v[16:23]
	v_cmp_ngt_f32_e64 s3, 0x3f200000, |v16|
	s_and_saveexec_b32 s44, s3
	s_wait_alu 0xfffe
	s_xor_b32 s3, exec_lo, s44
	s_cbranch_execz .LBB25_704
; %bb.703:                              ;   in Loop: Header=BB25_9 Depth=1
	v_add_f32_e64 v24, |v16|, |v16|
	s_delay_alu instid0(VALU_DEP_1) | instskip(SKIP_1) | instid1(VALU_DEP_2)
	v_mul_f32_e32 v25, 0x3fb8aa3b, v24
	v_cmp_ngt_f32_e32 vcc_lo, 0xc2ce8ed0, v24
	v_rndne_f32_e32 v26, v25
	v_fma_f32 v27, 0x3fb8aa3b, v24, -v25
	s_delay_alu instid0(VALU_DEP_2) | instskip(NEXT) | instid1(VALU_DEP_2)
	v_sub_f32_e32 v25, v25, v26
	v_fmac_f32_e32 v27, 0x32a5705f, v24
	v_cvt_i32_f32_e32 v26, v26
	s_delay_alu instid0(VALU_DEP_2) | instskip(NEXT) | instid1(VALU_DEP_1)
	v_add_f32_e32 v25, v25, v27
	v_exp_f32_e32 v25, v25
	s_delay_alu instid0(TRANS32_DEP_1) | instskip(SKIP_1) | instid1(VALU_DEP_1)
	v_ldexp_f32 v25, v25, v26
	s_wait_alu 0xfffd
	v_cndmask_b32_e32 v25, 0, v25, vcc_lo
	v_cmp_nlt_f32_e32 vcc_lo, 0x42b17218, v24
	s_wait_alu 0xfffd
	s_delay_alu instid0(VALU_DEP_2) | instskip(NEXT) | instid1(VALU_DEP_1)
	v_cndmask_b32_e32 v24, 0x7f800000, v25, vcc_lo
	v_add_f32_e32 v24, 1.0, v24
	s_delay_alu instid0(VALU_DEP_1) | instskip(NEXT) | instid1(TRANS32_DEP_1)
	v_rcp_f32_e32 v24, v24
	v_fma_f32 v128, v24, -2.0, 1.0
.LBB25_704:                             ;   in Loop: Header=BB25_9 Depth=1
	s_wait_alu 0xfffe
	s_and_not1_saveexec_b32 s3, s3
	s_cbranch_execz .LBB25_706
; %bb.705:                              ;   in Loop: Header=BB25_9 Depth=1
	v_mul_f32_e32 v24, v16, v16
	s_delay_alu instid0(VALU_DEP_1) | instskip(NEXT) | instid1(VALU_DEP_1)
	v_fmaak_f32 v25, s39, v24, 0x3ca908c9
	v_fmaak_f32 v25, v24, v25, 0xbd5c1c4e
	s_delay_alu instid0(VALU_DEP_1) | instskip(NEXT) | instid1(VALU_DEP_1)
	v_fmaak_f32 v25, v24, v25, 0x3e088382
	v_fmaak_f32 v25, v24, v25, 0xbeaaaa99
	s_delay_alu instid0(VALU_DEP_1) | instskip(NEXT) | instid1(VALU_DEP_1)
	v_mul_f32_e64 v25, |v16|, v25
	v_fma_f32 v128, v24, v25, |v16|
.LBB25_706:                             ;   in Loop: Header=BB25_9 Depth=1
	s_wait_alu 0xfffe
	s_or_b32 exec_lo, exec_lo, s3
	v_cmp_ngt_f32_e64 s3, 0x3f200000, |v17|
                                        ; implicit-def: $vgpr129
	s_and_saveexec_b32 s44, s3
	s_wait_alu 0xfffe
	s_xor_b32 s3, exec_lo, s44
	s_cbranch_execz .LBB25_708
; %bb.707:                              ;   in Loop: Header=BB25_9 Depth=1
	v_add_f32_e64 v24, |v17|, |v17|
	s_delay_alu instid0(VALU_DEP_1) | instskip(SKIP_1) | instid1(VALU_DEP_2)
	v_mul_f32_e32 v25, 0x3fb8aa3b, v24
	v_cmp_ngt_f32_e32 vcc_lo, 0xc2ce8ed0, v24
	v_rndne_f32_e32 v26, v25
	v_fma_f32 v27, 0x3fb8aa3b, v24, -v25
	s_delay_alu instid0(VALU_DEP_2) | instskip(NEXT) | instid1(VALU_DEP_2)
	v_sub_f32_e32 v25, v25, v26
	v_fmac_f32_e32 v27, 0x32a5705f, v24
	v_cvt_i32_f32_e32 v26, v26
	s_delay_alu instid0(VALU_DEP_2) | instskip(NEXT) | instid1(VALU_DEP_1)
	v_add_f32_e32 v25, v25, v27
	v_exp_f32_e32 v25, v25
	s_delay_alu instid0(TRANS32_DEP_1) | instskip(SKIP_1) | instid1(VALU_DEP_1)
	v_ldexp_f32 v25, v25, v26
	s_wait_alu 0xfffd
	v_cndmask_b32_e32 v25, 0, v25, vcc_lo
	v_cmp_nlt_f32_e32 vcc_lo, 0x42b17218, v24
	s_wait_alu 0xfffd
	s_delay_alu instid0(VALU_DEP_2) | instskip(NEXT) | instid1(VALU_DEP_1)
	v_cndmask_b32_e32 v24, 0x7f800000, v25, vcc_lo
	v_add_f32_e32 v24, 1.0, v24
	s_delay_alu instid0(VALU_DEP_1) | instskip(NEXT) | instid1(TRANS32_DEP_1)
	v_rcp_f32_e32 v24, v24
	v_fma_f32 v129, v24, -2.0, 1.0
.LBB25_708:                             ;   in Loop: Header=BB25_9 Depth=1
	s_wait_alu 0xfffe
	s_and_not1_saveexec_b32 s3, s3
	s_cbranch_execz .LBB25_710
; %bb.709:                              ;   in Loop: Header=BB25_9 Depth=1
	v_mul_f32_e32 v24, v17, v17
	s_delay_alu instid0(VALU_DEP_1) | instskip(NEXT) | instid1(VALU_DEP_1)
	v_fmaak_f32 v25, s39, v24, 0x3ca908c9
	v_fmaak_f32 v25, v24, v25, 0xbd5c1c4e
	s_delay_alu instid0(VALU_DEP_1) | instskip(NEXT) | instid1(VALU_DEP_1)
	v_fmaak_f32 v25, v24, v25, 0x3e088382
	v_fmaak_f32 v25, v24, v25, 0xbeaaaa99
	s_delay_alu instid0(VALU_DEP_1) | instskip(NEXT) | instid1(VALU_DEP_1)
	v_mul_f32_e64 v25, |v17|, v25
	v_fma_f32 v129, v24, v25, |v17|
.LBB25_710:                             ;   in Loop: Header=BB25_9 Depth=1
	s_wait_alu 0xfffe
	s_or_b32 exec_lo, exec_lo, s3
	v_cmp_ngt_f32_e64 s3, 0x3f200000, |v18|
                                        ; implicit-def: $vgpr130
	s_and_saveexec_b32 s44, s3
	s_wait_alu 0xfffe
	s_xor_b32 s3, exec_lo, s44
	s_cbranch_execz .LBB25_712
; %bb.711:                              ;   in Loop: Header=BB25_9 Depth=1
	v_add_f32_e64 v24, |v18|, |v18|
	s_delay_alu instid0(VALU_DEP_1) | instskip(SKIP_1) | instid1(VALU_DEP_2)
	v_mul_f32_e32 v25, 0x3fb8aa3b, v24
	v_cmp_ngt_f32_e32 vcc_lo, 0xc2ce8ed0, v24
	v_rndne_f32_e32 v26, v25
	v_fma_f32 v27, 0x3fb8aa3b, v24, -v25
	s_delay_alu instid0(VALU_DEP_2) | instskip(NEXT) | instid1(VALU_DEP_2)
	v_sub_f32_e32 v25, v25, v26
	v_fmac_f32_e32 v27, 0x32a5705f, v24
	v_cvt_i32_f32_e32 v26, v26
	s_delay_alu instid0(VALU_DEP_2) | instskip(NEXT) | instid1(VALU_DEP_1)
	v_add_f32_e32 v25, v25, v27
	v_exp_f32_e32 v25, v25
	s_delay_alu instid0(TRANS32_DEP_1) | instskip(SKIP_1) | instid1(VALU_DEP_1)
	v_ldexp_f32 v25, v25, v26
	s_wait_alu 0xfffd
	v_cndmask_b32_e32 v25, 0, v25, vcc_lo
	v_cmp_nlt_f32_e32 vcc_lo, 0x42b17218, v24
	s_wait_alu 0xfffd
	s_delay_alu instid0(VALU_DEP_2) | instskip(NEXT) | instid1(VALU_DEP_1)
	v_cndmask_b32_e32 v24, 0x7f800000, v25, vcc_lo
	v_add_f32_e32 v24, 1.0, v24
	s_delay_alu instid0(VALU_DEP_1) | instskip(NEXT) | instid1(TRANS32_DEP_1)
	v_rcp_f32_e32 v24, v24
	v_fma_f32 v130, v24, -2.0, 1.0
.LBB25_712:                             ;   in Loop: Header=BB25_9 Depth=1
	s_wait_alu 0xfffe
	s_and_not1_saveexec_b32 s3, s3
	s_cbranch_execz .LBB25_714
; %bb.713:                              ;   in Loop: Header=BB25_9 Depth=1
	v_mul_f32_e32 v24, v18, v18
	s_delay_alu instid0(VALU_DEP_1) | instskip(NEXT) | instid1(VALU_DEP_1)
	v_fmaak_f32 v25, s39, v24, 0x3ca908c9
	v_fmaak_f32 v25, v24, v25, 0xbd5c1c4e
	s_delay_alu instid0(VALU_DEP_1) | instskip(NEXT) | instid1(VALU_DEP_1)
	v_fmaak_f32 v25, v24, v25, 0x3e088382
	v_fmaak_f32 v25, v24, v25, 0xbeaaaa99
	s_delay_alu instid0(VALU_DEP_1) | instskip(NEXT) | instid1(VALU_DEP_1)
	v_mul_f32_e64 v25, |v18|, v25
	v_fma_f32 v130, v24, v25, |v18|
.LBB25_714:                             ;   in Loop: Header=BB25_9 Depth=1
	s_wait_alu 0xfffe
	s_or_b32 exec_lo, exec_lo, s3
	v_cmp_ngt_f32_e64 s3, 0x3f200000, |v19|
                                        ; implicit-def: $vgpr131
	s_and_saveexec_b32 s44, s3
	s_wait_alu 0xfffe
	s_xor_b32 s3, exec_lo, s44
	s_cbranch_execz .LBB25_716
; %bb.715:                              ;   in Loop: Header=BB25_9 Depth=1
	v_add_f32_e64 v24, |v19|, |v19|
	s_delay_alu instid0(VALU_DEP_1) | instskip(SKIP_1) | instid1(VALU_DEP_2)
	v_mul_f32_e32 v25, 0x3fb8aa3b, v24
	v_cmp_ngt_f32_e32 vcc_lo, 0xc2ce8ed0, v24
	v_rndne_f32_e32 v26, v25
	v_fma_f32 v27, 0x3fb8aa3b, v24, -v25
	s_delay_alu instid0(VALU_DEP_2) | instskip(NEXT) | instid1(VALU_DEP_2)
	v_sub_f32_e32 v25, v25, v26
	v_fmac_f32_e32 v27, 0x32a5705f, v24
	v_cvt_i32_f32_e32 v26, v26
	s_delay_alu instid0(VALU_DEP_2) | instskip(NEXT) | instid1(VALU_DEP_1)
	v_add_f32_e32 v25, v25, v27
	v_exp_f32_e32 v25, v25
	s_delay_alu instid0(TRANS32_DEP_1) | instskip(SKIP_1) | instid1(VALU_DEP_1)
	v_ldexp_f32 v25, v25, v26
	s_wait_alu 0xfffd
	v_cndmask_b32_e32 v25, 0, v25, vcc_lo
	v_cmp_nlt_f32_e32 vcc_lo, 0x42b17218, v24
	s_wait_alu 0xfffd
	s_delay_alu instid0(VALU_DEP_2) | instskip(NEXT) | instid1(VALU_DEP_1)
	v_cndmask_b32_e32 v24, 0x7f800000, v25, vcc_lo
	v_add_f32_e32 v24, 1.0, v24
	s_delay_alu instid0(VALU_DEP_1) | instskip(NEXT) | instid1(TRANS32_DEP_1)
	v_rcp_f32_e32 v24, v24
	v_fma_f32 v131, v24, -2.0, 1.0
.LBB25_716:                             ;   in Loop: Header=BB25_9 Depth=1
	s_wait_alu 0xfffe
	s_and_not1_saveexec_b32 s3, s3
	s_cbranch_execz .LBB25_718
; %bb.717:                              ;   in Loop: Header=BB25_9 Depth=1
	v_mul_f32_e32 v24, v19, v19
	s_delay_alu instid0(VALU_DEP_1) | instskip(NEXT) | instid1(VALU_DEP_1)
	v_fmaak_f32 v25, s39, v24, 0x3ca908c9
	v_fmaak_f32 v25, v24, v25, 0xbd5c1c4e
	s_delay_alu instid0(VALU_DEP_1) | instskip(NEXT) | instid1(VALU_DEP_1)
	v_fmaak_f32 v25, v24, v25, 0x3e088382
	v_fmaak_f32 v25, v24, v25, 0xbeaaaa99
	s_delay_alu instid0(VALU_DEP_1) | instskip(NEXT) | instid1(VALU_DEP_1)
	v_mul_f32_e64 v25, |v19|, v25
	v_fma_f32 v131, v24, v25, |v19|
.LBB25_718:                             ;   in Loop: Header=BB25_9 Depth=1
	s_wait_alu 0xfffe
	s_or_b32 exec_lo, exec_lo, s3
	v_cmp_ngt_f32_e64 s3, 0x3f200000, |v20|
                                        ; implicit-def: $vgpr132
	s_and_saveexec_b32 s44, s3
	s_wait_alu 0xfffe
	s_xor_b32 s3, exec_lo, s44
	s_cbranch_execz .LBB25_720
; %bb.719:                              ;   in Loop: Header=BB25_9 Depth=1
	v_add_f32_e64 v24, |v20|, |v20|
	s_delay_alu instid0(VALU_DEP_1) | instskip(SKIP_1) | instid1(VALU_DEP_2)
	v_mul_f32_e32 v25, 0x3fb8aa3b, v24
	v_cmp_ngt_f32_e32 vcc_lo, 0xc2ce8ed0, v24
	v_rndne_f32_e32 v26, v25
	v_fma_f32 v27, 0x3fb8aa3b, v24, -v25
	s_delay_alu instid0(VALU_DEP_2) | instskip(NEXT) | instid1(VALU_DEP_2)
	v_sub_f32_e32 v25, v25, v26
	v_fmac_f32_e32 v27, 0x32a5705f, v24
	v_cvt_i32_f32_e32 v26, v26
	s_delay_alu instid0(VALU_DEP_2) | instskip(NEXT) | instid1(VALU_DEP_1)
	v_add_f32_e32 v25, v25, v27
	v_exp_f32_e32 v25, v25
	s_delay_alu instid0(TRANS32_DEP_1) | instskip(SKIP_1) | instid1(VALU_DEP_1)
	v_ldexp_f32 v25, v25, v26
	s_wait_alu 0xfffd
	v_cndmask_b32_e32 v25, 0, v25, vcc_lo
	v_cmp_nlt_f32_e32 vcc_lo, 0x42b17218, v24
	s_wait_alu 0xfffd
	s_delay_alu instid0(VALU_DEP_2) | instskip(NEXT) | instid1(VALU_DEP_1)
	v_cndmask_b32_e32 v24, 0x7f800000, v25, vcc_lo
	v_add_f32_e32 v24, 1.0, v24
	s_delay_alu instid0(VALU_DEP_1) | instskip(NEXT) | instid1(TRANS32_DEP_1)
	v_rcp_f32_e32 v24, v24
	v_fma_f32 v132, v24, -2.0, 1.0
.LBB25_720:                             ;   in Loop: Header=BB25_9 Depth=1
	s_wait_alu 0xfffe
	s_and_not1_saveexec_b32 s3, s3
	s_cbranch_execz .LBB25_722
; %bb.721:                              ;   in Loop: Header=BB25_9 Depth=1
	v_mul_f32_e32 v24, v20, v20
	s_delay_alu instid0(VALU_DEP_1) | instskip(NEXT) | instid1(VALU_DEP_1)
	v_fmaak_f32 v25, s39, v24, 0x3ca908c9
	v_fmaak_f32 v25, v24, v25, 0xbd5c1c4e
	s_delay_alu instid0(VALU_DEP_1) | instskip(NEXT) | instid1(VALU_DEP_1)
	v_fmaak_f32 v25, v24, v25, 0x3e088382
	v_fmaak_f32 v25, v24, v25, 0xbeaaaa99
	s_delay_alu instid0(VALU_DEP_1) | instskip(NEXT) | instid1(VALU_DEP_1)
	v_mul_f32_e64 v25, |v20|, v25
	v_fma_f32 v132, v24, v25, |v20|
.LBB25_722:                             ;   in Loop: Header=BB25_9 Depth=1
	s_wait_alu 0xfffe
	s_or_b32 exec_lo, exec_lo, s3
	v_cmp_ngt_f32_e64 s3, 0x3f200000, |v21|
                                        ; implicit-def: $vgpr133
	s_and_saveexec_b32 s44, s3
	s_wait_alu 0xfffe
	s_xor_b32 s3, exec_lo, s44
	s_cbranch_execz .LBB25_724
; %bb.723:                              ;   in Loop: Header=BB25_9 Depth=1
	v_add_f32_e64 v24, |v21|, |v21|
	s_delay_alu instid0(VALU_DEP_1) | instskip(SKIP_1) | instid1(VALU_DEP_2)
	v_mul_f32_e32 v25, 0x3fb8aa3b, v24
	v_cmp_ngt_f32_e32 vcc_lo, 0xc2ce8ed0, v24
	v_rndne_f32_e32 v26, v25
	v_fma_f32 v27, 0x3fb8aa3b, v24, -v25
	s_delay_alu instid0(VALU_DEP_2) | instskip(NEXT) | instid1(VALU_DEP_2)
	v_sub_f32_e32 v25, v25, v26
	v_fmac_f32_e32 v27, 0x32a5705f, v24
	v_cvt_i32_f32_e32 v26, v26
	s_delay_alu instid0(VALU_DEP_2) | instskip(NEXT) | instid1(VALU_DEP_1)
	v_add_f32_e32 v25, v25, v27
	v_exp_f32_e32 v25, v25
	s_delay_alu instid0(TRANS32_DEP_1) | instskip(SKIP_1) | instid1(VALU_DEP_1)
	v_ldexp_f32 v25, v25, v26
	s_wait_alu 0xfffd
	v_cndmask_b32_e32 v25, 0, v25, vcc_lo
	v_cmp_nlt_f32_e32 vcc_lo, 0x42b17218, v24
	s_wait_alu 0xfffd
	s_delay_alu instid0(VALU_DEP_2) | instskip(NEXT) | instid1(VALU_DEP_1)
	v_cndmask_b32_e32 v24, 0x7f800000, v25, vcc_lo
	v_add_f32_e32 v24, 1.0, v24
	s_delay_alu instid0(VALU_DEP_1) | instskip(NEXT) | instid1(TRANS32_DEP_1)
	v_rcp_f32_e32 v24, v24
	v_fma_f32 v133, v24, -2.0, 1.0
.LBB25_724:                             ;   in Loop: Header=BB25_9 Depth=1
	s_wait_alu 0xfffe
	s_and_not1_saveexec_b32 s3, s3
	s_cbranch_execz .LBB25_726
; %bb.725:                              ;   in Loop: Header=BB25_9 Depth=1
	v_mul_f32_e32 v24, v21, v21
	s_delay_alu instid0(VALU_DEP_1) | instskip(NEXT) | instid1(VALU_DEP_1)
	v_fmaak_f32 v25, s39, v24, 0x3ca908c9
	v_fmaak_f32 v25, v24, v25, 0xbd5c1c4e
	s_delay_alu instid0(VALU_DEP_1) | instskip(NEXT) | instid1(VALU_DEP_1)
	v_fmaak_f32 v25, v24, v25, 0x3e088382
	v_fmaak_f32 v25, v24, v25, 0xbeaaaa99
	s_delay_alu instid0(VALU_DEP_1) | instskip(NEXT) | instid1(VALU_DEP_1)
	v_mul_f32_e64 v25, |v21|, v25
	v_fma_f32 v133, v24, v25, |v21|
.LBB25_726:                             ;   in Loop: Header=BB25_9 Depth=1
	s_wait_alu 0xfffe
	s_or_b32 exec_lo, exec_lo, s3
	v_cmp_ngt_f32_e64 s3, 0x3f200000, |v22|
                                        ; implicit-def: $vgpr134
	s_and_saveexec_b32 s44, s3
	s_wait_alu 0xfffe
	s_xor_b32 s3, exec_lo, s44
	s_cbranch_execz .LBB25_728
; %bb.727:                              ;   in Loop: Header=BB25_9 Depth=1
	v_add_f32_e64 v24, |v22|, |v22|
	s_delay_alu instid0(VALU_DEP_1) | instskip(SKIP_1) | instid1(VALU_DEP_2)
	v_mul_f32_e32 v25, 0x3fb8aa3b, v24
	v_cmp_ngt_f32_e32 vcc_lo, 0xc2ce8ed0, v24
	v_rndne_f32_e32 v26, v25
	v_fma_f32 v27, 0x3fb8aa3b, v24, -v25
	s_delay_alu instid0(VALU_DEP_2) | instskip(NEXT) | instid1(VALU_DEP_2)
	v_sub_f32_e32 v25, v25, v26
	v_fmac_f32_e32 v27, 0x32a5705f, v24
	v_cvt_i32_f32_e32 v26, v26
	s_delay_alu instid0(VALU_DEP_2) | instskip(NEXT) | instid1(VALU_DEP_1)
	v_add_f32_e32 v25, v25, v27
	v_exp_f32_e32 v25, v25
	s_delay_alu instid0(TRANS32_DEP_1) | instskip(SKIP_1) | instid1(VALU_DEP_1)
	v_ldexp_f32 v25, v25, v26
	s_wait_alu 0xfffd
	v_cndmask_b32_e32 v25, 0, v25, vcc_lo
	v_cmp_nlt_f32_e32 vcc_lo, 0x42b17218, v24
	s_wait_alu 0xfffd
	s_delay_alu instid0(VALU_DEP_2) | instskip(NEXT) | instid1(VALU_DEP_1)
	v_cndmask_b32_e32 v24, 0x7f800000, v25, vcc_lo
	v_add_f32_e32 v24, 1.0, v24
	s_delay_alu instid0(VALU_DEP_1) | instskip(NEXT) | instid1(TRANS32_DEP_1)
	v_rcp_f32_e32 v24, v24
	v_fma_f32 v134, v24, -2.0, 1.0
.LBB25_728:                             ;   in Loop: Header=BB25_9 Depth=1
	s_wait_alu 0xfffe
	s_and_not1_saveexec_b32 s3, s3
	s_cbranch_execz .LBB25_730
; %bb.729:                              ;   in Loop: Header=BB25_9 Depth=1
	v_mul_f32_e32 v24, v22, v22
	s_delay_alu instid0(VALU_DEP_1) | instskip(NEXT) | instid1(VALU_DEP_1)
	v_fmaak_f32 v25, s39, v24, 0x3ca908c9
	v_fmaak_f32 v25, v24, v25, 0xbd5c1c4e
	s_delay_alu instid0(VALU_DEP_1) | instskip(NEXT) | instid1(VALU_DEP_1)
	v_fmaak_f32 v25, v24, v25, 0x3e088382
	v_fmaak_f32 v25, v24, v25, 0xbeaaaa99
	s_delay_alu instid0(VALU_DEP_1) | instskip(NEXT) | instid1(VALU_DEP_1)
	v_mul_f32_e64 v25, |v22|, v25
	v_fma_f32 v134, v24, v25, |v22|
.LBB25_730:                             ;   in Loop: Header=BB25_9 Depth=1
	s_wait_alu 0xfffe
	s_or_b32 exec_lo, exec_lo, s3
	v_cmp_ngt_f32_e64 s3, 0x3f200000, |v23|
                                        ; implicit-def: $vgpr135
	s_and_saveexec_b32 s44, s3
	s_wait_alu 0xfffe
	s_xor_b32 s3, exec_lo, s44
	s_cbranch_execz .LBB25_732
; %bb.731:                              ;   in Loop: Header=BB25_9 Depth=1
	v_add_f32_e64 v24, |v23|, |v23|
	s_delay_alu instid0(VALU_DEP_1) | instskip(SKIP_1) | instid1(VALU_DEP_2)
	v_mul_f32_e32 v25, 0x3fb8aa3b, v24
	v_cmp_ngt_f32_e32 vcc_lo, 0xc2ce8ed0, v24
	v_rndne_f32_e32 v26, v25
	v_fma_f32 v27, 0x3fb8aa3b, v24, -v25
	s_delay_alu instid0(VALU_DEP_2) | instskip(NEXT) | instid1(VALU_DEP_2)
	v_sub_f32_e32 v25, v25, v26
	v_fmac_f32_e32 v27, 0x32a5705f, v24
	v_cvt_i32_f32_e32 v26, v26
	s_delay_alu instid0(VALU_DEP_2) | instskip(NEXT) | instid1(VALU_DEP_1)
	v_add_f32_e32 v25, v25, v27
	v_exp_f32_e32 v25, v25
	s_delay_alu instid0(TRANS32_DEP_1) | instskip(SKIP_1) | instid1(VALU_DEP_1)
	v_ldexp_f32 v25, v25, v26
	s_wait_alu 0xfffd
	v_cndmask_b32_e32 v25, 0, v25, vcc_lo
	v_cmp_nlt_f32_e32 vcc_lo, 0x42b17218, v24
	s_wait_alu 0xfffd
	s_delay_alu instid0(VALU_DEP_2) | instskip(NEXT) | instid1(VALU_DEP_1)
	v_cndmask_b32_e32 v24, 0x7f800000, v25, vcc_lo
	v_add_f32_e32 v24, 1.0, v24
	s_delay_alu instid0(VALU_DEP_1) | instskip(NEXT) | instid1(TRANS32_DEP_1)
	v_rcp_f32_e32 v24, v24
	v_fma_f32 v135, v24, -2.0, 1.0
.LBB25_732:                             ;   in Loop: Header=BB25_9 Depth=1
	s_wait_alu 0xfffe
	s_and_not1_saveexec_b32 s3, s3
	s_cbranch_execz .LBB25_734
; %bb.733:                              ;   in Loop: Header=BB25_9 Depth=1
	v_mul_f32_e32 v24, v23, v23
	s_delay_alu instid0(VALU_DEP_1) | instskip(NEXT) | instid1(VALU_DEP_1)
	v_fmaak_f32 v25, s39, v24, 0x3ca908c9
	v_fmaak_f32 v25, v24, v25, 0xbd5c1c4e
	s_delay_alu instid0(VALU_DEP_1) | instskip(NEXT) | instid1(VALU_DEP_1)
	v_fmaak_f32 v25, v24, v25, 0x3e088382
	v_fmaak_f32 v25, v24, v25, 0xbeaaaa99
	s_delay_alu instid0(VALU_DEP_1) | instskip(NEXT) | instid1(VALU_DEP_1)
	v_mul_f32_e64 v25, |v23|, v25
	v_fma_f32 v135, v24, v25, |v23|
.LBB25_734:                             ;   in Loop: Header=BB25_9 Depth=1
	s_wait_alu 0xfffe
	s_or_b32 exec_lo, exec_lo, s3
	v_wmma_f32_16x16x16_f16 v[24:31], v[124:127], v[92:95], 0
	s_delay_alu instid0(VALU_DEP_1) | instskip(NEXT) | instid1(VALU_DEP_1)
	v_wmma_f32_16x16x16_f16 v[24:31], v[120:123], v[88:91], v[24:31]
	v_wmma_f32_16x16x16_f16 v[24:31], v[116:119], v[84:87], v[24:31]
	s_delay_alu instid0(VALU_DEP_1) | instskip(NEXT) | instid1(VALU_DEP_1)
	v_wmma_f32_16x16x16_f16 v[24:31], v[112:115], v[80:83], v[24:31]
	;; [unrolled: 3-line block ×4, first 2 shown]
                                        ; implicit-def: $vgpr64
	v_cmp_ngt_f32_e64 s3, 0x3f200000, |v24|
	s_and_saveexec_b32 s44, s3
	s_wait_alu 0xfffe
	s_xor_b32 s3, exec_lo, s44
	s_cbranch_execz .LBB25_736
; %bb.735:                              ;   in Loop: Header=BB25_9 Depth=1
	v_add_f32_e64 v64, |v24|, |v24|
	s_delay_alu instid0(VALU_DEP_1) | instskip(SKIP_1) | instid1(VALU_DEP_2)
	v_mul_f32_e32 v65, 0x3fb8aa3b, v64
	v_cmp_ngt_f32_e32 vcc_lo, 0xc2ce8ed0, v64
	v_rndne_f32_e32 v66, v65
	v_fma_f32 v67, 0x3fb8aa3b, v64, -v65
	s_delay_alu instid0(VALU_DEP_2) | instskip(NEXT) | instid1(VALU_DEP_2)
	v_sub_f32_e32 v65, v65, v66
	v_fmac_f32_e32 v67, 0x32a5705f, v64
	v_cvt_i32_f32_e32 v66, v66
	s_delay_alu instid0(VALU_DEP_2) | instskip(NEXT) | instid1(VALU_DEP_1)
	v_add_f32_e32 v65, v65, v67
	v_exp_f32_e32 v65, v65
	s_delay_alu instid0(TRANS32_DEP_1) | instskip(SKIP_1) | instid1(VALU_DEP_1)
	v_ldexp_f32 v65, v65, v66
	s_wait_alu 0xfffd
	v_cndmask_b32_e32 v65, 0, v65, vcc_lo
	v_cmp_nlt_f32_e32 vcc_lo, 0x42b17218, v64
	s_wait_alu 0xfffd
	s_delay_alu instid0(VALU_DEP_2) | instskip(NEXT) | instid1(VALU_DEP_1)
	v_cndmask_b32_e32 v64, 0x7f800000, v65, vcc_lo
	v_add_f32_e32 v64, 1.0, v64
	s_delay_alu instid0(VALU_DEP_1) | instskip(NEXT) | instid1(TRANS32_DEP_1)
	v_rcp_f32_e32 v64, v64
	v_fma_f32 v64, v64, -2.0, 1.0
.LBB25_736:                             ;   in Loop: Header=BB25_9 Depth=1
	s_wait_alu 0xfffe
	s_and_not1_saveexec_b32 s3, s3
	s_cbranch_execz .LBB25_738
; %bb.737:                              ;   in Loop: Header=BB25_9 Depth=1
	v_mul_f32_e32 v64, v24, v24
	s_delay_alu instid0(VALU_DEP_1) | instskip(NEXT) | instid1(VALU_DEP_1)
	v_fmaak_f32 v65, s39, v64, 0x3ca908c9
	v_fmaak_f32 v65, v64, v65, 0xbd5c1c4e
	s_delay_alu instid0(VALU_DEP_1) | instskip(NEXT) | instid1(VALU_DEP_1)
	v_fmaak_f32 v65, v64, v65, 0x3e088382
	v_fmaak_f32 v65, v64, v65, 0xbeaaaa99
	s_delay_alu instid0(VALU_DEP_1) | instskip(NEXT) | instid1(VALU_DEP_1)
	v_mul_f32_e64 v65, |v24|, v65
	v_fma_f32 v64, v64, v65, |v24|
.LBB25_738:                             ;   in Loop: Header=BB25_9 Depth=1
	s_wait_alu 0xfffe
	s_or_b32 exec_lo, exec_lo, s3
	v_cmp_ngt_f32_e64 s3, 0x3f200000, |v25|
                                        ; implicit-def: $vgpr65
	s_and_saveexec_b32 s44, s3
	s_wait_alu 0xfffe
	s_xor_b32 s3, exec_lo, s44
	s_cbranch_execz .LBB25_740
; %bb.739:                              ;   in Loop: Header=BB25_9 Depth=1
	v_add_f32_e64 v65, |v25|, |v25|
	s_delay_alu instid0(VALU_DEP_1) | instskip(SKIP_1) | instid1(VALU_DEP_2)
	v_mul_f32_e32 v66, 0x3fb8aa3b, v65
	v_cmp_ngt_f32_e32 vcc_lo, 0xc2ce8ed0, v65
	v_rndne_f32_e32 v67, v66
	v_fma_f32 v68, 0x3fb8aa3b, v65, -v66
	s_delay_alu instid0(VALU_DEP_2) | instskip(NEXT) | instid1(VALU_DEP_2)
	v_sub_f32_e32 v66, v66, v67
	v_fmac_f32_e32 v68, 0x32a5705f, v65
	v_cvt_i32_f32_e32 v67, v67
	s_delay_alu instid0(VALU_DEP_2) | instskip(NEXT) | instid1(VALU_DEP_1)
	v_add_f32_e32 v66, v66, v68
	v_exp_f32_e32 v66, v66
	s_delay_alu instid0(TRANS32_DEP_1) | instskip(SKIP_1) | instid1(VALU_DEP_1)
	v_ldexp_f32 v66, v66, v67
	s_wait_alu 0xfffd
	v_cndmask_b32_e32 v66, 0, v66, vcc_lo
	v_cmp_nlt_f32_e32 vcc_lo, 0x42b17218, v65
	s_wait_alu 0xfffd
	s_delay_alu instid0(VALU_DEP_2) | instskip(NEXT) | instid1(VALU_DEP_1)
	v_cndmask_b32_e32 v65, 0x7f800000, v66, vcc_lo
	v_add_f32_e32 v65, 1.0, v65
	s_delay_alu instid0(VALU_DEP_1) | instskip(NEXT) | instid1(TRANS32_DEP_1)
	v_rcp_f32_e32 v65, v65
	v_fma_f32 v65, v65, -2.0, 1.0
.LBB25_740:                             ;   in Loop: Header=BB25_9 Depth=1
	s_wait_alu 0xfffe
	s_and_not1_saveexec_b32 s3, s3
	s_cbranch_execz .LBB25_742
; %bb.741:                              ;   in Loop: Header=BB25_9 Depth=1
	v_mul_f32_e32 v65, v25, v25
	s_delay_alu instid0(VALU_DEP_1) | instskip(NEXT) | instid1(VALU_DEP_1)
	v_fmaak_f32 v66, s39, v65, 0x3ca908c9
	v_fmaak_f32 v66, v65, v66, 0xbd5c1c4e
	s_delay_alu instid0(VALU_DEP_1) | instskip(NEXT) | instid1(VALU_DEP_1)
	v_fmaak_f32 v66, v65, v66, 0x3e088382
	v_fmaak_f32 v66, v65, v66, 0xbeaaaa99
	s_delay_alu instid0(VALU_DEP_1) | instskip(NEXT) | instid1(VALU_DEP_1)
	v_mul_f32_e64 v66, |v25|, v66
	v_fma_f32 v65, v65, v66, |v25|
.LBB25_742:                             ;   in Loop: Header=BB25_9 Depth=1
	s_wait_alu 0xfffe
	s_or_b32 exec_lo, exec_lo, s3
	v_cmp_ngt_f32_e64 s3, 0x3f200000, |v26|
                                        ; implicit-def: $vgpr66
	s_and_saveexec_b32 s44, s3
	s_wait_alu 0xfffe
	s_xor_b32 s3, exec_lo, s44
	s_cbranch_execz .LBB25_744
; %bb.743:                              ;   in Loop: Header=BB25_9 Depth=1
	v_add_f32_e64 v66, |v26|, |v26|
	s_delay_alu instid0(VALU_DEP_1) | instskip(SKIP_1) | instid1(VALU_DEP_2)
	v_mul_f32_e32 v67, 0x3fb8aa3b, v66
	v_cmp_ngt_f32_e32 vcc_lo, 0xc2ce8ed0, v66
	v_rndne_f32_e32 v68, v67
	v_fma_f32 v69, 0x3fb8aa3b, v66, -v67
	s_delay_alu instid0(VALU_DEP_2) | instskip(NEXT) | instid1(VALU_DEP_2)
	v_sub_f32_e32 v67, v67, v68
	v_fmac_f32_e32 v69, 0x32a5705f, v66
	v_cvt_i32_f32_e32 v68, v68
	s_delay_alu instid0(VALU_DEP_2) | instskip(NEXT) | instid1(VALU_DEP_1)
	v_add_f32_e32 v67, v67, v69
	v_exp_f32_e32 v67, v67
	s_delay_alu instid0(TRANS32_DEP_1) | instskip(SKIP_1) | instid1(VALU_DEP_1)
	v_ldexp_f32 v67, v67, v68
	s_wait_alu 0xfffd
	v_cndmask_b32_e32 v67, 0, v67, vcc_lo
	v_cmp_nlt_f32_e32 vcc_lo, 0x42b17218, v66
	s_wait_alu 0xfffd
	s_delay_alu instid0(VALU_DEP_2) | instskip(NEXT) | instid1(VALU_DEP_1)
	v_cndmask_b32_e32 v66, 0x7f800000, v67, vcc_lo
	v_add_f32_e32 v66, 1.0, v66
	s_delay_alu instid0(VALU_DEP_1) | instskip(NEXT) | instid1(TRANS32_DEP_1)
	v_rcp_f32_e32 v66, v66
	v_fma_f32 v66, v66, -2.0, 1.0
.LBB25_744:                             ;   in Loop: Header=BB25_9 Depth=1
	s_wait_alu 0xfffe
	s_and_not1_saveexec_b32 s3, s3
	s_cbranch_execz .LBB25_746
; %bb.745:                              ;   in Loop: Header=BB25_9 Depth=1
	v_mul_f32_e32 v66, v26, v26
	s_delay_alu instid0(VALU_DEP_1) | instskip(NEXT) | instid1(VALU_DEP_1)
	v_fmaak_f32 v67, s39, v66, 0x3ca908c9
	v_fmaak_f32 v67, v66, v67, 0xbd5c1c4e
	s_delay_alu instid0(VALU_DEP_1) | instskip(NEXT) | instid1(VALU_DEP_1)
	v_fmaak_f32 v67, v66, v67, 0x3e088382
	v_fmaak_f32 v67, v66, v67, 0xbeaaaa99
	s_delay_alu instid0(VALU_DEP_1) | instskip(NEXT) | instid1(VALU_DEP_1)
	v_mul_f32_e64 v67, |v26|, v67
	v_fma_f32 v66, v66, v67, |v26|
.LBB25_746:                             ;   in Loop: Header=BB25_9 Depth=1
	s_wait_alu 0xfffe
	s_or_b32 exec_lo, exec_lo, s3
	v_cmp_ngt_f32_e64 s3, 0x3f200000, |v27|
                                        ; implicit-def: $vgpr67
	s_and_saveexec_b32 s44, s3
	s_wait_alu 0xfffe
	s_xor_b32 s3, exec_lo, s44
	s_cbranch_execz .LBB25_748
; %bb.747:                              ;   in Loop: Header=BB25_9 Depth=1
	v_add_f32_e64 v67, |v27|, |v27|
	s_delay_alu instid0(VALU_DEP_1) | instskip(SKIP_1) | instid1(VALU_DEP_2)
	v_mul_f32_e32 v68, 0x3fb8aa3b, v67
	v_cmp_ngt_f32_e32 vcc_lo, 0xc2ce8ed0, v67
	v_rndne_f32_e32 v69, v68
	v_fma_f32 v70, 0x3fb8aa3b, v67, -v68
	s_delay_alu instid0(VALU_DEP_2) | instskip(NEXT) | instid1(VALU_DEP_2)
	v_sub_f32_e32 v68, v68, v69
	v_fmac_f32_e32 v70, 0x32a5705f, v67
	v_cvt_i32_f32_e32 v69, v69
	s_delay_alu instid0(VALU_DEP_2) | instskip(NEXT) | instid1(VALU_DEP_1)
	v_add_f32_e32 v68, v68, v70
	v_exp_f32_e32 v68, v68
	s_delay_alu instid0(TRANS32_DEP_1) | instskip(SKIP_1) | instid1(VALU_DEP_1)
	v_ldexp_f32 v68, v68, v69
	s_wait_alu 0xfffd
	v_cndmask_b32_e32 v68, 0, v68, vcc_lo
	v_cmp_nlt_f32_e32 vcc_lo, 0x42b17218, v67
	s_wait_alu 0xfffd
	s_delay_alu instid0(VALU_DEP_2) | instskip(NEXT) | instid1(VALU_DEP_1)
	v_cndmask_b32_e32 v67, 0x7f800000, v68, vcc_lo
	v_add_f32_e32 v67, 1.0, v67
	s_delay_alu instid0(VALU_DEP_1) | instskip(NEXT) | instid1(TRANS32_DEP_1)
	v_rcp_f32_e32 v67, v67
	v_fma_f32 v67, v67, -2.0, 1.0
.LBB25_748:                             ;   in Loop: Header=BB25_9 Depth=1
	s_wait_alu 0xfffe
	s_and_not1_saveexec_b32 s3, s3
	s_cbranch_execz .LBB25_750
; %bb.749:                              ;   in Loop: Header=BB25_9 Depth=1
	v_mul_f32_e32 v67, v27, v27
	s_delay_alu instid0(VALU_DEP_1) | instskip(NEXT) | instid1(VALU_DEP_1)
	v_fmaak_f32 v68, s39, v67, 0x3ca908c9
	v_fmaak_f32 v68, v67, v68, 0xbd5c1c4e
	s_delay_alu instid0(VALU_DEP_1) | instskip(NEXT) | instid1(VALU_DEP_1)
	v_fmaak_f32 v68, v67, v68, 0x3e088382
	v_fmaak_f32 v68, v67, v68, 0xbeaaaa99
	s_delay_alu instid0(VALU_DEP_1) | instskip(NEXT) | instid1(VALU_DEP_1)
	v_mul_f32_e64 v68, |v27|, v68
	v_fma_f32 v67, v67, v68, |v27|
.LBB25_750:                             ;   in Loop: Header=BB25_9 Depth=1
	s_wait_alu 0xfffe
	s_or_b32 exec_lo, exec_lo, s3
	v_cmp_ngt_f32_e64 s3, 0x3f200000, |v28|
                                        ; implicit-def: $vgpr68
	s_and_saveexec_b32 s44, s3
	s_wait_alu 0xfffe
	s_xor_b32 s3, exec_lo, s44
	s_cbranch_execz .LBB25_752
; %bb.751:                              ;   in Loop: Header=BB25_9 Depth=1
	v_add_f32_e64 v68, |v28|, |v28|
	s_delay_alu instid0(VALU_DEP_1) | instskip(SKIP_1) | instid1(VALU_DEP_2)
	v_mul_f32_e32 v69, 0x3fb8aa3b, v68
	v_cmp_ngt_f32_e32 vcc_lo, 0xc2ce8ed0, v68
	v_rndne_f32_e32 v70, v69
	v_fma_f32 v71, 0x3fb8aa3b, v68, -v69
	s_delay_alu instid0(VALU_DEP_2) | instskip(NEXT) | instid1(VALU_DEP_2)
	v_sub_f32_e32 v69, v69, v70
	v_fmac_f32_e32 v71, 0x32a5705f, v68
	v_cvt_i32_f32_e32 v70, v70
	s_delay_alu instid0(VALU_DEP_2) | instskip(NEXT) | instid1(VALU_DEP_1)
	v_add_f32_e32 v69, v69, v71
	v_exp_f32_e32 v69, v69
	s_delay_alu instid0(TRANS32_DEP_1) | instskip(SKIP_1) | instid1(VALU_DEP_1)
	v_ldexp_f32 v69, v69, v70
	s_wait_alu 0xfffd
	v_cndmask_b32_e32 v69, 0, v69, vcc_lo
	v_cmp_nlt_f32_e32 vcc_lo, 0x42b17218, v68
	s_wait_alu 0xfffd
	s_delay_alu instid0(VALU_DEP_2) | instskip(NEXT) | instid1(VALU_DEP_1)
	v_cndmask_b32_e32 v68, 0x7f800000, v69, vcc_lo
	v_add_f32_e32 v68, 1.0, v68
	s_delay_alu instid0(VALU_DEP_1) | instskip(NEXT) | instid1(TRANS32_DEP_1)
	v_rcp_f32_e32 v68, v68
	v_fma_f32 v68, v68, -2.0, 1.0
.LBB25_752:                             ;   in Loop: Header=BB25_9 Depth=1
	s_wait_alu 0xfffe
	s_and_not1_saveexec_b32 s3, s3
	s_cbranch_execz .LBB25_754
; %bb.753:                              ;   in Loop: Header=BB25_9 Depth=1
	v_mul_f32_e32 v68, v28, v28
	s_delay_alu instid0(VALU_DEP_1) | instskip(NEXT) | instid1(VALU_DEP_1)
	v_fmaak_f32 v69, s39, v68, 0x3ca908c9
	v_fmaak_f32 v69, v68, v69, 0xbd5c1c4e
	s_delay_alu instid0(VALU_DEP_1) | instskip(NEXT) | instid1(VALU_DEP_1)
	v_fmaak_f32 v69, v68, v69, 0x3e088382
	v_fmaak_f32 v69, v68, v69, 0xbeaaaa99
	s_delay_alu instid0(VALU_DEP_1) | instskip(NEXT) | instid1(VALU_DEP_1)
	v_mul_f32_e64 v69, |v28|, v69
	v_fma_f32 v68, v68, v69, |v28|
.LBB25_754:                             ;   in Loop: Header=BB25_9 Depth=1
	s_wait_alu 0xfffe
	s_or_b32 exec_lo, exec_lo, s3
	v_cmp_ngt_f32_e64 s3, 0x3f200000, |v29|
                                        ; implicit-def: $vgpr69
	s_and_saveexec_b32 s44, s3
	s_wait_alu 0xfffe
	s_xor_b32 s3, exec_lo, s44
	s_cbranch_execz .LBB25_756
; %bb.755:                              ;   in Loop: Header=BB25_9 Depth=1
	v_add_f32_e64 v69, |v29|, |v29|
	s_delay_alu instid0(VALU_DEP_1) | instskip(SKIP_1) | instid1(VALU_DEP_2)
	v_mul_f32_e32 v70, 0x3fb8aa3b, v69
	v_cmp_ngt_f32_e32 vcc_lo, 0xc2ce8ed0, v69
	v_rndne_f32_e32 v71, v70
	v_fma_f32 v72, 0x3fb8aa3b, v69, -v70
	s_delay_alu instid0(VALU_DEP_2) | instskip(NEXT) | instid1(VALU_DEP_2)
	v_sub_f32_e32 v70, v70, v71
	v_fmac_f32_e32 v72, 0x32a5705f, v69
	v_cvt_i32_f32_e32 v71, v71
	s_delay_alu instid0(VALU_DEP_2) | instskip(NEXT) | instid1(VALU_DEP_1)
	v_add_f32_e32 v70, v70, v72
	v_exp_f32_e32 v70, v70
	s_delay_alu instid0(TRANS32_DEP_1) | instskip(SKIP_1) | instid1(VALU_DEP_1)
	v_ldexp_f32 v70, v70, v71
	s_wait_alu 0xfffd
	v_cndmask_b32_e32 v70, 0, v70, vcc_lo
	v_cmp_nlt_f32_e32 vcc_lo, 0x42b17218, v69
	s_wait_alu 0xfffd
	s_delay_alu instid0(VALU_DEP_2) | instskip(NEXT) | instid1(VALU_DEP_1)
	v_cndmask_b32_e32 v69, 0x7f800000, v70, vcc_lo
	v_add_f32_e32 v69, 1.0, v69
	s_delay_alu instid0(VALU_DEP_1) | instskip(NEXT) | instid1(TRANS32_DEP_1)
	v_rcp_f32_e32 v69, v69
	v_fma_f32 v69, v69, -2.0, 1.0
.LBB25_756:                             ;   in Loop: Header=BB25_9 Depth=1
	s_wait_alu 0xfffe
	s_and_not1_saveexec_b32 s3, s3
	s_cbranch_execz .LBB25_758
; %bb.757:                              ;   in Loop: Header=BB25_9 Depth=1
	v_mul_f32_e32 v69, v29, v29
	s_delay_alu instid0(VALU_DEP_1) | instskip(NEXT) | instid1(VALU_DEP_1)
	v_fmaak_f32 v70, s39, v69, 0x3ca908c9
	v_fmaak_f32 v70, v69, v70, 0xbd5c1c4e
	s_delay_alu instid0(VALU_DEP_1) | instskip(NEXT) | instid1(VALU_DEP_1)
	v_fmaak_f32 v70, v69, v70, 0x3e088382
	v_fmaak_f32 v70, v69, v70, 0xbeaaaa99
	s_delay_alu instid0(VALU_DEP_1) | instskip(NEXT) | instid1(VALU_DEP_1)
	v_mul_f32_e64 v70, |v29|, v70
	v_fma_f32 v69, v69, v70, |v29|
.LBB25_758:                             ;   in Loop: Header=BB25_9 Depth=1
	s_wait_alu 0xfffe
	s_or_b32 exec_lo, exec_lo, s3
	v_cmp_ngt_f32_e64 s3, 0x3f200000, |v30|
                                        ; implicit-def: $vgpr70
	s_and_saveexec_b32 s44, s3
	s_wait_alu 0xfffe
	s_xor_b32 s3, exec_lo, s44
	s_cbranch_execz .LBB25_760
; %bb.759:                              ;   in Loop: Header=BB25_9 Depth=1
	v_add_f32_e64 v70, |v30|, |v30|
	s_delay_alu instid0(VALU_DEP_1) | instskip(SKIP_1) | instid1(VALU_DEP_2)
	v_mul_f32_e32 v71, 0x3fb8aa3b, v70
	v_cmp_ngt_f32_e32 vcc_lo, 0xc2ce8ed0, v70
	v_rndne_f32_e32 v72, v71
	v_fma_f32 v73, 0x3fb8aa3b, v70, -v71
	s_delay_alu instid0(VALU_DEP_2) | instskip(NEXT) | instid1(VALU_DEP_2)
	v_sub_f32_e32 v71, v71, v72
	v_fmac_f32_e32 v73, 0x32a5705f, v70
	v_cvt_i32_f32_e32 v72, v72
	s_delay_alu instid0(VALU_DEP_2) | instskip(NEXT) | instid1(VALU_DEP_1)
	v_add_f32_e32 v71, v71, v73
	v_exp_f32_e32 v71, v71
	s_delay_alu instid0(TRANS32_DEP_1) | instskip(SKIP_1) | instid1(VALU_DEP_1)
	v_ldexp_f32 v71, v71, v72
	s_wait_alu 0xfffd
	v_cndmask_b32_e32 v71, 0, v71, vcc_lo
	v_cmp_nlt_f32_e32 vcc_lo, 0x42b17218, v70
	s_wait_alu 0xfffd
	s_delay_alu instid0(VALU_DEP_2) | instskip(NEXT) | instid1(VALU_DEP_1)
	v_cndmask_b32_e32 v70, 0x7f800000, v71, vcc_lo
	v_add_f32_e32 v70, 1.0, v70
	s_delay_alu instid0(VALU_DEP_1) | instskip(NEXT) | instid1(TRANS32_DEP_1)
	v_rcp_f32_e32 v70, v70
	v_fma_f32 v70, v70, -2.0, 1.0
.LBB25_760:                             ;   in Loop: Header=BB25_9 Depth=1
	s_wait_alu 0xfffe
	s_and_not1_saveexec_b32 s3, s3
	s_cbranch_execz .LBB25_762
; %bb.761:                              ;   in Loop: Header=BB25_9 Depth=1
	v_mul_f32_e32 v70, v30, v30
	s_delay_alu instid0(VALU_DEP_1) | instskip(NEXT) | instid1(VALU_DEP_1)
	v_fmaak_f32 v71, s39, v70, 0x3ca908c9
	v_fmaak_f32 v71, v70, v71, 0xbd5c1c4e
	s_delay_alu instid0(VALU_DEP_1) | instskip(NEXT) | instid1(VALU_DEP_1)
	v_fmaak_f32 v71, v70, v71, 0x3e088382
	v_fmaak_f32 v71, v70, v71, 0xbeaaaa99
	s_delay_alu instid0(VALU_DEP_1) | instskip(NEXT) | instid1(VALU_DEP_1)
	v_mul_f32_e64 v71, |v30|, v71
	v_fma_f32 v70, v70, v71, |v30|
.LBB25_762:                             ;   in Loop: Header=BB25_9 Depth=1
	s_wait_alu 0xfffe
	s_or_b32 exec_lo, exec_lo, s3
	v_cmp_ngt_f32_e64 s3, 0x3f200000, |v31|
                                        ; implicit-def: $vgpr71
	s_and_saveexec_b32 s44, s3
	s_wait_alu 0xfffe
	s_xor_b32 s3, exec_lo, s44
	s_cbranch_execz .LBB25_764
; %bb.763:                              ;   in Loop: Header=BB25_9 Depth=1
	v_add_f32_e64 v71, |v31|, |v31|
	s_delay_alu instid0(VALU_DEP_1) | instskip(SKIP_1) | instid1(VALU_DEP_2)
	v_mul_f32_e32 v72, 0x3fb8aa3b, v71
	v_cmp_ngt_f32_e32 vcc_lo, 0xc2ce8ed0, v71
	v_rndne_f32_e32 v73, v72
	v_fma_f32 v74, 0x3fb8aa3b, v71, -v72
	s_delay_alu instid0(VALU_DEP_2) | instskip(NEXT) | instid1(VALU_DEP_2)
	v_sub_f32_e32 v72, v72, v73
	v_fmac_f32_e32 v74, 0x32a5705f, v71
	v_cvt_i32_f32_e32 v73, v73
	s_delay_alu instid0(VALU_DEP_2) | instskip(NEXT) | instid1(VALU_DEP_1)
	v_add_f32_e32 v72, v72, v74
	v_exp_f32_e32 v72, v72
	s_delay_alu instid0(TRANS32_DEP_1) | instskip(SKIP_1) | instid1(VALU_DEP_1)
	v_ldexp_f32 v72, v72, v73
	s_wait_alu 0xfffd
	v_cndmask_b32_e32 v72, 0, v72, vcc_lo
	v_cmp_nlt_f32_e32 vcc_lo, 0x42b17218, v71
	s_wait_alu 0xfffd
	s_delay_alu instid0(VALU_DEP_2) | instskip(NEXT) | instid1(VALU_DEP_1)
	v_cndmask_b32_e32 v71, 0x7f800000, v72, vcc_lo
	v_add_f32_e32 v71, 1.0, v71
	s_delay_alu instid0(VALU_DEP_1) | instskip(NEXT) | instid1(TRANS32_DEP_1)
	v_rcp_f32_e32 v71, v71
	v_fma_f32 v71, v71, -2.0, 1.0
.LBB25_764:                             ;   in Loop: Header=BB25_9 Depth=1
	s_wait_alu 0xfffe
	s_and_not1_saveexec_b32 s3, s3
	s_cbranch_execz .LBB25_766
; %bb.765:                              ;   in Loop: Header=BB25_9 Depth=1
	v_mul_f32_e32 v71, v31, v31
	s_delay_alu instid0(VALU_DEP_1) | instskip(NEXT) | instid1(VALU_DEP_1)
	v_fmaak_f32 v72, s39, v71, 0x3ca908c9
	v_fmaak_f32 v72, v71, v72, 0xbd5c1c4e
	s_delay_alu instid0(VALU_DEP_1) | instskip(NEXT) | instid1(VALU_DEP_1)
	v_fmaak_f32 v72, v71, v72, 0x3e088382
	v_fmaak_f32 v72, v71, v72, 0xbeaaaa99
	s_delay_alu instid0(VALU_DEP_1) | instskip(NEXT) | instid1(VALU_DEP_1)
	v_mul_f32_e64 v72, |v31|, v72
	v_fma_f32 v71, v71, v72, |v31|
.LBB25_766:                             ;   in Loop: Header=BB25_9 Depth=1
	s_wait_alu 0xfffe
	s_or_b32 exec_lo, exec_lo, s3
	v_bfi_b32 v72, 0x7fffffff, v176, v0
	v_add_nc_u32_e32 v0, 0x4400, v202
	v_bfi_b32 v73, 0x7fffffff, v178, v1
	v_bfi_b32 v74, 0x7fffffff, v179, v2
	v_cmp_gt_i32_e32 vcc_lo, 32, v186
	v_add_nc_u32_e32 v2, 0x4400, v197
	ds_load_2addr_b32 v[0:1], v0 offset1:1
	v_bfi_b32 v75, 0x7fffffff, v180, v3
	v_bfi_b32 v24, 0x7fffffff, v64, v24
	ds_load_2addr_b32 v[2:3], v2 offset1:1
	ds_load_b32 v64, v194 offset:17408
	v_bfi_b32 v7, 0x7fffffff, v184, v7
	v_bfi_b32 v25, 0x7fffffff, v65, v25
	;; [unrolled: 1-line block ×15, first 2 shown]
	s_wait_dscnt 0x2
	v_fma_mix_f32 v90, s7, v72, v0 op_sel_hi:[0,0,1]
	v_fma_mix_f32 v91, s7, v73, v0 op_sel:[0,0,1] op_sel_hi:[0,0,1]
	v_fma_mix_f32 v92, s7, v74, v1 op_sel_hi:[0,0,1]
	v_fma_mix_f32 v93, s7, v75, v1 op_sel:[0,0,1] op_sel_hi:[0,0,1]
	s_wait_dscnt 0x0
	v_fma_mix_f32 v94, s7, v7, v64 op_sel:[0,0,1] op_sel_hi:[0,0,1]
	v_dual_add_f32 v0, 0x40051340, v90 :: v_dual_add_f32 v1, 0x40051340, v91
	v_fma_mix_f32 v95, s7, v6, v64 op_sel_hi:[0,0,1]
	v_add_f32_e32 v65, 0x40051340, v93
	v_fma_mix_f32 v83, s7, v9, v2 op_sel:[0,0,1] op_sel_hi:[0,0,1]
	v_fma_mix_f32 v82, s7, v8, v2 op_sel_hi:[0,0,1]
	v_max3_num_f32 v0, v250, v0, v1
	v_add_f32_e32 v1, 0x40051340, v92
	v_fma_mix_f32 v85, s7, v11, v3 op_sel:[0,0,1] op_sel_hi:[0,0,1]
	v_fma_mix_f32 v84, s7, v10, v3 op_sel_hi:[0,0,1]
	v_add_nc_u32_e32 v6, 0x4400, v203
	v_bfi_b32 v19, 0x7fffffff, v131, v19
	v_max3_num_f32 v0, v0, v1, v65
	ds_load_b32 v1, v202 offset:17416
	v_bfi_b32 v18, 0x7fffffff, v130, v18
	v_bfi_b32 v21, 0x7fffffff, v133, v21
	;; [unrolled: 1-line block ×11, first 2 shown]
	s_mul_u64 s[4:5], s[4:5], s[26:27]
	v_add_f32_e32 v2, 0x40051340, v83
	s_wait_alu 0xfffe
	s_lshl_b64 s[4:5], s[4:5], 2
	s_cmp_lg_u64 s[74:75], 0
	s_wait_alu 0xfffe
	s_add_nc_u64 s[4:5], s[76:77], s[4:5]
	s_wait_dscnt 0x0
	v_fma_mix_f32 v97, s7, v4, v1 op_sel_hi:[0,0,1]
	v_fma_mix_f32 v96, s7, v5, v1 op_sel:[0,0,1] op_sel_hi:[0,0,1]
	s_delay_alu instid0(VALU_DEP_1) | instskip(NEXT) | instid1(VALU_DEP_1)
	v_dual_add_f32 v1, 0x40051340, v97 :: v_dual_add_f32 v4, 0x40051340, v96
	v_max3_num_f32 v0, v0, v1, v4
	v_dual_add_f32 v1, 0x40051340, v95 :: v_dual_add_f32 v4, 0x40051340, v94
	s_delay_alu instid0(VALU_DEP_1) | instskip(SKIP_2) | instid1(VALU_DEP_2)
	v_max3_num_f32 v0, v0, v1, v4
	v_add_f32_e32 v1, 0x40051340, v82
	v_add_nc_u32_e32 v4, 0x4400, v198
	v_max3_num_f32 v0, v0, v1, v2
	v_dual_add_f32 v1, 0x40051340, v84 :: v_dual_add_f32 v2, 0x40051340, v85
	s_delay_alu instid0(VALU_DEP_1)
	v_max3_num_f32 v8, v0, v1, v2
	v_add_nc_u32_e32 v0, 0x4400, v196
	v_add_nc_u32_e32 v2, 0x4400, v199
	ds_load_2addr_b32 v[0:1], v0 offset1:1
	ds_load_2addr_b32 v[2:3], v2 offset1:1
	;; [unrolled: 1-line block ×4, first 2 shown]
	s_wait_dscnt 0x2
	v_fma_mix_f32 v75, s7, v17, v2 op_sel:[0,0,1] op_sel_hi:[0,0,1]
	v_fma_mix_f32 v89, s7, v12, v0 op_sel_hi:[0,0,1]
	v_fma_mix_f32 v88, s7, v13, v0 op_sel:[0,0,1] op_sel_hi:[0,0,1]
	v_fma_mix_f32 v87, s7, v14, v1 op_sel_hi:[0,0,1]
	;; [unrolled: 2-line block ×3, first 2 shown]
	s_delay_alu instid0(VALU_DEP_4)
	v_dual_add_f32 v0, 0x40051340, v89 :: v_dual_add_f32 v1, 0x40051340, v88
	v_add_f32_e32 v2, 0x40051340, v75
	v_fma_mix_f32 v77, s7, v19, v3 op_sel:[0,0,1] op_sel_hi:[0,0,1]
	v_fma_mix_f32 v76, s7, v18, v3 op_sel_hi:[0,0,1]
	s_wait_dscnt 0x1
	v_fma_mix_f32 v80, s7, v21, v4 op_sel:[0,0,1] op_sel_hi:[0,0,1]
	v_max3_num_f32 v0, v8, v0, v1
	v_dual_add_f32 v1, 0x40051340, v87 :: v_dual_add_f32 v8, 0x40051340, v86
	v_fma_mix_f32 v81, s7, v20, v4 op_sel_hi:[0,0,1]
	v_fma_mix_f32 v78, s7, v23, v5 op_sel:[0,0,1] op_sel_hi:[0,0,1]
	v_fma_mix_f32 v79, s7, v22, v5 op_sel_hi:[0,0,1]
	s_wait_dscnt 0x0
	v_fma_mix_f32 v67, s7, v25, v6 op_sel:[0,0,1] op_sel_hi:[0,0,1]
	v_max3_num_f32 v0, v0, v1, v8
	v_add_f32_e32 v1, 0x40051340, v74
	v_fma_mix_f32 v66, s7, v24, v6 op_sel_hi:[0,0,1]
	v_fma_mix_f32 v69, s7, v27, v7 op_sel:[0,0,1] op_sel_hi:[0,0,1]
	v_fma_mix_f32 v68, s7, v26, v7 op_sel_hi:[0,0,1]
	s_delay_alu instid0(VALU_DEP_4) | instskip(SKIP_1) | instid1(VALU_DEP_1)
	v_max3_num_f32 v0, v0, v1, v2
	v_dual_add_f32 v1, 0x40051340, v76 :: v_dual_add_f32 v2, 0x40051340, v77
	v_max3_num_f32 v0, v0, v1, v2
	v_dual_add_f32 v1, 0x40051340, v81 :: v_dual_add_f32 v2, 0x40051340, v80
	s_delay_alu instid0(VALU_DEP_1) | instskip(SKIP_1) | instid1(VALU_DEP_1)
	v_max3_num_f32 v0, v0, v1, v2
	v_dual_add_f32 v1, 0x40051340, v79 :: v_dual_add_f32 v2, 0x40051340, v78
	v_max3_num_f32 v0, v0, v1, v2
	v_dual_add_f32 v1, 0x40051340, v66 :: v_dual_add_f32 v2, 0x40051340, v67
	s_delay_alu instid0(VALU_DEP_1) | instskip(SKIP_1) | instid1(VALU_DEP_1)
	v_max3_num_f32 v0, v0, v1, v2
	v_dual_add_f32 v1, 0x40051340, v68 :: v_dual_add_f32 v2, 0x40051340, v69
	v_max3_num_f32 v2, v0, v1, v2
	v_add_nc_u32_e32 v0, 0x4400, v204
	ds_load_2addr_b32 v[0:1], v0 offset1:1
	s_wait_dscnt 0x0
	v_fma_mix_f32 v73, s7, v28, v0 op_sel_hi:[0,0,1]
	v_fma_mix_f32 v72, s7, v29, v0 op_sel:[0,0,1] op_sel_hi:[0,0,1]
	v_fma_mix_f32 v71, s7, v30, v1 op_sel_hi:[0,0,1]
	v_fma_mix_f32 v70, s7, v31, v1 op_sel:[0,0,1] op_sel_hi:[0,0,1]
	s_delay_alu instid0(VALU_DEP_3) | instskip(NEXT) | instid1(VALU_DEP_1)
	v_dual_add_f32 v0, 0x40051340, v73 :: v_dual_add_f32 v1, 0x40051340, v72
	v_max3_num_f32 v0, v2, v0, v1
	s_delay_alu instid0(VALU_DEP_3) | instskip(NEXT) | instid1(VALU_DEP_1)
	v_dual_add_f32 v1, 0x40051340, v71 :: v_dual_add_f32 v2, 0x40051340, v70
	v_max3_num_f32 v0, v0, v1, v2
	v_mbcnt_lo_u32_b32 v1, -1, 0
	s_wait_alu 0xfffd
	s_delay_alu instid0(VALU_DEP_1) | instskip(NEXT) | instid1(VALU_DEP_1)
	v_cndmask_b32_e32 v1, v1, v186, vcc_lo
	v_lshlrev_b32_e32 v65, 2, v1
	ds_bpermute_b32 v1, v65, v0
	s_wait_dscnt 0x0
	v_max_num_f32_e32 v1, v1, v1
	s_delay_alu instid0(VALU_DEP_1) | instskip(NEXT) | instid1(VALU_DEP_1)
	v_max_num_f32_e32 v64, v0, v1
	v_sub_f32_e32 v0, v250, v64
	s_delay_alu instid0(VALU_DEP_1) | instskip(SKIP_1) | instid1(VALU_DEP_2)
	v_mul_f32_e32 v1, 0x3fb8aa3b, v0
	v_cmp_ngt_f32_e32 vcc_lo, 0xc2ce8ed0, v0
	v_fma_f32 v2, 0x3fb8aa3b, v0, -v1
	v_rndne_f32_e32 v3, v1
	s_delay_alu instid0(VALU_DEP_1) | instskip(NEXT) | instid1(VALU_DEP_1)
	v_dual_fmac_f32 v2, 0x32a5705f, v0 :: v_dual_sub_f32 v1, v1, v3
	v_add_f32_e32 v1, v1, v2
	v_cvt_i32_f32_e32 v2, v3
	s_delay_alu instid0(VALU_DEP_2) | instskip(NEXT) | instid1(TRANS32_DEP_1)
	v_exp_f32_e32 v1, v1
	v_ldexp_f32 v1, v1, v2
	s_wait_alu 0xfffd
	s_delay_alu instid0(VALU_DEP_1) | instskip(SKIP_2) | instid1(VALU_DEP_2)
	v_cndmask_b32_e32 v1, 0, v1, vcc_lo
	v_cmp_nlt_f32_e32 vcc_lo, 0x42b17218, v0
	s_wait_alu 0xfffd
	v_cndmask_b32_e32 v1, 0x7f800000, v1, vcc_lo
	v_cmp_le_f32_e32 vcc_lo, 0xc1a00000, v0
	s_wait_alu 0xfffd
	s_delay_alu instid0(VALU_DEP_2) | instskip(NEXT) | instid1(VALU_DEP_1)
	v_cndmask_b32_e32 v98, 0, v1, vcc_lo
	v_cvt_f16_f32_e32 v0, v98
	s_delay_alu instid0(VALU_DEP_1) | instskip(NEXT) | instid1(VALU_DEP_1)
	v_and_b32_e32 v0, 0xffff, v0
	v_mul_u32_u24_e32 v31, 0x10001, v0
	s_delay_alu instid0(VALU_DEP_1)
	v_pk_mul_f16 v28, v32, v31
	s_wait_alu 0xfffe
	v_add_co_u32 v32, vcc_lo, s4, v208
	v_pk_mul_f16 v29, v33, v31
	s_wait_alu 0xfffd
	v_add_co_ci_u32_e64 v33, null, s5, v209, vcc_lo
	s_delay_alu instid0(VALU_DEP_3) | instskip(SKIP_2) | instid1(VALU_DEP_3)
	v_add_co_u32 v32, vcc_lo, v32, v240
	v_pk_mul_f16 v30, v34, v31
	s_wait_alu 0xfffd
	v_add_co_ci_u32_e64 v33, null, 0, v33, vcc_lo
	v_add_co_u32 v34, vcc_lo, s4, v210
	v_pk_mul_f16 v0, v60, v31
	v_pk_mul_f16 v1, v61, v31
	;; [unrolled: 1-line block ×29, first 2 shown]
	s_wait_alu 0xfffd
	v_add_co_ci_u32_e64 v35, null, s5, v211, vcc_lo
	v_add_co_u32 v36, vcc_lo, v34, v240
	v_add_nc_u32_e32 v63, 0x400, v238
	s_wait_alu 0xfffd
	s_delay_alu instid0(VALU_DEP_3)
	v_add_co_ci_u32_e64 v37, null, 0, v35, vcc_lo
	s_clause 0x1
	global_load_b128 v[32:35], v[32:33], off
	global_load_b128 v[36:39], v[36:37], off
	s_wait_loadcnt 0x1
	ds_store_b128 v201, v[32:35]
	s_wait_loadcnt 0x0
	ds_store_b128 v188, v[36:39]
	v_add_co_u32 v32, vcc_lo, s4, v229
	s_wait_alu 0xfffd
	v_add_co_ci_u32_e64 v33, null, s5, v230, vcc_lo
	s_delay_alu instid0(VALU_DEP_2) | instskip(SKIP_1) | instid1(VALU_DEP_2)
	v_add_co_u32 v32, vcc_lo, v32, v240
	s_wait_alu 0xfffd
	v_add_co_ci_u32_e64 v33, null, 0, v33, vcc_lo
	v_add_co_u32 v34, vcc_lo, s4, v231
	s_wait_alu 0xfffd
	v_add_co_ci_u32_e64 v35, null, s5, v232, vcc_lo
	s_delay_alu instid0(VALU_DEP_2) | instskip(SKIP_1) | instid1(VALU_DEP_2)
	v_add_co_u32 v36, vcc_lo, v34, v240
	s_wait_alu 0xfffd
	v_add_co_ci_u32_e64 v37, null, 0, v35, vcc_lo
	s_clause 0x1
	global_load_b128 v[32:35], v[32:33], off
	global_load_b128 v[36:39], v[36:37], off
	s_wait_loadcnt 0x1
	ds_store_b128 v189, v[32:35]
	s_wait_loadcnt 0x0
	ds_store_b128 v191, v[36:39]
	v_add_co_u32 v32, vcc_lo, s4, v233
	s_wait_alu 0xfffd
	v_add_co_ci_u32_e64 v33, null, s5, v234, vcc_lo
	s_delay_alu instid0(VALU_DEP_2) | instskip(SKIP_1) | instid1(VALU_DEP_2)
	v_add_co_u32 v32, vcc_lo, v32, v240
	s_wait_alu 0xfffd
	v_add_co_ci_u32_e64 v33, null, 0, v33, vcc_lo
	v_add_co_u32 v34, vcc_lo, s4, v235
	s_wait_alu 0xfffd
	v_add_co_ci_u32_e64 v35, null, s5, v236, vcc_lo
	s_delay_alu instid0(VALU_DEP_2) | instskip(SKIP_1) | instid1(VALU_DEP_2)
	v_add_co_u32 v36, vcc_lo, v34, v240
	s_wait_alu 0xfffd
	;; [unrolled: 21-line block ×3, first 2 shown]
	v_add_co_ci_u32_e64 v37, null, 0, v35, vcc_lo
	s_clause 0x1
	global_load_b128 v[32:35], v[32:33], off
	global_load_b128 v[36:39], v[36:37], off
	s_wait_loadcnt 0x1
	ds_store_b128 v192, v[32:35]
	s_wait_loadcnt 0x0
	ds_store_b128 v195, v[36:39]
	v_sub_f32_e32 v32, v97, v64
	s_wait_dscnt 0x0
	s_barrier_signal -1
	s_barrier_wait -1
	global_inv scope:SCOPE_SE
	v_mul_f32_e32 v33, 0x3fb8aa3b, v32
	v_cmp_ngt_f32_e64 s5, 0xc2ce8ed0, v32
	ds_load_2addr_b32 v[48:49], v63 offset0:16 offset1:32
	ds_load_2addr_b32 v[51:52], v239 offset1:16
	ds_load_2addr_b32 v[53:54], v241 offset1:16
	ds_load_2addr_b32 v[55:56], v63 offset0:84 offset1:100
	ds_load_2addr_b32 v[57:58], v238 offset0:136 offset1:152
	;; [unrolled: 1-line block ×3, first 2 shown]
	v_fma_f32 v34, 0x3fb8aa3b, v32, -v33
	v_rndne_f32_e32 v35, v33
	s_delay_alu instid0(VALU_DEP_1) | instskip(SKIP_1) | instid1(VALU_DEP_2)
	v_dual_fmac_f32 v34, 0x32a5705f, v32 :: v_dual_sub_f32 v33, v33, v35
	v_cvt_i32_f32_e32 v35, v35
	v_dual_add_f32 v33, v33, v34 :: v_dual_sub_f32 v34, v96, v64
	s_delay_alu instid0(VALU_DEP_1) | instskip(NEXT) | instid1(VALU_DEP_1)
	v_exp_f32_e32 v33, v33
	v_mul_f32_e32 v36, 0x3fb8aa3b, v34
	s_wait_dscnt 0x2
	v_perm_b32 v50, v56, v49, 0x5040100
	s_delay_alu instid0(VALU_DEP_2) | instskip(SKIP_1) | instid1(TRANS32_DEP_1)
	v_fma_f32 v37, 0x3fb8aa3b, v34, -v36
	v_rndne_f32_e32 v38, v36
	v_ldexp_f32 v33, v33, v35
	s_delay_alu instid0(VALU_DEP_3) | instskip(NEXT) | instid1(VALU_DEP_3)
	v_fmac_f32_e32 v37, 0x32a5705f, v34
	v_sub_f32_e32 v36, v36, v38
	s_wait_alu 0xf1ff
	s_delay_alu instid0(VALU_DEP_3) | instskip(SKIP_1) | instid1(VALU_DEP_3)
	v_cndmask_b32_e64 v33, 0, v33, s5
	v_cmp_nlt_f32_e64 s5, 0x42b17218, v32
	v_dual_add_f32 v36, v36, v37 :: v_dual_sub_f32 v37, v95, v64
	v_add_nc_u32_e32 v95, 0x1000, v238
	s_delay_alu instid0(VALU_DEP_2) | instskip(SKIP_2) | instid1(VALU_DEP_3)
	v_mul_f32_e32 v39, 0x3fb8aa3b, v37
	v_cmp_ngt_f32_e32 vcc_lo, 0xc2ce8ed0, v34
	v_cmp_ngt_f32_e64 s3, 0xc2ce8ed0, v37
	v_fma_f32 v40, 0x3fb8aa3b, v37, -v39
	v_rndne_f32_e32 v41, v39
	s_delay_alu instid0(VALU_DEP_2) | instskip(NEXT) | instid1(VALU_DEP_2)
	v_fmac_f32_e32 v40, 0x32a5705f, v37
	v_sub_f32_e32 v39, v39, v41
	s_delay_alu instid0(VALU_DEP_1)
	v_add_f32_e32 v39, v39, v40
	v_sub_f32_e32 v40, v94, v64
	v_exp_f32_e32 v35, v36
	v_cvt_i32_f32_e32 v36, v38
	v_cvt_i32_f32_e32 v38, v41
	v_add_nc_u32_e32 v94, 0x1000, v241
	v_mul_f32_e32 v42, 0x3fb8aa3b, v40
	v_cmp_ngt_f32_e64 s4, 0xc2ce8ed0, v40
	s_delay_alu instid0(VALU_DEP_2) | instskip(SKIP_1) | instid1(TRANS32_DEP_1)
	v_fma_f32 v43, 0x3fb8aa3b, v40, -v42
	v_rndne_f32_e32 v44, v42
	v_ldexp_f32 v35, v35, v36
	v_exp_f32_e32 v36, v39
	s_delay_alu instid0(VALU_DEP_3) | instskip(NEXT) | instid1(VALU_DEP_3)
	v_fmac_f32_e32 v43, 0x32a5705f, v40
	v_cvt_i32_f32_e32 v39, v44
	s_wait_alu 0xfffd
	v_cndmask_b32_e32 v35, 0, v35, vcc_lo
	v_cmp_nlt_f32_e32 vcc_lo, 0x42b17218, v34
	v_sub_f32_e32 v42, v42, v44
	s_wait_alu 0xf1ff
	v_cndmask_b32_e64 v34, 0x7f800000, v33, s5
	s_wait_alu 0xfffd
	v_cndmask_b32_e32 v35, 0x7f800000, v35, vcc_lo
	v_add_f32_e32 v42, v42, v43
	v_ldexp_f32 v36, v36, v38
	s_delay_alu instid0(VALU_DEP_2) | instskip(NEXT) | instid1(VALU_DEP_1)
	v_exp_f32_e32 v38, v42
	v_cndmask_b32_e64 v36, 0, v36, s3
	v_cmp_nlt_f32_e64 s3, 0x42b17218, v37
	s_wait_alu 0xf1ff
	s_delay_alu instid0(VALU_DEP_1) | instskip(SKIP_1) | instid1(TRANS32_DEP_1)
	v_cndmask_b32_e64 v32, 0x7f800000, v36, s3
	v_cvt_f16_f32_e32 v36, v34
	v_ldexp_f32 v38, v38, v39
	v_cvt_f16_f32_e32 v39, v35
	s_delay_alu instid0(VALU_DEP_2) | instskip(SKIP_1) | instid1(VALU_DEP_3)
	v_cndmask_b32_e64 v37, 0, v38, s4
	v_cmp_nlt_f32_e64 s4, 0x42b17218, v40
	v_pack_b32_f16 v42, v36, v39
	v_sub_f32_e32 v36, v93, v64
	s_wait_alu 0xf1ff
	s_delay_alu instid0(VALU_DEP_3) | instskip(SKIP_1) | instid1(VALU_DEP_2)
	v_cndmask_b32_e64 v33, 0x7f800000, v37, s4
	v_cvt_f16_f32_e32 v37, v32
	v_cvt_f16_f32_e32 v38, v33
	s_delay_alu instid0(VALU_DEP_1) | instskip(SKIP_1) | instid1(VALU_DEP_1)
	v_pack_b32_f16 v43, v37, v38
	v_mul_f32_e32 v37, 0x3fb8aa3b, v36
	v_fma_f32 v38, 0x3fb8aa3b, v36, -v37
	v_rndne_f32_e32 v39, v37
	s_delay_alu instid0(VALU_DEP_1) | instskip(SKIP_1) | instid1(VALU_DEP_2)
	v_dual_fmac_f32 v38, 0x32a5705f, v36 :: v_dual_sub_f32 v37, v37, v39
	v_cvt_i32_f32_e32 v39, v39
	v_dual_add_f32 v37, v37, v38 :: v_dual_sub_f32 v38, v92, v64
	s_delay_alu instid0(VALU_DEP_1) | instskip(NEXT) | instid1(VALU_DEP_1)
	v_exp_f32_e32 v37, v37
	v_mul_f32_e32 v40, 0x3fb8aa3b, v38
	s_delay_alu instid0(VALU_DEP_1) | instskip(SKIP_1) | instid1(TRANS32_DEP_1)
	v_fma_f32 v41, 0x3fb8aa3b, v38, -v40
	v_rndne_f32_e32 v44, v40
	v_ldexp_f32 v37, v37, v39
	s_delay_alu instid0(VALU_DEP_2) | instskip(SKIP_1) | instid1(VALU_DEP_2)
	v_dual_fmac_f32 v41, 0x32a5705f, v38 :: v_dual_sub_f32 v40, v40, v44
	v_cmp_ngt_f32_e32 vcc_lo, 0xc2ce8ed0, v36
	v_add_f32_e32 v40, v40, v41
	s_wait_alu 0xfffd
	v_cndmask_b32_e32 v37, 0, v37, vcc_lo
	v_cmp_nlt_f32_e32 vcc_lo, 0x42b17218, v36
	s_delay_alu instid0(VALU_DEP_3)
	v_exp_f32_e32 v39, v40
	v_cvt_i32_f32_e32 v40, v44
	s_wait_alu 0xfffd
	v_cndmask_b32_e32 v37, 0x7f800000, v37, vcc_lo
	v_cmp_ngt_f32_e64 s3, 0xc2ce8ed0, v38
	s_delay_alu instid0(TRANS32_DEP_1) | instid1(VALU_DEP_3)
	v_ldexp_f32 v39, v39, v40
	s_wait_alu 0xf1ff
	s_delay_alu instid0(VALU_DEP_1) | instskip(SKIP_3) | instid1(VALU_DEP_2)
	v_cndmask_b32_e64 v36, 0, v39, s3
	v_cmp_nlt_f32_e64 s3, 0x42b17218, v38
	v_cvt_f16_f32_e32 v39, v37
	s_wait_alu 0xf1ff
	v_cndmask_b32_e64 v36, 0x7f800000, v36, s3
	s_delay_alu instid0(VALU_DEP_1) | instskip(NEXT) | instid1(VALU_DEP_1)
	v_cvt_f16_f32_e32 v38, v36
	v_pack_b32_f16 v41, v38, v39
	v_sub_f32_e32 v38, v91, v64
	s_delay_alu instid0(VALU_DEP_1) | instskip(NEXT) | instid1(VALU_DEP_1)
	v_mul_f32_e32 v39, 0x3fb8aa3b, v38
	v_fma_f32 v40, 0x3fb8aa3b, v38, -v39
	v_rndne_f32_e32 v44, v39
	s_delay_alu instid0(VALU_DEP_1) | instskip(SKIP_1) | instid1(VALU_DEP_2)
	v_dual_fmac_f32 v40, 0x32a5705f, v38 :: v_dual_sub_f32 v39, v39, v44
	v_cvt_i32_f32_e32 v44, v44
	v_add_f32_e32 v39, v39, v40
	v_sub_f32_e32 v40, v90, v64
	ds_load_2addr_b32 v[61:62], v238 offset1:16
	ds_load_2addr_b32 v[90:91], v238 offset0:68 offset1:84
	v_exp_f32_e32 v39, v39
	v_mul_f32_e32 v45, 0x3fb8aa3b, v40
	s_delay_alu instid0(VALU_DEP_1) | instskip(SKIP_1) | instid1(TRANS32_DEP_1)
	v_fma_f32 v46, 0x3fb8aa3b, v40, -v45
	v_rndne_f32_e32 v47, v45
	v_ldexp_f32 v39, v39, v44
	s_delay_alu instid0(VALU_DEP_2) | instskip(SKIP_1) | instid1(VALU_DEP_2)
	v_dual_fmac_f32 v46, 0x32a5705f, v40 :: v_dual_sub_f32 v45, v45, v47
	v_cmp_ngt_f32_e32 vcc_lo, 0xc2ce8ed0, v38
	v_add_f32_e32 v45, v45, v46
	v_cmp_ngt_f32_e64 s3, 0xc2ce8ed0, v40
	s_wait_alu 0xfffd
	v_cndmask_b32_e32 v39, 0, v39, vcc_lo
	v_cmp_nlt_f32_e32 vcc_lo, 0x42b17218, v38
	v_perm_b32 v46, v55, v48, 0x5040100
	v_exp_f32_e32 v44, v45
	v_cvt_i32_f32_e32 v45, v47
	v_perm_b32 v47, v53, v51, 0x5040100
	s_wait_alu 0xfffd
	v_cndmask_b32_e32 v39, 0x7f800000, v39, vcc_lo
	s_delay_alu instid0(TRANS32_DEP_1) | instid1(VALU_DEP_3)
	v_ldexp_f32 v44, v44, v45
	s_wait_dscnt 0x2
	v_perm_b32 v45, v59, v57, 0x5040100
	s_wait_alu 0xf1ff
	s_delay_alu instid0(VALU_DEP_2) | instskip(SKIP_3) | instid1(VALU_DEP_2)
	v_cndmask_b32_e64 v38, 0, v44, s3
	v_cmp_nlt_f32_e64 s3, 0x42b17218, v40
	v_cvt_f16_f32_e32 v44, v39
	s_wait_alu 0xf1ff
	v_cndmask_b32_e64 v38, 0x7f800000, v38, s3
	s_delay_alu instid0(VALU_DEP_1) | instskip(NEXT) | instid1(VALU_DEP_1)
	v_cvt_f16_f32_e32 v40, v38
	v_pack_b32_f16 v40, v40, v44
	s_wait_dscnt 0x0
	v_perm_b32 v44, v90, v61, 0x5040100
	s_delay_alu instid0(VALU_DEP_1)
	v_wmma_f16_16x16x16_f16 v[0:3], v[44:47], v[40:43], v[0:3]
	v_perm_b32 v44, v90, v61, 0x7060302
	v_perm_b32 v45, v59, v57, 0x7060302
	;; [unrolled: 1-line block ×6, first 2 shown]
	s_delay_alu instid0(VALU_DEP_3)
	v_wmma_f16_16x16x16_f16 v[8:11], v[44:47], v[40:43], v[8:11]
	v_perm_b32 v46, v56, v49, 0x7060302
	v_perm_b32 v49, v60, v58, 0x5040100
	;; [unrolled: 1-line block ×5, first 2 shown]
	s_delay_alu instid0(VALU_DEP_4)
	v_wmma_f16_16x16x16_f16 v[4:7], v[48:51], v[40:43], v[4:7]
	ds_load_2addr_b32 v[51:52], v63 offset0:48 offset1:64
	ds_load_2addr_b32 v[54:55], v63 offset0:116 offset1:132
	;; [unrolled: 1-line block ×4, first 2 shown]
	v_wmma_f16_16x16x16_f16 v[16:19], v[44:47], v[40:43], v[16:19]
	s_wait_dscnt 0x2
	v_perm_b32 v62, v55, v52, 0x5040100
	v_perm_b32 v50, v54, v51, 0x7060302
	s_wait_dscnt 0x0
	v_perm_b32 v49, v60, v58, 0x7060302
	v_perm_b32 v53, v60, v58, 0x5040100
	v_perm_b32 v57, v61, v59, 0x7060302
	v_perm_b32 v61, v61, v59, 0x5040100
	ds_load_2addr_b32 v[59:60], v238 offset0:32 offset1:48
	ds_load_2addr_b32 v[90:91], v238 offset0:100 offset1:116
	v_perm_b32 v58, v55, v52, 0x7060302
	v_perm_b32 v54, v54, v51, 0x5040100
	s_wait_dscnt 0x0
	v_perm_b32 v48, v90, v59, 0x7060302
	v_perm_b32 v52, v90, v59, 0x5040100
	;; [unrolled: 1-line block ×4, first 2 shown]
	ds_load_2addr_b32 v[90:91], v239 offset0:32 offset1:48
	ds_load_2addr_b32 v[92:93], v241 offset0:32 offset1:48
	s_wait_dscnt 0x0
	v_perm_b32 v55, v92, v90, 0x5040100
	v_perm_b32 v51, v92, v90, 0x7060302
	;; [unrolled: 1-line block ×4, first 2 shown]
	v_add_nc_u32_e32 v93, 0x1000, v239
	v_wmma_f16_16x16x16_f16 v[12:15], v[52:55], v[40:43], v[12:15]
	v_wmma_f16_16x16x16_f16 v[24:27], v[48:51], v[40:43], v[24:27]
	;; [unrolled: 1-line block ×4, first 2 shown]
	v_sub_f32_e32 v40, v89, v64
	v_add_f32_e32 v38, v38, v39
	v_add_nc_u32_e32 v92, 0x1400, v238
	s_delay_alu instid0(VALU_DEP_3) | instskip(SKIP_1) | instid1(VALU_DEP_4)
	v_mul_f32_e32 v41, 0x3fb8aa3b, v40
	v_cmp_ngt_f32_e64 s5, 0xc2ce8ed0, v40
	v_add_f32_e32 v36, v36, v38
	s_delay_alu instid0(VALU_DEP_3) | instskip(SKIP_1) | instid1(VALU_DEP_3)
	v_fma_f32 v42, 0x3fb8aa3b, v40, -v41
	v_rndne_f32_e32 v43, v41
	v_add_f32_e32 v36, v37, v36
	s_delay_alu instid0(VALU_DEP_2) | instskip(SKIP_1) | instid1(VALU_DEP_2)
	v_dual_fmac_f32 v42, 0x32a5705f, v40 :: v_dual_sub_f32 v41, v41, v43
	v_cvt_i32_f32_e32 v43, v43
	v_dual_add_f32 v34, v34, v36 :: v_dual_add_f32 v41, v41, v42
	v_sub_f32_e32 v42, v88, v64
	s_delay_alu instid0(VALU_DEP_2) | instskip(NEXT) | instid1(VALU_DEP_3)
	v_add_f32_e32 v34, v35, v34
	v_exp_f32_e32 v41, v41
	s_delay_alu instid0(VALU_DEP_2) | instskip(SKIP_1) | instid1(VALU_DEP_3)
	v_mul_f32_e32 v44, 0x3fb8aa3b, v42
	v_cmp_ngt_f32_e32 vcc_lo, 0xc2ce8ed0, v42
	v_add_f32_e32 v32, v32, v34
	s_delay_alu instid0(VALU_DEP_3) | instskip(SKIP_1) | instid1(VALU_DEP_3)
	v_fma_f32 v45, 0x3fb8aa3b, v42, -v44
	v_rndne_f32_e32 v46, v44
	v_add_f32_e32 v32, v33, v32
	s_delay_alu instid0(TRANS32_DEP_1) | instskip(NEXT) | instid1(VALU_DEP_4)
	v_ldexp_f32 v41, v41, v43
	v_fmac_f32_e32 v45, 0x32a5705f, v42
	s_delay_alu instid0(VALU_DEP_4) | instskip(SKIP_1) | instid1(VALU_DEP_3)
	v_sub_f32_e32 v44, v44, v46
	s_wait_alu 0xf1ff
	v_cndmask_b32_e64 v41, 0, v41, s5
	v_cmp_nlt_f32_e64 s5, 0x42b17218, v40
	s_delay_alu instid0(VALU_DEP_3) | instskip(NEXT) | instid1(VALU_DEP_1)
	v_add_f32_e32 v44, v44, v45
	v_exp_f32_e32 v43, v44
	v_cvt_i32_f32_e32 v44, v46
	s_delay_alu instid0(TRANS32_DEP_1) | instid1(VALU_DEP_1)
	v_ldexp_f32 v43, v43, v44
	s_wait_alu 0xfffd
	s_delay_alu instid0(VALU_DEP_1) | instskip(SKIP_2) | instid1(VALU_DEP_3)
	v_dual_sub_f32 v44, v87, v64 :: v_dual_cndmask_b32 v43, 0, v43
	v_cmp_nlt_f32_e32 vcc_lo, 0x42b17218, v42
	v_sub_f32_e32 v42, v86, v64
	v_mul_f32_e32 v45, 0x3fb8aa3b, v44
	v_cmp_ngt_f32_e64 s3, 0xc2ce8ed0, v44
	s_wait_alu 0xfffd
	v_cndmask_b32_e32 v43, 0x7f800000, v43, vcc_lo
	v_cmp_ngt_f32_e64 s4, 0xc2ce8ed0, v42
	v_fma_f32 v46, 0x3fb8aa3b, v44, -v45
	v_rndne_f32_e32 v47, v45
	s_delay_alu instid0(VALU_DEP_1) | instskip(SKIP_1) | instid1(VALU_DEP_2)
	v_dual_fmac_f32 v46, 0x32a5705f, v44 :: v_dual_sub_f32 v45, v45, v47
	v_cvt_i32_f32_e32 v47, v47
	v_add_f32_e32 v45, v45, v46
	v_mul_f32_e32 v46, 0x3fb8aa3b, v42
	s_delay_alu instid0(VALU_DEP_1) | instskip(SKIP_1) | instid1(VALU_DEP_2)
	v_fma_f32 v48, 0x3fb8aa3b, v42, -v46
	v_rndne_f32_e32 v49, v46
	v_fmac_f32_e32 v48, 0x32a5705f, v42
	s_delay_alu instid0(VALU_DEP_2) | instskip(SKIP_1) | instid1(VALU_DEP_1)
	v_sub_f32_e32 v46, v46, v49
	v_exp_f32_e32 v45, v45
	v_add_f32_e32 v46, v46, v48
	s_delay_alu instid0(VALU_DEP_1) | instskip(NEXT) | instid1(TRANS32_DEP_2)
	v_exp_f32_e32 v46, v46
	v_ldexp_f32 v45, v45, v47
	v_cvt_i32_f32_e32 v47, v49
	s_wait_alu 0xf1ff
	s_delay_alu instid0(VALU_DEP_2)
	v_cndmask_b32_e64 v45, 0, v45, s3
	v_cmp_nlt_f32_e64 s3, 0x42b17218, v44
	s_delay_alu instid0(TRANS32_DEP_1) | instid1(VALU_DEP_3)
	v_ldexp_f32 v46, v46, v47
	v_cvt_f16_f32_e32 v47, v43
	s_wait_alu 0xf1ff
	s_delay_alu instid0(VALU_DEP_3) | instskip(NEXT) | instid1(VALU_DEP_3)
	v_cndmask_b32_e64 v40, 0x7f800000, v45, s3
	v_cndmask_b32_e64 v44, 0, v46, s4
	v_cmp_nlt_f32_e64 s4, 0x42b17218, v42
	v_cndmask_b32_e64 v42, 0x7f800000, v41, s5
	s_delay_alu instid0(VALU_DEP_4) | instskip(SKIP_1) | instid1(VALU_DEP_3)
	v_cvt_f16_f32_e32 v45, v40
	s_wait_alu 0xf1ff
	v_cndmask_b32_e64 v41, 0x7f800000, v44, s4
	s_delay_alu instid0(VALU_DEP_3) | instskip(NEXT) | instid1(VALU_DEP_2)
	v_cvt_f16_f32_e32 v44, v42
	v_cvt_f16_f32_e32 v46, v41
	s_delay_alu instid0(VALU_DEP_2) | instskip(SKIP_1) | instid1(VALU_DEP_3)
	v_pack_b32_f16 v50, v44, v47
	v_sub_f32_e32 v44, v85, v64
	v_pack_b32_f16 v51, v45, v46
	s_delay_alu instid0(VALU_DEP_2) | instskip(NEXT) | instid1(VALU_DEP_1)
	v_mul_f32_e32 v45, 0x3fb8aa3b, v44
	v_fma_f32 v46, 0x3fb8aa3b, v44, -v45
	v_rndne_f32_e32 v47, v45
	s_delay_alu instid0(VALU_DEP_1) | instskip(SKIP_1) | instid1(VALU_DEP_2)
	v_dual_fmac_f32 v46, 0x32a5705f, v44 :: v_dual_sub_f32 v45, v45, v47
	v_cvt_i32_f32_e32 v47, v47
	v_dual_add_f32 v45, v45, v46 :: v_dual_sub_f32 v46, v84, v64
	s_delay_alu instid0(VALU_DEP_1) | instskip(NEXT) | instid1(VALU_DEP_1)
	v_exp_f32_e32 v45, v45
	v_mul_f32_e32 v48, 0x3fb8aa3b, v46
	v_cmp_ngt_f32_e64 s3, 0xc2ce8ed0, v46
	s_delay_alu instid0(VALU_DEP_2) | instskip(SKIP_1) | instid1(TRANS32_DEP_1)
	v_fma_f32 v49, 0x3fb8aa3b, v46, -v48
	v_rndne_f32_e32 v52, v48
	v_ldexp_f32 v45, v45, v47
	s_delay_alu instid0(VALU_DEP_3) | instskip(SKIP_2) | instid1(VALU_DEP_3)
	v_fmac_f32_e32 v49, 0x32a5705f, v46
	v_cmp_ngt_f32_e32 vcc_lo, 0xc2ce8ed0, v44
	s_wait_alu 0xfffd
	v_cndmask_b32_e32 v45, 0, v45, vcc_lo
	v_cmp_nlt_f32_e32 vcc_lo, 0x42b17218, v44
	s_wait_alu 0xfffd
	s_delay_alu instid0(VALU_DEP_2) | instskip(NEXT) | instid1(VALU_DEP_1)
	v_dual_sub_f32 v48, v48, v52 :: v_dual_cndmask_b32 v45, 0x7f800000, v45
	v_add_f32_e32 v48, v48, v49
	s_delay_alu instid0(VALU_DEP_1)
	v_exp_f32_e32 v47, v48
	v_cvt_i32_f32_e32 v48, v52
	s_delay_alu instid0(TRANS32_DEP_1) | instid1(VALU_DEP_1)
	v_ldexp_f32 v47, v47, v48
	s_wait_alu 0xf1ff
	s_delay_alu instid0(VALU_DEP_1) | instskip(SKIP_3) | instid1(VALU_DEP_2)
	v_cndmask_b32_e64 v44, 0, v47, s3
	v_cmp_nlt_f32_e64 s3, 0x42b17218, v46
	v_cvt_f16_f32_e32 v47, v45
	s_wait_alu 0xf1ff
	v_cndmask_b32_e64 v44, 0x7f800000, v44, s3
	s_delay_alu instid0(VALU_DEP_1) | instskip(NEXT) | instid1(VALU_DEP_1)
	v_cvt_f16_f32_e32 v46, v44
	v_pack_b32_f16 v49, v46, v47
	v_sub_f32_e32 v46, v83, v64
	s_delay_alu instid0(VALU_DEP_1) | instskip(NEXT) | instid1(VALU_DEP_1)
	v_mul_f32_e32 v47, 0x3fb8aa3b, v46
	v_fma_f32 v48, 0x3fb8aa3b, v46, -v47
	v_rndne_f32_e32 v52, v47
	s_delay_alu instid0(VALU_DEP_1) | instskip(SKIP_1) | instid1(VALU_DEP_2)
	v_dual_fmac_f32 v48, 0x32a5705f, v46 :: v_dual_sub_f32 v47, v47, v52
	v_cvt_i32_f32_e32 v52, v52
	v_add_f32_e32 v47, v47, v48
	v_sub_f32_e32 v48, v82, v64
	ds_load_2addr_b32 v[56:57], v92 offset0:80 offset1:96
	ds_load_2addr_b32 v[59:60], v93 offset0:64 offset1:80
	;; [unrolled: 1-line block ×8, first 2 shown]
	v_exp_f32_e32 v47, v47
	v_mul_f32_e32 v53, 0x3fb8aa3b, v48
	s_delay_alu instid0(VALU_DEP_1) | instskip(SKIP_1) | instid1(TRANS32_DEP_1)
	v_fma_f32 v54, 0x3fb8aa3b, v48, -v53
	v_rndne_f32_e32 v55, v53
	v_ldexp_f32 v47, v47, v52
	s_delay_alu instid0(VALU_DEP_2)
	v_sub_f32_e32 v53, v53, v55
	v_cmp_ngt_f32_e32 vcc_lo, 0xc2ce8ed0, v46
	v_fmac_f32_e32 v54, 0x32a5705f, v48
	s_wait_dscnt 0x4
	v_perm_b32 v58, v83, v57, 0x5040100
	s_wait_alu 0xfffd
	v_cndmask_b32_e32 v47, 0, v47, vcc_lo
	v_add_f32_e32 v53, v53, v54
	v_cmp_ngt_f32_e64 s3, 0xc2ce8ed0, v48
	v_cmp_nlt_f32_e32 vcc_lo, 0x42b17218, v46
	v_perm_b32 v54, v82, v56, 0x5040100
	s_delay_alu instid0(VALU_DEP_4)
	v_exp_f32_e32 v52, v53
	v_cvt_i32_f32_e32 v53, v55
	s_wait_alu 0xfffd
	v_cndmask_b32_e32 v47, 0x7f800000, v47, vcc_lo
	v_perm_b32 v55, v61, v59, 0x5040100
	s_delay_alu instid0(TRANS32_DEP_1) | instid1(VALU_DEP_3)
	v_ldexp_f32 v52, v52, v53
	s_wait_dscnt 0x2
	v_perm_b32 v53, v86, v84, 0x5040100
	s_wait_alu 0xf1ff
	s_delay_alu instid0(VALU_DEP_2) | instskip(SKIP_3) | instid1(VALU_DEP_2)
	v_cndmask_b32_e64 v46, 0, v52, s3
	v_cmp_nlt_f32_e64 s3, 0x42b17218, v48
	v_cvt_f16_f32_e32 v52, v47
	s_wait_alu 0xf1ff
	v_cndmask_b32_e64 v46, 0x7f800000, v46, s3
	s_delay_alu instid0(VALU_DEP_1) | instskip(SKIP_1) | instid1(VALU_DEP_2)
	v_cvt_f16_f32_e32 v48, v46
	v_add_f32_e32 v32, v46, v32
	v_pack_b32_f16 v48, v48, v52
	s_wait_dscnt 0x0
	v_perm_b32 v52, v90, v88, 0x5040100
	s_delay_alu instid0(VALU_DEP_1)
	v_wmma_f16_16x16x16_f16 v[0:3], v[52:55], v[48:51], v[0:3]
	v_perm_b32 v52, v90, v88, 0x7060302
	v_perm_b32 v53, v86, v84, 0x7060302
	;; [unrolled: 1-line block ×6, first 2 shown]
	s_delay_alu instid0(VALU_DEP_3)
	v_wmma_f16_16x16x16_f16 v[8:11], v[52:55], v[48:51], v[8:11]
	v_perm_b32 v54, v83, v57, 0x7060302
	v_perm_b32 v57, v87, v85, 0x5040100
	;; [unrolled: 1-line block ×5, first 2 shown]
	s_delay_alu instid0(VALU_DEP_4)
	v_wmma_f16_16x16x16_f16 v[4:7], v[56:59], v[48:51], v[4:7]
	ds_load_2addr_b32 v[59:60], v92 offset0:44 offset1:60
	ds_load_2addr_b32 v[62:63], v92 offset0:112 offset1:128
	;; [unrolled: 1-line block ×4, first 2 shown]
	v_wmma_f16_16x16x16_f16 v[16:19], v[52:55], v[48:51], v[16:19]
	s_wait_dscnt 0x1
	v_perm_b32 v58, v84, v62, 0x7060302
	s_wait_dscnt 0x0
	v_perm_b32 v57, v59, v86, 0x7060302
	v_perm_b32 v62, v84, v62, 0x5040100
	v_perm_b32 v61, v59, v86, 0x5040100
	v_perm_b32 v84, v85, v63, 0x7060302
	v_perm_b32 v88, v85, v63, 0x5040100
	ds_load_2addr_b32 v[85:86], v95 offset0:96 offset1:112
	ds_load_2addr_b32 v[89:90], v95 offset0:164 offset1:180
	v_perm_b32 v83, v60, v87, 0x7060302
	v_perm_b32 v87, v60, v87, 0x5040100
	v_add_nc_u32_e32 v95, 0x2000, v238
	s_wait_dscnt 0x0
	v_perm_b32 v56, v89, v85, 0x7060302
	v_perm_b32 v60, v89, v85, 0x5040100
	;; [unrolled: 1-line block ×4, first 2 shown]
	ds_load_2addr_b32 v[89:90], v93 offset0:96 offset1:112
	ds_load_2addr_b32 v[91:92], v94 offset0:96 offset1:112
	v_add_nc_u32_e32 v93, 0x2000, v239
	v_add_nc_u32_e32 v94, 0x2000, v241
	s_wait_dscnt 0x0
	v_perm_b32 v63, v91, v89, 0x5040100
	v_perm_b32 v59, v91, v89, 0x7060302
	;; [unrolled: 1-line block ×4, first 2 shown]
	s_delay_alu instid0(VALU_DEP_4) | instskip(NEXT) | instid1(VALU_DEP_4)
	v_wmma_f16_16x16x16_f16 v[12:15], v[60:63], v[48:51], v[12:15]
	v_wmma_f16_16x16x16_f16 v[24:27], v[56:59], v[48:51], v[24:27]
	s_delay_alu instid0(VALU_DEP_4) | instskip(NEXT) | instid1(VALU_DEP_4)
	v_wmma_f16_16x16x16_f16 v[20:23], v[86:89], v[48:51], v[20:23]
	v_wmma_f16_16x16x16_f16 v[28:31], v[82:85], v[48:51], v[28:31]
	v_sub_f32_e32 v48, v81, v64
	v_add_nc_u32_e32 v84, 0x2400, v238
	v_add_f32_e32 v32, v47, v32
	s_delay_alu instid0(VALU_DEP_3) | instskip(SKIP_1) | instid1(VALU_DEP_3)
	v_mul_f32_e32 v49, 0x3fb8aa3b, v48
	v_cmp_ngt_f32_e64 s5, 0xc2ce8ed0, v48
	v_add_f32_e32 v32, v44, v32
	s_delay_alu instid0(VALU_DEP_3) | instskip(SKIP_1) | instid1(VALU_DEP_3)
	v_fma_f32 v50, 0x3fb8aa3b, v48, -v49
	v_rndne_f32_e32 v51, v49
	v_add_f32_e32 v32, v45, v32
	s_delay_alu instid0(VALU_DEP_2) | instskip(SKIP_1) | instid1(VALU_DEP_2)
	v_dual_fmac_f32 v50, 0x32a5705f, v48 :: v_dual_sub_f32 v49, v49, v51
	v_cvt_i32_f32_e32 v51, v51
	v_dual_add_f32 v32, v42, v32 :: v_dual_add_f32 v49, v49, v50
	v_sub_f32_e32 v50, v80, v64
	s_delay_alu instid0(VALU_DEP_2) | instskip(NEXT) | instid1(VALU_DEP_3)
	v_add_f32_e32 v32, v43, v32
	v_exp_f32_e32 v49, v49
	s_delay_alu instid0(VALU_DEP_2) | instskip(SKIP_1) | instid1(VALU_DEP_3)
	v_mul_f32_e32 v52, 0x3fb8aa3b, v50
	v_cmp_ngt_f32_e32 vcc_lo, 0xc2ce8ed0, v50
	v_add_f32_e32 v32, v40, v32
	s_delay_alu instid0(VALU_DEP_3) | instskip(SKIP_1) | instid1(VALU_DEP_3)
	v_fma_f32 v53, 0x3fb8aa3b, v50, -v52
	v_rndne_f32_e32 v54, v52
	v_add_f32_e32 v32, v41, v32
	s_delay_alu instid0(TRANS32_DEP_1) | instskip(NEXT) | instid1(VALU_DEP_4)
	v_ldexp_f32 v49, v49, v51
	v_fmac_f32_e32 v53, 0x32a5705f, v50
	s_delay_alu instid0(VALU_DEP_4) | instskip(SKIP_1) | instid1(VALU_DEP_3)
	v_sub_f32_e32 v52, v52, v54
	s_wait_alu 0xf1ff
	v_cndmask_b32_e64 v49, 0, v49, s5
	v_cmp_nlt_f32_e64 s5, 0x42b17218, v48
	s_delay_alu instid0(VALU_DEP_3) | instskip(SKIP_1) | instid1(VALU_DEP_2)
	v_add_f32_e32 v52, v52, v53
	s_wait_alu 0xf1ff
	v_cndmask_b32_e64 v85, 0x7f800000, v49, s5
	s_delay_alu instid0(VALU_DEP_2) | instskip(SKIP_1) | instid1(VALU_DEP_2)
	v_exp_f32_e32 v51, v52
	v_cvt_i32_f32_e32 v52, v54
	v_cvt_f16_f32_e32 v48, v85
	s_delay_alu instid0(TRANS32_DEP_1) | instid1(VALU_DEP_2)
	v_ldexp_f32 v51, v51, v52
	s_wait_alu 0xfffd
	s_delay_alu instid0(VALU_DEP_1) | instskip(SKIP_2) | instid1(VALU_DEP_3)
	v_dual_sub_f32 v52, v79, v64 :: v_dual_cndmask_b32 v51, 0, v51
	v_cmp_nlt_f32_e32 vcc_lo, 0x42b17218, v50
	v_sub_f32_e32 v50, v78, v64
	v_mul_f32_e32 v53, 0x3fb8aa3b, v52
	v_cmp_ngt_f32_e64 s3, 0xc2ce8ed0, v52
	s_wait_alu 0xfffd
	v_cndmask_b32_e32 v88, 0x7f800000, v51, vcc_lo
	v_cmp_ngt_f32_e64 s4, 0xc2ce8ed0, v50
	v_fma_f32 v54, 0x3fb8aa3b, v52, -v53
	v_rndne_f32_e32 v55, v53
	s_delay_alu instid0(VALU_DEP_1) | instskip(SKIP_1) | instid1(VALU_DEP_2)
	v_dual_fmac_f32 v54, 0x32a5705f, v52 :: v_dual_sub_f32 v53, v53, v55
	v_cvt_i32_f32_e32 v55, v55
	v_add_f32_e32 v53, v53, v54
	v_mul_f32_e32 v54, 0x3fb8aa3b, v50
	s_delay_alu instid0(VALU_DEP_1) | instskip(SKIP_1) | instid1(VALU_DEP_2)
	v_fma_f32 v56, 0x3fb8aa3b, v50, -v54
	v_rndne_f32_e32 v57, v54
	v_fmac_f32_e32 v56, 0x32a5705f, v50
	s_delay_alu instid0(VALU_DEP_2) | instskip(SKIP_1) | instid1(VALU_DEP_1)
	v_sub_f32_e32 v54, v54, v57
	v_exp_f32_e32 v53, v53
	v_add_f32_e32 v54, v54, v56
	s_delay_alu instid0(VALU_DEP_1) | instskip(NEXT) | instid1(TRANS32_DEP_2)
	v_exp_f32_e32 v54, v54
	v_ldexp_f32 v53, v53, v55
	v_cvt_i32_f32_e32 v55, v57
	s_wait_alu 0xf1ff
	s_delay_alu instid0(VALU_DEP_2)
	v_cndmask_b32_e64 v53, 0, v53, s3
	v_cmp_nlt_f32_e64 s3, 0x42b17218, v52
	s_delay_alu instid0(TRANS32_DEP_1) | instid1(VALU_DEP_3)
	v_ldexp_f32 v54, v54, v55
	s_wait_alu 0xf1ff
	s_delay_alu instid0(VALU_DEP_2) | instskip(NEXT) | instid1(VALU_DEP_2)
	v_cndmask_b32_e64 v86, 0x7f800000, v53, s3
	v_cndmask_b32_e64 v52, 0, v54, s4
	v_cmp_nlt_f32_e64 s4, 0x42b17218, v50
	s_delay_alu instid0(VALU_DEP_3) | instskip(SKIP_1) | instid1(VALU_DEP_2)
	v_cvt_f16_f32_e32 v49, v86
	s_wait_alu 0xf1ff
	v_cndmask_b32_e64 v87, 0x7f800000, v52, s4
	v_cvt_f16_f32_e32 v52, v88
	s_delay_alu instid0(VALU_DEP_2) | instskip(NEXT) | instid1(VALU_DEP_1)
	v_cvt_f16_f32_e32 v50, v87
	v_pack_b32_f16 v51, v49, v50
	s_delay_alu instid0(VALU_DEP_3) | instskip(SKIP_1) | instid1(VALU_DEP_1)
	v_pack_b32_f16 v50, v48, v52
	v_sub_f32_e32 v48, v77, v64
	v_mul_f32_e32 v49, 0x3fb8aa3b, v48
	v_cmp_ngt_f32_e32 vcc_lo, 0xc2ce8ed0, v48
	s_delay_alu instid0(VALU_DEP_2) | instskip(SKIP_1) | instid1(VALU_DEP_1)
	v_fma_f32 v52, 0x3fb8aa3b, v48, -v49
	v_rndne_f32_e32 v53, v49
	v_dual_fmac_f32 v52, 0x32a5705f, v48 :: v_dual_sub_f32 v49, v49, v53
	v_cvt_i32_f32_e32 v53, v53
	s_delay_alu instid0(VALU_DEP_2) | instskip(SKIP_1) | instid1(VALU_DEP_2)
	v_add_f32_e32 v49, v49, v52
	v_sub_f32_e32 v52, v76, v64
	v_exp_f32_e32 v49, v49
	s_delay_alu instid0(VALU_DEP_1) | instskip(SKIP_1) | instid1(VALU_DEP_2)
	v_mul_f32_e32 v54, 0x3fb8aa3b, v52
	v_cmp_ngt_f32_e64 s3, 0xc2ce8ed0, v52
	v_fma_f32 v55, 0x3fb8aa3b, v52, -v54
	v_rndne_f32_e32 v56, v54
	s_delay_alu instid0(TRANS32_DEP_1) | instskip(NEXT) | instid1(VALU_DEP_3)
	v_ldexp_f32 v49, v49, v53
	v_fmac_f32_e32 v55, 0x32a5705f, v52
	s_wait_alu 0xfffd
	s_delay_alu instid0(VALU_DEP_2) | instskip(SKIP_1) | instid1(VALU_DEP_2)
	v_dual_sub_f32 v54, v54, v56 :: v_dual_cndmask_b32 v49, 0, v49
	v_cmp_nlt_f32_e32 vcc_lo, 0x42b17218, v48
	v_add_f32_e32 v54, v54, v55
	s_wait_alu 0xfffd
	s_delay_alu instid0(VALU_DEP_3) | instskip(NEXT) | instid1(VALU_DEP_2)
	v_cndmask_b32_e32 v90, 0x7f800000, v49, vcc_lo
	v_exp_f32_e32 v53, v54
	v_cvt_i32_f32_e32 v54, v56
	s_delay_alu instid0(VALU_DEP_2)
	v_cvt_f16_f32_e32 v49, v90
	s_delay_alu instid0(TRANS32_DEP_1) | instid1(VALU_DEP_2)
	v_ldexp_f32 v53, v53, v54
	s_wait_alu 0xf1ff
	s_delay_alu instid0(VALU_DEP_1) | instskip(SKIP_2) | instid1(VALU_DEP_1)
	v_cndmask_b32_e64 v48, 0, v53, s3
	v_cmp_nlt_f32_e64 s3, 0x42b17218, v52
	s_wait_alu 0xf1ff
	v_cndmask_b32_e64 v89, 0x7f800000, v48, s3
	s_delay_alu instid0(VALU_DEP_1) | instskip(NEXT) | instid1(VALU_DEP_1)
	v_cvt_f16_f32_e32 v48, v89
	v_pack_b32_f16 v49, v48, v49
	v_sub_f32_e32 v48, v75, v64
	s_delay_alu instid0(VALU_DEP_1) | instskip(SKIP_1) | instid1(VALU_DEP_2)
	v_mul_f32_e32 v52, 0x3fb8aa3b, v48
	v_cmp_ngt_f32_e32 vcc_lo, 0xc2ce8ed0, v48
	v_fma_f32 v53, 0x3fb8aa3b, v48, -v52
	v_rndne_f32_e32 v54, v52
	s_delay_alu instid0(VALU_DEP_1) | instskip(SKIP_1) | instid1(VALU_DEP_2)
	v_dual_fmac_f32 v53, 0x32a5705f, v48 :: v_dual_sub_f32 v52, v52, v54
	v_cvt_i32_f32_e32 v54, v54
	v_dual_add_f32 v52, v52, v53 :: v_dual_sub_f32 v53, v74, v64
	s_delay_alu instid0(VALU_DEP_1) | instskip(SKIP_1) | instid1(VALU_DEP_2)
	v_mul_f32_e32 v55, 0x3fb8aa3b, v53
	v_cmp_ngt_f32_e64 s3, 0xc2ce8ed0, v53
	v_fma_f32 v56, 0x3fb8aa3b, v53, -v55
	v_rndne_f32_e32 v57, v55
	s_delay_alu instid0(VALU_DEP_2) | instskip(NEXT) | instid1(VALU_DEP_2)
	v_fmac_f32_e32 v56, 0x32a5705f, v53
	v_sub_f32_e32 v55, v55, v57
	s_delay_alu instid0(VALU_DEP_1) | instskip(SKIP_1) | instid1(TRANS32_DEP_1)
	v_add_f32_e32 v55, v55, v56
	v_exp_f32_e32 v52, v52
	v_ldexp_f32 v52, v52, v54
	s_delay_alu instid0(VALU_DEP_2)
	v_exp_f32_e32 v54, v55
	v_cvt_i32_f32_e32 v55, v57
	ds_load_2addr_b32 v[56:57], v84 offset0:144 offset1:160
	ds_load_2addr_b32 v[59:60], v93 offset0:128 offset1:144
	;; [unrolled: 1-line block ×8, first 2 shown]
	s_wait_alu 0xfffd
	v_cndmask_b32_e32 v52, 0, v52, vcc_lo
	v_cmp_nlt_f32_e32 vcc_lo, 0x42b17218, v48
	v_ldexp_f32 v54, v54, v55
	s_wait_alu 0xfffd
	s_delay_alu instid0(VALU_DEP_3) | instskip(SKIP_1) | instid1(VALU_DEP_2)
	v_cndmask_b32_e32 v92, 0x7f800000, v52, vcc_lo
	s_wait_alu 0xf1ff
	v_cndmask_b32_e64 v48, 0, v54, s3
	v_cmp_nlt_f32_e64 s3, 0x42b17218, v53
	s_delay_alu instid0(VALU_DEP_3) | instskip(SKIP_1) | instid1(VALU_DEP_2)
	v_cvt_f16_f32_e32 v52, v92
	s_wait_alu 0xf1ff
	v_cndmask_b32_e64 v91, 0x7f800000, v48, s3
	s_wait_dscnt 0x5
	v_perm_b32 v55, v61, v59, 0x5040100
	s_wait_dscnt 0x4
	v_perm_b32 v54, v74, v56, 0x5040100
	;; [unrolled: 2-line block ×3, first 2 shown]
	v_perm_b32 v58, v75, v57, 0x5040100
	v_cvt_f16_f32_e32 v48, v91
	v_add_f32_e32 v32, v91, v32
	s_delay_alu instid0(VALU_DEP_2) | instskip(SKIP_2) | instid1(VALU_DEP_1)
	v_pack_b32_f16 v48, v48, v52
	s_wait_dscnt 0x0
	v_perm_b32 v52, v82, v80, 0x5040100
	v_wmma_f16_16x16x16_f16 v[0:3], v[52:55], v[48:51], v[0:3]
	v_perm_b32 v52, v82, v80, 0x7060302
	v_perm_b32 v53, v78, v76, 0x7060302
	;; [unrolled: 1-line block ×6, first 2 shown]
	s_delay_alu instid0(VALU_DEP_3)
	v_wmma_f16_16x16x16_f16 v[8:11], v[52:55], v[48:51], v[8:11]
	v_perm_b32 v54, v75, v57, 0x7060302
	v_perm_b32 v57, v79, v77, 0x5040100
	;; [unrolled: 1-line block ×5, first 2 shown]
	s_delay_alu instid0(VALU_DEP_4)
	v_wmma_f16_16x16x16_f16 v[4:7], v[56:59], v[48:51], v[4:7]
	v_add_nc_u32_e32 v56, 0x2600, v238
	ds_load_2addr_b32 v[59:60], v56 offset0:116 offset1:132
	ds_load_2addr_b32 v[62:63], v84 offset0:40 offset1:56
	;; [unrolled: 1-line block ×4, first 2 shown]
	v_wmma_f16_16x16x16_f16 v[16:19], v[52:55], v[48:51], v[16:19]
	s_wait_dscnt 0x1
	v_perm_b32 v58, v59, v76, 0x5040100
	s_wait_dscnt 0x0
	v_perm_b32 v57, v78, v62, 0x5040100
	v_perm_b32 v61, v78, v62, 0x7060302
	;; [unrolled: 1-line block ×5, first 2 shown]
	ds_load_2addr_b32 v[77:78], v95 offset0:160 offset1:176
	ds_load_2addr_b32 v[81:82], v95 offset0:228 offset1:244
	v_perm_b32 v75, v79, v63, 0x7060302
	v_perm_b32 v79, v79, v63, 0x5040100
	s_wait_dscnt 0x0
	v_perm_b32 v60, v81, v77, 0x7060302
	v_perm_b32 v56, v81, v77, 0x5040100
	;; [unrolled: 1-line block ×4, first 2 shown]
	ds_load_2addr_b32 v[81:82], v93 offset0:160 offset1:176
	ds_load_2addr_b32 v[83:84], v94 offset0:160 offset1:176
	v_add_nc_u32_e32 v93, 0x3800, v238
	v_add_nc_u32_e32 v94, 0x3000, v238
	s_wait_dscnt 0x0
	v_perm_b32 v59, v83, v81, 0x5040100
	v_perm_b32 v63, v83, v81, 0x7060302
	;; [unrolled: 1-line block ×4, first 2 shown]
	s_delay_alu instid0(VALU_DEP_4) | instskip(NEXT) | instid1(VALU_DEP_4)
	v_wmma_f16_16x16x16_f16 v[12:15], v[56:59], v[48:51], v[12:15]
	v_wmma_f16_16x16x16_f16 v[24:27], v[60:63], v[48:51], v[24:27]
	s_delay_alu instid0(VALU_DEP_4) | instskip(NEXT) | instid1(VALU_DEP_4)
	v_wmma_f16_16x16x16_f16 v[20:23], v[78:81], v[48:51], v[20:23]
	v_wmma_f16_16x16x16_f16 v[28:31], v[74:77], v[48:51], v[28:31]
	v_dual_sub_f32 v48, v73, v64 :: v_dual_add_nc_u32 v75, 0x3000, v239
	v_add_nc_u32_e32 v74, 0x3400, v238
	v_add_nc_u32_e32 v76, 0x3000, v241
	s_delay_alu instid0(VALU_DEP_3) | instskip(NEXT) | instid1(VALU_DEP_1)
	v_mul_f32_e32 v49, 0x3fb8aa3b, v48
	v_fma_f32 v50, 0x3fb8aa3b, v48, -v49
	v_rndne_f32_e32 v51, v49
	s_delay_alu instid0(VALU_DEP_1) | instskip(SKIP_1) | instid1(VALU_DEP_2)
	v_dual_fmac_f32 v50, 0x32a5705f, v48 :: v_dual_sub_f32 v49, v49, v51
	v_cvt_i32_f32_e32 v51, v51
	v_dual_add_f32 v49, v49, v50 :: v_dual_sub_f32 v50, v72, v64
	s_delay_alu instid0(VALU_DEP_1) | instskip(NEXT) | instid1(VALU_DEP_1)
	v_exp_f32_e32 v49, v49
	v_mul_f32_e32 v52, 0x3fb8aa3b, v50
	v_cmp_ngt_f32_e32 vcc_lo, 0xc2ce8ed0, v50
	s_delay_alu instid0(VALU_DEP_2) | instskip(SKIP_1) | instid1(TRANS32_DEP_1)
	v_fma_f32 v53, 0x3fb8aa3b, v50, -v52
	v_rndne_f32_e32 v54, v52
	v_ldexp_f32 v49, v49, v51
	s_delay_alu instid0(VALU_DEP_3) | instskip(NEXT) | instid1(VALU_DEP_3)
	v_fmac_f32_e32 v53, 0x32a5705f, v50
	v_sub_f32_e32 v52, v52, v54
	s_delay_alu instid0(VALU_DEP_1) | instskip(NEXT) | instid1(VALU_DEP_1)
	v_add_f32_e32 v52, v52, v53
	v_exp_f32_e32 v51, v52
	v_cvt_i32_f32_e32 v52, v54
	s_delay_alu instid0(TRANS32_DEP_1) | instid1(VALU_DEP_1)
	v_ldexp_f32 v51, v51, v52
	s_wait_alu 0xfffd
	s_delay_alu instid0(VALU_DEP_1) | instskip(NEXT) | instid1(VALU_DEP_1)
	v_dual_sub_f32 v52, v71, v64 :: v_dual_cndmask_b32 v51, 0, v51
	v_mul_f32_e32 v53, 0x3fb8aa3b, v52
	v_cmp_nlt_f32_e32 vcc_lo, 0x42b17218, v50
	v_cmp_ngt_f32_e64 s3, 0xc2ce8ed0, v52
	s_delay_alu instid0(VALU_DEP_3) | instskip(SKIP_3) | instid1(VALU_DEP_2)
	v_fma_f32 v54, 0x3fb8aa3b, v52, -v53
	v_rndne_f32_e32 v55, v53
	s_wait_alu 0xfffd
	v_cndmask_b32_e32 v80, 0x7f800000, v51, vcc_lo
	v_dual_fmac_f32 v54, 0x32a5705f, v52 :: v_dual_sub_f32 v53, v53, v55
	s_delay_alu instid0(VALU_DEP_1) | instskip(NEXT) | instid1(VALU_DEP_1)
	v_dual_add_f32 v53, v53, v54 :: v_dual_sub_f32 v54, v70, v64
	v_exp_f32_e32 v50, v53
	s_delay_alu instid0(VALU_DEP_1) | instskip(SKIP_2) | instid1(VALU_DEP_3)
	v_mul_f32_e32 v56, 0x3fb8aa3b, v54
	v_cvt_i32_f32_e32 v53, v55
	v_cmp_ngt_f32_e64 s4, 0xc2ce8ed0, v54
	v_fma_f32 v57, 0x3fb8aa3b, v54, -v56
	v_rndne_f32_e32 v58, v56
	s_delay_alu instid0(TRANS32_DEP_1) | instid1(VALU_DEP_4)
	v_ldexp_f32 v50, v50, v53
	s_delay_alu instid0(VALU_DEP_3) | instskip(NEXT) | instid1(VALU_DEP_3)
	v_fmac_f32_e32 v57, 0x32a5705f, v54
	v_sub_f32_e32 v56, v56, v58
	v_cvt_i32_f32_e32 v55, v58
	v_cmp_ngt_f32_e64 s5, 0xc2ce8ed0, v48
	s_wait_alu 0xf1ff
	v_cndmask_b32_e64 v50, 0, v50, s3
	v_cmp_nlt_f32_e64 s3, 0x42b17218, v52
	v_add_f32_e32 v56, v56, v57
	v_cndmask_b32_e64 v49, 0, v49, s5
	v_cmp_nlt_f32_e64 s5, 0x42b17218, v48
	s_wait_alu 0xf1ff
	v_cndmask_b32_e64 v78, 0x7f800000, v50, s3
	v_exp_f32_e32 v53, v56
	s_delay_alu instid0(VALU_DEP_2) | instskip(NEXT) | instid1(VALU_DEP_2)
	v_cndmask_b32_e64 v77, 0x7f800000, v49, s5
	v_cvt_f16_f32_e32 v49, v78
	s_delay_alu instid0(VALU_DEP_2) | instskip(NEXT) | instid1(TRANS32_DEP_1)
	v_cvt_f16_f32_e32 v48, v77
	v_ldexp_f32 v53, v53, v55
	s_delay_alu instid0(VALU_DEP_1) | instskip(SKIP_2) | instid1(VALU_DEP_1)
	v_cndmask_b32_e64 v52, 0, v53, s4
	v_cmp_nlt_f32_e64 s4, 0x42b17218, v54
	s_wait_alu 0xf1ff
	v_cndmask_b32_e64 v79, 0x7f800000, v52, s4
	v_cvt_f16_f32_e32 v52, v80
	s_delay_alu instid0(VALU_DEP_2) | instskip(NEXT) | instid1(VALU_DEP_1)
	v_cvt_f16_f32_e32 v50, v79
	v_pack_b32_f16 v51, v49, v50
	s_delay_alu instid0(VALU_DEP_3) | instskip(SKIP_1) | instid1(VALU_DEP_1)
	v_pack_b32_f16 v50, v48, v52
	v_sub_f32_e32 v48, v69, v64
	v_mul_f32_e32 v49, 0x3fb8aa3b, v48
	v_cmp_ngt_f32_e32 vcc_lo, 0xc2ce8ed0, v48
	s_delay_alu instid0(VALU_DEP_2) | instskip(SKIP_1) | instid1(VALU_DEP_1)
	v_fma_f32 v52, 0x3fb8aa3b, v48, -v49
	v_rndne_f32_e32 v53, v49
	v_dual_fmac_f32 v52, 0x32a5705f, v48 :: v_dual_sub_f32 v49, v49, v53
	v_cvt_i32_f32_e32 v53, v53
	v_add_f32_e32 v32, v92, v32
	s_delay_alu instid0(VALU_DEP_3) | instskip(SKIP_1) | instid1(VALU_DEP_3)
	v_add_f32_e32 v49, v49, v52
	v_sub_f32_e32 v52, v68, v64
	v_add_f32_e32 v32, v89, v32
	s_delay_alu instid0(VALU_DEP_3) | instskip(NEXT) | instid1(VALU_DEP_2)
	v_exp_f32_e32 v49, v49
	v_mul_f32_e32 v54, 0x3fb8aa3b, v52
	v_cmp_ngt_f32_e64 s3, 0xc2ce8ed0, v52
	s_delay_alu instid0(VALU_DEP_3) | instskip(NEXT) | instid1(VALU_DEP_3)
	v_add_f32_e32 v32, v90, v32
	v_fma_f32 v55, 0x3fb8aa3b, v52, -v54
	v_rndne_f32_e32 v56, v54
	s_delay_alu instid0(VALU_DEP_3) | instskip(NEXT) | instid1(TRANS32_DEP_1)
	v_add_f32_e32 v32, v85, v32
	v_ldexp_f32 v49, v49, v53
	s_delay_alu instid0(VALU_DEP_4) | instskip(NEXT) | instid1(VALU_DEP_4)
	v_fmac_f32_e32 v55, 0x32a5705f, v52
	v_sub_f32_e32 v54, v54, v56
	s_wait_alu 0xfffd
	s_delay_alu instid0(VALU_DEP_3) | instskip(SKIP_1) | instid1(VALU_DEP_3)
	v_dual_add_f32 v32, v88, v32 :: v_dual_cndmask_b32 v49, 0, v49
	v_cmp_nlt_f32_e32 vcc_lo, 0x42b17218, v48
	v_add_f32_e32 v54, v54, v55
	s_delay_alu instid0(VALU_DEP_3) | instskip(SKIP_2) | instid1(VALU_DEP_3)
	v_add_f32_e32 v32, v86, v32
	s_wait_alu 0xfffd
	v_cndmask_b32_e32 v82, 0x7f800000, v49, vcc_lo
	v_exp_f32_e32 v53, v54
	v_cvt_i32_f32_e32 v54, v56
	v_add_f32_e32 v32, v87, v32
	s_delay_alu instid0(VALU_DEP_3)
	v_cvt_f16_f32_e32 v49, v82
	s_delay_alu instid0(TRANS32_DEP_1) | instid1(VALU_DEP_3)
	v_ldexp_f32 v53, v53, v54
	s_wait_alu 0xf1ff
	s_delay_alu instid0(VALU_DEP_1) | instskip(SKIP_2) | instid1(VALU_DEP_1)
	v_cndmask_b32_e64 v48, 0, v53, s3
	v_cmp_nlt_f32_e64 s3, 0x42b17218, v52
	s_wait_alu 0xf1ff
	v_cndmask_b32_e64 v81, 0x7f800000, v48, s3
	s_delay_alu instid0(VALU_DEP_1) | instskip(NEXT) | instid1(VALU_DEP_1)
	v_cvt_f16_f32_e32 v48, v81
	v_pack_b32_f16 v49, v48, v49
	v_sub_f32_e32 v48, v67, v64
	s_delay_alu instid0(VALU_DEP_1) | instskip(SKIP_1) | instid1(VALU_DEP_2)
	v_mul_f32_e32 v52, 0x3fb8aa3b, v48
	v_cmp_ngt_f32_e32 vcc_lo, 0xc2ce8ed0, v48
	v_fma_f32 v53, 0x3fb8aa3b, v48, -v52
	v_rndne_f32_e32 v54, v52
	s_delay_alu instid0(VALU_DEP_1) | instskip(SKIP_1) | instid1(VALU_DEP_2)
	v_dual_fmac_f32 v53, 0x32a5705f, v48 :: v_dual_sub_f32 v52, v52, v54
	v_cvt_i32_f32_e32 v54, v54
	v_dual_add_f32 v52, v52, v53 :: v_dual_sub_f32 v53, v66, v64
	ds_load_2addr_b32 v[58:59], v74 offset0:208 offset1:224
	ds_load_2addr_b32 v[60:61], v75 offset0:192 offset1:208
	;; [unrolled: 1-line block ×4, first 2 shown]
	v_exp_f32_e32 v52, v52
	v_mul_f32_e32 v55, 0x3fb8aa3b, v53
	v_cmp_ngt_f32_e64 s3, 0xc2ce8ed0, v53
	s_delay_alu instid0(VALU_DEP_2) | instskip(SKIP_1) | instid1(TRANS32_DEP_1)
	v_fma_f32 v56, 0x3fb8aa3b, v53, -v55
	v_rndne_f32_e32 v57, v55
	v_ldexp_f32 v52, v52, v54
	s_delay_alu instid0(VALU_DEP_3) | instskip(SKIP_1) | instid1(VALU_DEP_2)
	v_fmac_f32_e32 v56, 0x32a5705f, v53
	s_wait_alu 0xfffd
	v_dual_sub_f32 v55, v55, v57 :: v_dual_cndmask_b32 v52, 0, v52
	v_cmp_nlt_f32_e32 vcc_lo, 0x42b17218, v48
	s_delay_alu instid0(VALU_DEP_2) | instskip(SKIP_1) | instid1(VALU_DEP_3)
	v_add_f32_e32 v55, v55, v56
	s_wait_alu 0xfffd
	v_cndmask_b32_e32 v84, 0x7f800000, v52, vcc_lo
	s_delay_alu instid0(VALU_DEP_2)
	v_exp_f32_e32 v54, v55
	v_cvt_i32_f32_e32 v55, v57
	ds_load_2addr_b32 v[56:57], v74 offset0:72 offset1:88
	ds_load_2addr_b32 v[68:69], v74 offset0:140 offset1:156
	;; [unrolled: 1-line block ×4, first 2 shown]
	v_cvt_f16_f32_e32 v52, v84
	v_ldexp_f32 v54, v54, v55
	s_wait_dscnt 0x5
	v_perm_b32 v55, v62, v60, 0x5040100
	s_wait_alu 0xf1ff
	s_delay_alu instid0(VALU_DEP_2) | instskip(SKIP_4) | instid1(VALU_DEP_2)
	v_cndmask_b32_e64 v48, 0, v54, s3
	v_cmp_nlt_f32_e64 s3, 0x42b17218, v53
	s_wait_dscnt 0x4
	v_perm_b32 v54, v66, v58, 0x5040100
	s_wait_alu 0xf1ff
	v_cndmask_b32_e64 v83, 0x7f800000, v48, s3
	s_wait_dscnt 0x2
	v_perm_b32 v53, v68, v56, 0x5040100
	s_delay_alu instid0(VALU_DEP_2) | instskip(SKIP_1) | instid1(VALU_DEP_2)
	v_cvt_f16_f32_e32 v48, v83
	v_add_f32_e32 v32, v83, v32
	v_pack_b32_f16 v48, v48, v52
	s_wait_dscnt 0x0
	v_perm_b32 v52, v72, v70, 0x5040100
	s_delay_alu instid0(VALU_DEP_3) | instskip(NEXT) | instid1(VALU_DEP_2)
	v_add_f32_e32 v32, v84, v32
	v_wmma_f16_16x16x16_f16 v[0:3], v[52:55], v[48:51], v[0:3]
	v_perm_b32 v52, v72, v70, 0x7060302
	v_perm_b32 v53, v68, v56, 0x7060302
	;; [unrolled: 1-line block ×6, first 2 shown]
	v_add_f32_e32 v32, v81, v32
	s_delay_alu instid0(VALU_DEP_4)
	v_wmma_f16_16x16x16_f16 v[8:11], v[52:55], v[48:51], v[8:11]
	v_perm_b32 v53, v69, v57, 0x7060302
	v_perm_b32 v57, v69, v57, 0x5040100
	;; [unrolled: 1-line block ×6, first 2 shown]
	v_add_f32_e32 v32, v82, v32
	s_delay_alu instid0(VALU_DEP_4)
	v_wmma_f16_16x16x16_f16 v[4:7], v[56:59], v[48:51], v[4:7]
	v_add_nc_u32_e32 v56, 0x3600, v238
	ds_load_2addr_b32 v[59:60], v56 offset0:112 offset1:128
	ds_load_2addr_b32 v[62:63], v93 offset0:52 offset1:68
	;; [unrolled: 1-line block ×4, first 2 shown]
	v_add_f32_e32 v32, v77, v32
	v_wmma_f16_16x16x16_f16 v[16:19], v[52:55], v[48:51], v[16:19]
	s_delay_alu instid0(VALU_DEP_2) | instskip(NEXT) | instid1(VALU_DEP_1)
	v_add_f32_e32 v32, v80, v32
	v_add_f32_e32 v32, v78, v32
	s_delay_alu instid0(VALU_DEP_1)
	v_add_f32_e32 v32, v79, v32
	s_wait_dscnt 0x2
	v_perm_b32 v72, v63, v60, 0x5040100
	v_perm_b32 v58, v62, v59, 0x7060302
	s_wait_dscnt 0x0
	v_perm_b32 v57, v70, v68, 0x7060302
	v_perm_b32 v61, v70, v68, 0x5040100
	;; [unrolled: 1-line block ×4, first 2 shown]
	ds_load_2addr_b32 v[69:70], v94 offset0:224 offset1:240
	ds_load_2addr_b32 v[73:74], v74 offset0:36 offset1:52
	v_perm_b32 v68, v63, v60, 0x7060302
	v_fmac_f32_e32 v32, v177, v98
	v_perm_b32 v62, v62, v59, 0x5040100
	ds_bpermute_b32 v33, v65, v32
	s_wait_dscnt 0x1
	v_perm_b32 v56, v73, v69, 0x7060302
	v_perm_b32 v60, v73, v69, 0x5040100
	;; [unrolled: 1-line block ×4, first 2 shown]
	ds_load_2addr_b32 v[73:74], v75 offset0:224 offset1:240
	ds_load_2addr_b32 v[75:76], v76 offset0:224 offset1:240
	s_wait_loadcnt_dscnt 0x0
	s_barrier_signal -1
	s_barrier_wait -1
	global_inv scope:SCOPE_SE
	v_perm_b32 v63, v75, v73, 0x5040100
	v_perm_b32 v59, v75, v73, 0x7060302
	;; [unrolled: 1-line block ×4, first 2 shown]
	s_delay_alu instid0(VALU_DEP_4) | instskip(NEXT) | instid1(VALU_DEP_4)
	v_wmma_f16_16x16x16_f16 v[12:15], v[60:63], v[48:51], v[12:15]
	v_wmma_f16_16x16x16_f16 v[24:27], v[56:59], v[48:51], v[24:27]
	s_delay_alu instid0(VALU_DEP_4) | instskip(NEXT) | instid1(VALU_DEP_4)
	v_wmma_f16_16x16x16_f16 v[20:23], v[70:73], v[48:51], v[20:23]
	v_wmma_f16_16x16x16_f16 v[28:31], v[66:69], v[48:51], v[28:31]
	v_add_f32_e32 v48, v32, v33
	s_cbranch_scc0 .LBB25_867
; %bb.767:                              ;   in Loop: Header=BB25_9 Depth=1
	scratch_load_b32 v32, off, off offset:200 ; 4-byte Folded Reload
	v_max_num_f32_e32 v33, v64, v64
	s_wait_loadcnt 0x0
	v_lshlrev_b32_e32 v32, 2, v32
	global_load_b32 v32, v32, s[74:75]
	s_wait_loadcnt 0x0
	v_max_num_f32_e32 v34, v32, v32
	s_delay_alu instid0(VALU_DEP_1) | instskip(NEXT) | instid1(VALU_DEP_1)
	v_max_num_f32_e32 v49, v33, v34
	v_sub_f32_e32 v33, v64, v49
	v_sub_f32_e32 v32, v32, v49
	s_delay_alu instid0(VALU_DEP_2) | instskip(NEXT) | instid1(VALU_DEP_1)
	v_mul_f32_e32 v34, 0x3fb8aa3b, v33
	v_fma_f32 v35, 0x3fb8aa3b, v33, -v34
	v_rndne_f32_e32 v36, v34
	s_delay_alu instid0(VALU_DEP_1) | instskip(SKIP_2) | instid1(VALU_DEP_3)
	v_dual_sub_f32 v34, v34, v36 :: v_dual_fmac_f32 v35, 0x32a5705f, v33
	v_cvt_i32_f32_e32 v36, v36
	v_cmp_ngt_f32_e32 vcc_lo, 0xc2ce8ed0, v33
	v_dual_add_f32 v34, v34, v35 :: v_dual_mul_f32 v35, 0x3fb8aa3b, v32
	s_delay_alu instid0(VALU_DEP_1) | instskip(NEXT) | instid1(VALU_DEP_1)
	v_exp_f32_e32 v34, v34
	v_fma_f32 v37, 0x3fb8aa3b, v32, -v35
	v_rndne_f32_e32 v38, v35
	s_delay_alu instid0(VALU_DEP_1) | instskip(NEXT) | instid1(TRANS32_DEP_1)
	v_sub_f32_e32 v35, v35, v38
	v_ldexp_f32 v34, v34, v36
	s_delay_alu instid0(VALU_DEP_4) | instskip(SKIP_2) | instid1(VALU_DEP_3)
	v_fmac_f32_e32 v37, 0x32a5705f, v32
	v_cvt_i32_f32_e32 v36, v38
	s_wait_alu 0xfffd
	v_cndmask_b32_e32 v34, 0, v34, vcc_lo
	v_cmp_nlt_f32_e32 vcc_lo, 0x42b17218, v33
	s_wait_alu 0xfffd
	s_delay_alu instid0(VALU_DEP_2) | instskip(NEXT) | instid1(VALU_DEP_1)
	v_dual_add_f32 v35, v35, v37 :: v_dual_cndmask_b32 v34, 0x7f800000, v34
	v_exp_f32_e32 v35, v35
	v_cmp_le_f32_e32 vcc_lo, 0xc1a00000, v33
	s_wait_alu 0xfffd
	s_delay_alu instid0(VALU_DEP_2) | instskip(SKIP_1) | instid1(TRANS32_DEP_1)
	v_cndmask_b32_e32 v33, 0, v34, vcc_lo
	v_cmp_ngt_f32_e32 vcc_lo, 0xc2ce8ed0, v32
	v_ldexp_f32 v34, v35, v36
	s_delay_alu instid0(VALU_DEP_3) | instskip(SKIP_1) | instid1(VALU_DEP_1)
	v_cvt_f16_f32_e32 v35, v33
	s_wait_alu 0xfffd
	v_dual_cndmask_b32 v34, 0, v34 :: v_dual_and_b32 v35, 0xffff, v35
	v_cmp_nlt_f32_e32 vcc_lo, 0x42b17218, v32
	s_delay_alu instid0(VALU_DEP_2) | instskip(SKIP_1) | instid1(VALU_DEP_3)
	v_mul_u32_u24_e32 v51, 0x10001, v35
	s_wait_alu 0xfffd
	v_cndmask_b32_e32 v50, 0x7f800000, v34, vcc_lo
	s_delay_alu instid0(VALU_DEP_2) | instskip(NEXT) | instid1(VALU_DEP_2)
	v_pk_mul_f16 v66, v0, v51
	v_fmac_f32_e32 v50, v48, v33
	v_pk_mul_f16 v65, v1, v51
	v_pk_mul_f16 v63, v2, v51
	;; [unrolled: 1-line block ×31, first 2 shown]
	s_cbranch_execnz .LBB25_769
.LBB25_768:                             ;   in Loop: Header=BB25_9 Depth=1
	s_delay_alu instid0(VALU_DEP_2)
	v_dual_mov_b32 v35, v31 :: v_dual_mov_b32 v34, v30
	v_dual_mov_b32 v39, v27 :: v_dual_mov_b32 v38, v26
	;; [unrolled: 1-line block ×16, first 2 shown]
	v_mov_b32_e32 v65, v1
	v_mov_b32_e32 v63, v2
.LBB25_769:                             ;   in Loop: Header=BB25_9 Depth=1
	s_and_saveexec_b32 s3, s2
	s_cbranch_execz .LBB25_771
; %bb.770:                              ;   in Loop: Header=BB25_9 Depth=1
	scratch_load_b32 v0, off, off offset:464 ; 4-byte Folded Reload
	s_wait_loadcnt 0x0
	ds_store_2addr_b32 v0, v49, v50 offset0:64 offset1:65
.LBB25_771:                             ;   in Loop: Header=BB25_9 Depth=1
	s_wait_alu 0xfffe
	s_or_b32 exec_lo, exec_lo, s3
	s_wait_loadcnt_dscnt 0x0
	s_barrier_signal -1
	s_barrier_wait -1
	global_inv scope:SCOPE_SE
	scratch_load_b32 v8, off, off offset:120 ; 4-byte Folded Reload
	v_perm_b32 v0, v44, v66, 0x5040100
	v_perm_b32 v1, v44, v66, 0x7060302
	;; [unrolled: 1-line block ×16, first 2 shown]
	s_wait_loadcnt 0x0
	v_add_nc_u32_e32 v8, v8, v207
	ds_store_2addr_b32 v8, v0, v1 offset1:1
	ds_store_2addr_b32 v8, v2, v3 offset0:2 offset1:3
	ds_store_2addr_b32 v8, v4, v5 offset0:4 offset1:5
	;; [unrolled: 1-line block ×7, first 2 shown]
	v_perm_b32 v0, v36, v60, 0x5040100
	v_perm_b32 v1, v36, v60, 0x7060302
	;; [unrolled: 1-line block ×16, first 2 shown]
	ds_store_2addr_b32 v8, v0, v1 offset0:32 offset1:33
	ds_store_2addr_b32 v8, v2, v3 offset0:34 offset1:35
	;; [unrolled: 1-line block ×8, first 2 shown]
	v_mov_b32_e32 v0, 50
	s_wait_dscnt 0x0
	s_barrier_signal -1
	s_barrier_wait -1
	global_inv scope:SCOPE_SE
	s_mov_b32 s44, exec_lo
	s_clause 0x1
	scratch_load_b64 v[40:41], off, off offset:96
	scratch_load_b64 v[27:28], off, off offset:104
	s_wait_loadcnt 0x0
	s_clause 0x1
	scratch_load_b32 v28, off, off offset:116
	scratch_load_b32 v30, off, off offset:148
	v_mov_b32_e32 v29, 0
	v_mbcnt_lo_u32_b32 v31, -1, 0
	s_wait_alu 0xfffe
	s_and_b32 s3, s44, s59
	s_wait_alu 0xfffe
	s_mov_b32 exec_lo, s3
	s_cbranch_execz .LBB25_773
; %bb.772:                              ;   in Loop: Header=BB25_9 Depth=1
	scratch_load_b32 v2, off, off offset:396 ; 4-byte Folded Reload
	ds_load_2addr_b32 v[0:1], v249 offset1:32
	s_wait_dscnt 0x0
	v_lshrrev_b32_e32 v3, 16, v1
	v_cvt_f32_f16_e32 v1, v1
	s_delay_alu instid0(VALU_DEP_2) | instskip(NEXT) | instid1(VALU_DEP_2)
	v_cvt_f32_f16_e32 v3, v3
	v_add_f32_e32 v6, 0, v1
	s_wait_loadcnt 0x0
	ds_load_b32 v7, v2 offset:260
	v_cvt_f32_f16_e32 v2, v0
	v_lshrrev_b32_e32 v0, 16, v0
	s_delay_alu instid0(VALU_DEP_1) | instskip(NEXT) | instid1(VALU_DEP_1)
	v_cvt_f32_f16_e32 v0, v0
	v_dual_add_f32 v2, 0, v2 :: v_dual_add_f32 v5, 0, v0
	v_mad_co_u64_u32 v[0:1], null, v185, s25, v[27:28]
	s_wait_dscnt 0x0
	s_delay_alu instid0(VALU_DEP_2) | instskip(NEXT) | instid1(VALU_DEP_3)
	v_div_scale_f32 v4, null, v7, v7, v2
	v_div_scale_f32 v10, null, v7, v7, v5
	v_div_scale_f32 v15, vcc_lo, v2, v7, v2
	s_delay_alu instid0(VALU_DEP_3) | instskip(NEXT) | instid1(VALU_DEP_2)
	v_rcp_f32_e32 v9, v4
	v_rcp_f32_e32 v13, v10
	v_div_scale_f32 v16, s3, v6, v7, v6
	v_div_scale_f32 v17, s4, v5, v7, v5
	v_lshl_add_u32 v0, v0, 6, v40
	s_delay_alu instid0(TRANS32_DEP_2) | instskip(SKIP_2) | instid1(VALU_DEP_3)
	v_fma_f32 v1, -v4, v9, 1.0
	v_add_f32_e32 v8, 0, v3
	v_div_scale_f32 v3, null, v7, v7, v6
	v_fmac_f32_e32 v9, v1, v9
	s_delay_alu instid0(VALU_DEP_3) | instskip(NEXT) | instid1(VALU_DEP_3)
	v_div_scale_f32 v11, null, v7, v7, v8
	v_rcp_f32_e32 v12, v3
	v_fma_f32 v1, -v10, v13, 1.0
	v_div_scale_f32 v20, s5, v8, v7, v8
	s_delay_alu instid0(VALU_DEP_3) | instskip(NEXT) | instid1(VALU_DEP_2)
	v_rcp_f32_e32 v14, v11
	v_fmac_f32_e32 v13, v1, v13
	s_delay_alu instid0(TRANS32_DEP_2) | instskip(NEXT) | instid1(VALU_DEP_2)
	v_fma_f32 v18, -v3, v12, 1.0
	v_mul_f32_e32 v21, v17, v13
	s_delay_alu instid0(TRANS32_DEP_1) | instskip(NEXT) | instid1(VALU_DEP_3)
	v_fma_f32 v19, -v11, v14, 1.0
	v_fmac_f32_e32 v12, v18, v12
	v_mul_f32_e32 v18, v15, v9
	s_delay_alu instid0(VALU_DEP_4) | instskip(NEXT) | instid1(VALU_DEP_3)
	v_fma_f32 v24, -v10, v21, v17
	v_dual_fmac_f32 v14, v19, v14 :: v_dual_mul_f32 v19, v16, v12
	s_delay_alu instid0(VALU_DEP_3) | instskip(NEXT) | instid1(VALU_DEP_2)
	v_fma_f32 v1, -v4, v18, v15
	v_fma_f32 v23, -v3, v19, v16
	s_delay_alu instid0(VALU_DEP_3) | instskip(NEXT) | instid1(VALU_DEP_3)
	v_mul_f32_e32 v22, v20, v14
	v_fmac_f32_e32 v18, v1, v9
	v_ashrrev_i32_e32 v1, 31, v0
	s_delay_alu instid0(VALU_DEP_4) | instskip(NEXT) | instid1(VALU_DEP_4)
	v_fmac_f32_e32 v19, v23, v12
	v_fma_f32 v25, -v11, v22, v20
	s_delay_alu instid0(VALU_DEP_4)
	v_fma_f32 v4, -v4, v18, v15
	v_fmac_f32_e32 v21, v24, v13
	v_lshlrev_b64_e32 v[0:1], 3, v[0:1]
	v_fma_f32 v3, -v3, v19, v16
	v_fmac_f32_e32 v22, v25, v14
	s_wait_alu 0xfffd
	v_div_fmas_f32 v4, v4, v9, v18
	v_fma_f32 v9, -v10, v21, v17
	s_mov_b32 vcc_lo, s4
	v_fma_f32 v10, -v11, v22, v20
	s_delay_alu instid0(VALU_DEP_3)
	v_div_fixup_f32 v2, v4, v7, v2
	s_wait_alu 0xfffe
	v_div_fmas_f32 v4, v9, v13, v21
	s_mov_b32 vcc_lo, s3
	s_wait_alu 0xfffe
	v_div_fmas_f32 v9, v3, v12, v19
	s_mov_b32 vcc_lo, s5
	v_div_fixup_f32 v3, v4, v7, v5
	s_wait_alu 0xfffe
	v_div_fmas_f32 v10, v10, v14, v22
	v_add_co_u32 v4, vcc_lo, s72, v0
	s_wait_alu 0xfffd
	v_add_co_ci_u32_e64 v5, null, s73, v1, vcc_lo
	v_mov_b32_e32 v0, 0
	v_div_fixup_f32 v6, v9, v7, v6
	v_div_fixup_f32 v7, v10, v7, v8
	s_clause 0x1
	global_store_b64 v[4:5], v[2:3], off
	global_store_b64 v[4:5], v[6:7], off offset:256
.LBB25_773:                             ;   in Loop: Header=BB25_9 Depth=1
	s_or_b32 exec_lo, exec_lo, s44
	scratch_load_b64 v[32:33], off, off offset:184 ; 8-byte Folded Reload
	s_mov_b32 s3, -1
	s_mov_b32 s4, exec_lo
	v_cmpx_gt_i32_e32 50, v0
; %bb.774:                              ;   in Loop: Header=BB25_9 Depth=1
	v_cmp_eq_u32_e32 vcc_lo, 0, v0
	s_or_not1_b32 s3, vcc_lo, exec_lo
; %bb.775:                              ;   in Loop: Header=BB25_9 Depth=1
	s_wait_alu 0xfffe
	s_or_b32 exec_lo, exec_lo, s4
                                        ; implicit-def: $vgpr1
                                        ; implicit-def: $vgpr2
	s_and_saveexec_b32 s44, s3
	s_cbranch_execz .LBB25_863
; %bb.776:                              ;   in Loop: Header=BB25_9 Depth=1
	v_mov_b32_e32 v0, 50
	s_and_saveexec_b32 s56, s58
	s_cbranch_execz .LBB25_778
; %bb.777:                              ;   in Loop: Header=BB25_9 Depth=1
	s_clause 0x1
	scratch_load_b32 v0, off, off offset:192
	scratch_load_b32 v2, off, off offset:608
	s_wait_loadcnt 0x1
	ds_load_2addr_b32 v[0:1], v0 offset1:32
	s_wait_loadcnt 0x0
	ds_load_b32 v7, v2 offset:260
	s_wait_dscnt 0x1
	v_cvt_f32_f16_e32 v2, v0
	v_lshrrev_b32_e32 v0, 16, v0
	v_lshrrev_b32_e32 v3, 16, v1
	v_cvt_f32_f16_e32 v1, v1
	s_delay_alu instid0(VALU_DEP_3) | instskip(SKIP_1) | instid1(VALU_DEP_4)
	v_cvt_f32_f16_e32 v0, v0
	v_add_f32_e32 v2, 0, v2
	v_cvt_f32_f16_e32 v3, v3
	s_delay_alu instid0(VALU_DEP_3)
	v_dual_add_f32 v6, 0, v1 :: v_dual_add_f32 v5, 0, v0
	scratch_load_b32 v0, off, off offset:196 th:TH_LOAD_LU ; 4-byte Folded Reload
	s_wait_dscnt 0x0
	v_div_scale_f32 v4, null, v7, v7, v2
	v_div_scale_f32 v15, vcc_lo, v2, v7, v2
	v_div_scale_f32 v10, null, v7, v7, v5
	s_delay_alu instid0(VALU_DEP_3) | instskip(SKIP_1) | instid1(VALU_DEP_2)
	v_rcp_f32_e32 v9, v4
	v_div_scale_f32 v16, s3, v6, v7, v6
	v_rcp_f32_e32 v13, v10
	v_div_scale_f32 v17, s4, v5, v7, v5
	s_wait_loadcnt 0x0
	v_mad_co_u64_u32 v[0:1], null, v0, s25, v[27:28]
	s_delay_alu instid0(TRANS32_DEP_2) | instskip(SKIP_2) | instid1(VALU_DEP_3)
	v_fma_f32 v1, -v4, v9, 1.0
	v_add_f32_e32 v8, 0, v3
	v_div_scale_f32 v3, null, v7, v7, v6
	v_fmac_f32_e32 v9, v1, v9
	s_delay_alu instid0(VALU_DEP_3) | instskip(NEXT) | instid1(VALU_DEP_3)
	v_div_scale_f32 v11, null, v7, v7, v8
	v_rcp_f32_e32 v12, v3
	v_fma_f32 v1, -v10, v13, 1.0
	v_div_scale_f32 v20, s5, v8, v7, v8
	s_delay_alu instid0(VALU_DEP_3) | instskip(SKIP_1) | instid1(VALU_DEP_3)
	v_rcp_f32_e32 v14, v11
	v_lshl_add_u32 v0, v0, 6, v40
	v_fmac_f32_e32 v13, v1, v13
	s_delay_alu instid0(TRANS32_DEP_2) | instskip(NEXT) | instid1(VALU_DEP_2)
	v_fma_f32 v18, -v3, v12, 1.0
	v_mul_f32_e32 v21, v17, v13
	s_delay_alu instid0(TRANS32_DEP_1) | instskip(NEXT) | instid1(VALU_DEP_3)
	v_fma_f32 v19, -v11, v14, 1.0
	v_fmac_f32_e32 v12, v18, v12
	v_mul_f32_e32 v18, v15, v9
	s_delay_alu instid0(VALU_DEP_4) | instskip(NEXT) | instid1(VALU_DEP_3)
	v_fma_f32 v24, -v10, v21, v17
	v_dual_fmac_f32 v14, v19, v14 :: v_dual_mul_f32 v19, v16, v12
	s_delay_alu instid0(VALU_DEP_3) | instskip(NEXT) | instid1(VALU_DEP_2)
	v_fma_f32 v1, -v4, v18, v15
	v_fma_f32 v23, -v3, v19, v16
	s_delay_alu instid0(VALU_DEP_3) | instskip(NEXT) | instid1(VALU_DEP_3)
	v_mul_f32_e32 v22, v20, v14
	v_fmac_f32_e32 v18, v1, v9
	v_ashrrev_i32_e32 v1, 31, v0
	s_delay_alu instid0(VALU_DEP_4) | instskip(NEXT) | instid1(VALU_DEP_4)
	v_fmac_f32_e32 v19, v23, v12
	v_fma_f32 v25, -v11, v22, v20
	s_delay_alu instid0(VALU_DEP_4)
	v_fma_f32 v4, -v4, v18, v15
	v_fmac_f32_e32 v21, v24, v13
	v_lshlrev_b64_e32 v[0:1], 3, v[0:1]
	v_fma_f32 v3, -v3, v19, v16
	v_fmac_f32_e32 v22, v25, v14
	s_wait_alu 0xfffd
	v_div_fmas_f32 v4, v4, v9, v18
	v_fma_f32 v9, -v10, v21, v17
	s_mov_b32 vcc_lo, s4
	v_fma_f32 v10, -v11, v22, v20
	s_delay_alu instid0(VALU_DEP_3)
	v_div_fixup_f32 v2, v4, v7, v2
	s_wait_alu 0xfffe
	v_div_fmas_f32 v4, v9, v13, v21
	s_mov_b32 vcc_lo, s3
	s_wait_alu 0xfffe
	v_div_fmas_f32 v9, v3, v12, v19
	s_mov_b32 vcc_lo, s5
	v_div_fixup_f32 v3, v4, v7, v5
	s_wait_alu 0xfffe
	v_div_fmas_f32 v10, v10, v14, v22
	v_add_co_u32 v4, vcc_lo, s72, v0
	s_wait_alu 0xfffd
	v_add_co_ci_u32_e64 v5, null, s73, v1, vcc_lo
	v_mov_b32_e32 v0, 0
	v_div_fixup_f32 v6, v9, v7, v6
	v_div_fixup_f32 v7, v10, v7, v8
	s_clause 0x1
	global_store_b64 v[4:5], v[2:3], off
	global_store_b64 v[4:5], v[6:7], off offset:256
.LBB25_778:                             ;   in Loop: Header=BB25_9 Depth=1
	s_wait_alu 0xfffe
	s_or_b32 exec_lo, exec_lo, s56
	s_mov_b32 s4, -1
	s_mov_b32 s3, exec_lo
	v_cmpx_gt_i32_e32 50, v0
; %bb.779:                              ;   in Loop: Header=BB25_9 Depth=1
	v_cmp_eq_u32_e32 vcc_lo, 0, v0
	s_or_not1_b32 s4, vcc_lo, exec_lo
; %bb.780:                              ;   in Loop: Header=BB25_9 Depth=1
	s_wait_alu 0xfffe
	s_or_b32 exec_lo, exec_lo, s3
	s_mov_b32 s3, s1
                                        ; implicit-def: $vgpr1
                                        ; implicit-def: $vgpr2
	s_and_saveexec_b32 s56, s4
	s_cbranch_execz .LBB25_862
; %bb.781:                              ;   in Loop: Header=BB25_9 Depth=1
	v_mov_b32_e32 v0, 50
	s_and_saveexec_b32 s58, s45
	s_cbranch_execz .LBB25_783
; %bb.782:                              ;   in Loop: Header=BB25_9 Depth=1
	s_clause 0x1
	scratch_load_b32 v0, off, off offset:204
	scratch_load_b32 v2, off, off offset:640
	s_wait_loadcnt 0x1
	ds_load_2addr_b32 v[0:1], v0 offset1:32
	s_wait_loadcnt 0x0
	ds_load_b32 v7, v2 offset:260
	s_wait_dscnt 0x1
	v_cvt_f32_f16_e32 v2, v0
	v_lshrrev_b32_e32 v0, 16, v0
	v_lshrrev_b32_e32 v3, 16, v1
	v_cvt_f32_f16_e32 v1, v1
	s_delay_alu instid0(VALU_DEP_3) | instskip(SKIP_1) | instid1(VALU_DEP_4)
	v_cvt_f32_f16_e32 v0, v0
	v_add_f32_e32 v2, 0, v2
	v_cvt_f32_f16_e32 v3, v3
	s_delay_alu instid0(VALU_DEP_3)
	v_dual_add_f32 v6, 0, v1 :: v_dual_add_f32 v5, 0, v0
	scratch_load_b32 v0, off, off offset:216 th:TH_LOAD_LU ; 4-byte Folded Reload
	s_wait_dscnt 0x0
	v_div_scale_f32 v4, null, v7, v7, v2
	v_div_scale_f32 v15, vcc_lo, v2, v7, v2
	v_div_scale_f32 v10, null, v7, v7, v5
	s_delay_alu instid0(VALU_DEP_3) | instskip(SKIP_1) | instid1(VALU_DEP_2)
	v_rcp_f32_e32 v9, v4
	v_div_scale_f32 v16, s3, v6, v7, v6
	v_rcp_f32_e32 v13, v10
	v_div_scale_f32 v17, s4, v5, v7, v5
	s_wait_loadcnt 0x0
	v_mad_co_u64_u32 v[0:1], null, v0, s25, v[27:28]
	s_delay_alu instid0(TRANS32_DEP_2) | instskip(SKIP_2) | instid1(VALU_DEP_3)
	v_fma_f32 v1, -v4, v9, 1.0
	v_add_f32_e32 v8, 0, v3
	v_div_scale_f32 v3, null, v7, v7, v6
	v_fmac_f32_e32 v9, v1, v9
	s_delay_alu instid0(VALU_DEP_3) | instskip(NEXT) | instid1(VALU_DEP_3)
	v_div_scale_f32 v11, null, v7, v7, v8
	v_rcp_f32_e32 v12, v3
	v_fma_f32 v1, -v10, v13, 1.0
	v_div_scale_f32 v20, s5, v8, v7, v8
	s_delay_alu instid0(VALU_DEP_3) | instskip(SKIP_1) | instid1(VALU_DEP_3)
	v_rcp_f32_e32 v14, v11
	v_lshl_add_u32 v0, v0, 6, v40
	v_fmac_f32_e32 v13, v1, v13
	s_delay_alu instid0(TRANS32_DEP_2) | instskip(NEXT) | instid1(VALU_DEP_2)
	v_fma_f32 v18, -v3, v12, 1.0
	v_mul_f32_e32 v21, v17, v13
	s_delay_alu instid0(TRANS32_DEP_1) | instskip(NEXT) | instid1(VALU_DEP_3)
	v_fma_f32 v19, -v11, v14, 1.0
	v_fmac_f32_e32 v12, v18, v12
	v_mul_f32_e32 v18, v15, v9
	s_delay_alu instid0(VALU_DEP_4) | instskip(NEXT) | instid1(VALU_DEP_3)
	v_fma_f32 v24, -v10, v21, v17
	v_dual_fmac_f32 v14, v19, v14 :: v_dual_mul_f32 v19, v16, v12
	s_delay_alu instid0(VALU_DEP_3) | instskip(NEXT) | instid1(VALU_DEP_2)
	v_fma_f32 v1, -v4, v18, v15
	v_fma_f32 v23, -v3, v19, v16
	s_delay_alu instid0(VALU_DEP_3) | instskip(NEXT) | instid1(VALU_DEP_3)
	v_mul_f32_e32 v22, v20, v14
	v_fmac_f32_e32 v18, v1, v9
	v_ashrrev_i32_e32 v1, 31, v0
	s_delay_alu instid0(VALU_DEP_4) | instskip(NEXT) | instid1(VALU_DEP_4)
	v_fmac_f32_e32 v19, v23, v12
	v_fma_f32 v25, -v11, v22, v20
	s_delay_alu instid0(VALU_DEP_4)
	v_fma_f32 v4, -v4, v18, v15
	v_fmac_f32_e32 v21, v24, v13
	v_lshlrev_b64_e32 v[0:1], 3, v[0:1]
	v_fma_f32 v3, -v3, v19, v16
	v_fmac_f32_e32 v22, v25, v14
	s_wait_alu 0xfffd
	v_div_fmas_f32 v4, v4, v9, v18
	v_fma_f32 v9, -v10, v21, v17
	s_mov_b32 vcc_lo, s4
	v_fma_f32 v10, -v11, v22, v20
	s_delay_alu instid0(VALU_DEP_3)
	v_div_fixup_f32 v2, v4, v7, v2
	s_wait_alu 0xfffe
	v_div_fmas_f32 v4, v9, v13, v21
	s_mov_b32 vcc_lo, s3
	s_wait_alu 0xfffe
	v_div_fmas_f32 v9, v3, v12, v19
	s_mov_b32 vcc_lo, s5
	v_div_fixup_f32 v3, v4, v7, v5
	s_wait_alu 0xfffe
	v_div_fmas_f32 v10, v10, v14, v22
	v_add_co_u32 v4, vcc_lo, s72, v0
	s_wait_alu 0xfffd
	v_add_co_ci_u32_e64 v5, null, s73, v1, vcc_lo
	v_mov_b32_e32 v0, 0
	v_div_fixup_f32 v6, v9, v7, v6
	v_div_fixup_f32 v7, v10, v7, v8
	s_clause 0x1
	global_store_b64 v[4:5], v[2:3], off
	global_store_b64 v[4:5], v[6:7], off offset:256
.LBB25_783:                             ;   in Loop: Header=BB25_9 Depth=1
	s_wait_alu 0xfffe
	s_or_b32 exec_lo, exec_lo, s58
	s_mov_b32 s4, -1
	s_mov_b32 s3, exec_lo
	v_cmpx_gt_i32_e32 50, v0
; %bb.784:                              ;   in Loop: Header=BB25_9 Depth=1
	v_cmp_eq_u32_e32 vcc_lo, 0, v0
	s_or_not1_b32 s4, vcc_lo, exec_lo
; %bb.785:                              ;   in Loop: Header=BB25_9 Depth=1
	s_wait_alu 0xfffe
	s_or_b32 exec_lo, exec_lo, s3
	s_mov_b32 s3, s1
                                        ; implicit-def: $vgpr1
                                        ; implicit-def: $vgpr2
	s_and_saveexec_b32 s45, s4
	s_cbranch_execz .LBB25_861
; %bb.786:                              ;   in Loop: Header=BB25_9 Depth=1
	v_mov_b32_e32 v0, 50
	s_and_saveexec_b32 s58, s100
	s_cbranch_execz .LBB25_788
; %bb.787:                              ;   in Loop: Header=BB25_9 Depth=1
	s_clause 0x1
	scratch_load_b32 v0, off, off offset:212
	scratch_load_b32 v2, off, off offset:648
	s_wait_loadcnt 0x1
	ds_load_2addr_b32 v[0:1], v0 offset1:32
	s_wait_loadcnt 0x0
	ds_load_b32 v7, v2 offset:260
	s_wait_dscnt 0x1
	v_cvt_f32_f16_e32 v2, v0
	v_lshrrev_b32_e32 v0, 16, v0
	v_lshrrev_b32_e32 v3, 16, v1
	v_cvt_f32_f16_e32 v1, v1
	s_delay_alu instid0(VALU_DEP_3) | instskip(SKIP_1) | instid1(VALU_DEP_4)
	v_cvt_f32_f16_e32 v0, v0
	v_add_f32_e32 v2, 0, v2
	v_cvt_f32_f16_e32 v3, v3
	s_delay_alu instid0(VALU_DEP_3)
	v_dual_add_f32 v6, 0, v1 :: v_dual_add_f32 v5, 0, v0
	scratch_load_b32 v0, off, off offset:220 th:TH_LOAD_LU ; 4-byte Folded Reload
	s_wait_dscnt 0x0
	v_div_scale_f32 v4, null, v7, v7, v2
	v_div_scale_f32 v15, vcc_lo, v2, v7, v2
	v_div_scale_f32 v10, null, v7, v7, v5
	s_delay_alu instid0(VALU_DEP_3) | instskip(SKIP_1) | instid1(VALU_DEP_2)
	v_rcp_f32_e32 v9, v4
	v_div_scale_f32 v16, s3, v6, v7, v6
	v_rcp_f32_e32 v13, v10
	v_div_scale_f32 v17, s4, v5, v7, v5
	s_wait_loadcnt 0x0
	v_mad_co_u64_u32 v[0:1], null, v0, s25, v[27:28]
	s_delay_alu instid0(TRANS32_DEP_2) | instskip(SKIP_2) | instid1(VALU_DEP_3)
	v_fma_f32 v1, -v4, v9, 1.0
	v_add_f32_e32 v8, 0, v3
	v_div_scale_f32 v3, null, v7, v7, v6
	v_fmac_f32_e32 v9, v1, v9
	s_delay_alu instid0(VALU_DEP_3) | instskip(NEXT) | instid1(VALU_DEP_3)
	v_div_scale_f32 v11, null, v7, v7, v8
	v_rcp_f32_e32 v12, v3
	v_fma_f32 v1, -v10, v13, 1.0
	v_div_scale_f32 v20, s5, v8, v7, v8
	s_delay_alu instid0(VALU_DEP_3) | instskip(SKIP_1) | instid1(VALU_DEP_3)
	v_rcp_f32_e32 v14, v11
	v_lshl_add_u32 v0, v0, 6, v40
	v_fmac_f32_e32 v13, v1, v13
	s_delay_alu instid0(TRANS32_DEP_2) | instskip(NEXT) | instid1(VALU_DEP_2)
	v_fma_f32 v18, -v3, v12, 1.0
	v_mul_f32_e32 v21, v17, v13
	s_delay_alu instid0(TRANS32_DEP_1) | instskip(NEXT) | instid1(VALU_DEP_3)
	v_fma_f32 v19, -v11, v14, 1.0
	v_fmac_f32_e32 v12, v18, v12
	v_mul_f32_e32 v18, v15, v9
	s_delay_alu instid0(VALU_DEP_4) | instskip(NEXT) | instid1(VALU_DEP_3)
	v_fma_f32 v24, -v10, v21, v17
	v_dual_fmac_f32 v14, v19, v14 :: v_dual_mul_f32 v19, v16, v12
	s_delay_alu instid0(VALU_DEP_3) | instskip(NEXT) | instid1(VALU_DEP_2)
	v_fma_f32 v1, -v4, v18, v15
	v_fma_f32 v23, -v3, v19, v16
	s_delay_alu instid0(VALU_DEP_3) | instskip(NEXT) | instid1(VALU_DEP_3)
	v_mul_f32_e32 v22, v20, v14
	v_fmac_f32_e32 v18, v1, v9
	v_ashrrev_i32_e32 v1, 31, v0
	s_delay_alu instid0(VALU_DEP_4) | instskip(NEXT) | instid1(VALU_DEP_4)
	v_fmac_f32_e32 v19, v23, v12
	v_fma_f32 v25, -v11, v22, v20
	s_delay_alu instid0(VALU_DEP_4)
	v_fma_f32 v4, -v4, v18, v15
	v_fmac_f32_e32 v21, v24, v13
	v_lshlrev_b64_e32 v[0:1], 3, v[0:1]
	v_fma_f32 v3, -v3, v19, v16
	v_fmac_f32_e32 v22, v25, v14
	s_wait_alu 0xfffd
	v_div_fmas_f32 v4, v4, v9, v18
	v_fma_f32 v9, -v10, v21, v17
	s_mov_b32 vcc_lo, s4
	v_fma_f32 v10, -v11, v22, v20
	s_delay_alu instid0(VALU_DEP_3)
	v_div_fixup_f32 v2, v4, v7, v2
	s_wait_alu 0xfffe
	v_div_fmas_f32 v4, v9, v13, v21
	s_mov_b32 vcc_lo, s3
	s_wait_alu 0xfffe
	v_div_fmas_f32 v9, v3, v12, v19
	s_mov_b32 vcc_lo, s5
	v_div_fixup_f32 v3, v4, v7, v5
	s_wait_alu 0xfffe
	v_div_fmas_f32 v10, v10, v14, v22
	v_add_co_u32 v4, vcc_lo, s72, v0
	s_wait_alu 0xfffd
	v_add_co_ci_u32_e64 v5, null, s73, v1, vcc_lo
	v_mov_b32_e32 v0, 0
	v_div_fixup_f32 v6, v9, v7, v6
	v_div_fixup_f32 v7, v10, v7, v8
	s_clause 0x1
	global_store_b64 v[4:5], v[2:3], off
	global_store_b64 v[4:5], v[6:7], off offset:256
.LBB25_788:                             ;   in Loop: Header=BB25_9 Depth=1
	s_wait_alu 0xfffe
	s_or_b32 exec_lo, exec_lo, s58
	s_mov_b32 s4, -1
	s_mov_b32 s3, exec_lo
	v_cmpx_gt_i32_e32 50, v0
; %bb.789:                              ;   in Loop: Header=BB25_9 Depth=1
	v_cmp_eq_u32_e32 vcc_lo, 0, v0
	s_or_not1_b32 s4, vcc_lo, exec_lo
; %bb.790:                              ;   in Loop: Header=BB25_9 Depth=1
	s_wait_alu 0xfffe
	s_or_b32 exec_lo, exec_lo, s3
	s_mov_b32 s3, s1
                                        ; implicit-def: $vgpr1
                                        ; implicit-def: $vgpr2
	s_and_saveexec_b32 s58, s4
	s_cbranch_execz .LBB25_860
; %bb.791:                              ;   in Loop: Header=BB25_9 Depth=1
	v_mov_b32_e32 v0, 50
	s_and_saveexec_b32 s59, s43
	s_cbranch_execz .LBB25_793
; %bb.792:                              ;   in Loop: Header=BB25_9 Depth=1
	s_clause 0x1
	scratch_load_b32 v0, off, off offset:644
	scratch_load_b32 v2, off, off offset:656
	s_wait_loadcnt 0x1
	ds_load_2addr_b32 v[0:1], v0 offset1:32
	s_wait_loadcnt 0x0
	ds_load_b32 v7, v2 offset:260
	s_wait_dscnt 0x1
	v_cvt_f32_f16_e32 v2, v0
	v_lshrrev_b32_e32 v0, 16, v0
	v_lshrrev_b32_e32 v3, 16, v1
	v_cvt_f32_f16_e32 v1, v1
	s_delay_alu instid0(VALU_DEP_3) | instskip(SKIP_1) | instid1(VALU_DEP_4)
	v_cvt_f32_f16_e32 v0, v0
	v_add_f32_e32 v2, 0, v2
	v_cvt_f32_f16_e32 v3, v3
	s_delay_alu instid0(VALU_DEP_3)
	v_dual_add_f32 v6, 0, v1 :: v_dual_add_f32 v5, 0, v0
	scratch_load_b32 v0, off, off offset:224 th:TH_LOAD_LU ; 4-byte Folded Reload
	s_wait_dscnt 0x0
	v_div_scale_f32 v4, null, v7, v7, v2
	v_div_scale_f32 v15, vcc_lo, v2, v7, v2
	v_div_scale_f32 v10, null, v7, v7, v5
	s_delay_alu instid0(VALU_DEP_3) | instskip(SKIP_1) | instid1(VALU_DEP_2)
	v_rcp_f32_e32 v9, v4
	v_div_scale_f32 v16, s3, v6, v7, v6
	v_rcp_f32_e32 v13, v10
	v_div_scale_f32 v17, s4, v5, v7, v5
	s_wait_loadcnt 0x0
	v_mad_co_u64_u32 v[0:1], null, v0, s25, v[27:28]
	s_delay_alu instid0(TRANS32_DEP_2) | instskip(SKIP_2) | instid1(VALU_DEP_3)
	v_fma_f32 v1, -v4, v9, 1.0
	v_add_f32_e32 v8, 0, v3
	v_div_scale_f32 v3, null, v7, v7, v6
	v_fmac_f32_e32 v9, v1, v9
	s_delay_alu instid0(VALU_DEP_3) | instskip(NEXT) | instid1(VALU_DEP_3)
	v_div_scale_f32 v11, null, v7, v7, v8
	v_rcp_f32_e32 v12, v3
	v_fma_f32 v1, -v10, v13, 1.0
	v_div_scale_f32 v20, s5, v8, v7, v8
	s_delay_alu instid0(VALU_DEP_3) | instskip(SKIP_1) | instid1(VALU_DEP_3)
	v_rcp_f32_e32 v14, v11
	v_lshl_add_u32 v0, v0, 6, v40
	v_fmac_f32_e32 v13, v1, v13
	s_delay_alu instid0(TRANS32_DEP_2) | instskip(NEXT) | instid1(VALU_DEP_2)
	v_fma_f32 v18, -v3, v12, 1.0
	v_mul_f32_e32 v21, v17, v13
	s_delay_alu instid0(TRANS32_DEP_1) | instskip(NEXT) | instid1(VALU_DEP_3)
	v_fma_f32 v19, -v11, v14, 1.0
	v_fmac_f32_e32 v12, v18, v12
	v_mul_f32_e32 v18, v15, v9
	s_delay_alu instid0(VALU_DEP_4) | instskip(NEXT) | instid1(VALU_DEP_3)
	v_fma_f32 v24, -v10, v21, v17
	v_dual_fmac_f32 v14, v19, v14 :: v_dual_mul_f32 v19, v16, v12
	s_delay_alu instid0(VALU_DEP_3) | instskip(NEXT) | instid1(VALU_DEP_2)
	v_fma_f32 v1, -v4, v18, v15
	v_fma_f32 v23, -v3, v19, v16
	s_delay_alu instid0(VALU_DEP_3) | instskip(NEXT) | instid1(VALU_DEP_3)
	v_mul_f32_e32 v22, v20, v14
	v_fmac_f32_e32 v18, v1, v9
	v_ashrrev_i32_e32 v1, 31, v0
	s_delay_alu instid0(VALU_DEP_4) | instskip(NEXT) | instid1(VALU_DEP_4)
	v_fmac_f32_e32 v19, v23, v12
	v_fma_f32 v25, -v11, v22, v20
	s_delay_alu instid0(VALU_DEP_4)
	v_fma_f32 v4, -v4, v18, v15
	v_fmac_f32_e32 v21, v24, v13
	v_lshlrev_b64_e32 v[0:1], 3, v[0:1]
	v_fma_f32 v3, -v3, v19, v16
	v_fmac_f32_e32 v22, v25, v14
	s_wait_alu 0xfffd
	v_div_fmas_f32 v4, v4, v9, v18
	v_fma_f32 v9, -v10, v21, v17
	s_mov_b32 vcc_lo, s4
	v_fma_f32 v10, -v11, v22, v20
	s_delay_alu instid0(VALU_DEP_3)
	v_div_fixup_f32 v2, v4, v7, v2
	s_wait_alu 0xfffe
	v_div_fmas_f32 v4, v9, v13, v21
	s_mov_b32 vcc_lo, s3
	s_wait_alu 0xfffe
	v_div_fmas_f32 v9, v3, v12, v19
	s_mov_b32 vcc_lo, s5
	v_div_fixup_f32 v3, v4, v7, v5
	s_wait_alu 0xfffe
	v_div_fmas_f32 v10, v10, v14, v22
	v_add_co_u32 v4, vcc_lo, s72, v0
	s_wait_alu 0xfffd
	v_add_co_ci_u32_e64 v5, null, s73, v1, vcc_lo
	v_mov_b32_e32 v0, 0
	v_div_fixup_f32 v6, v9, v7, v6
	v_div_fixup_f32 v7, v10, v7, v8
	s_clause 0x1
	global_store_b64 v[4:5], v[2:3], off
	global_store_b64 v[4:5], v[6:7], off offset:256
.LBB25_793:                             ;   in Loop: Header=BB25_9 Depth=1
	s_wait_alu 0xfffe
	s_or_b32 exec_lo, exec_lo, s59
	s_mov_b32 s4, -1
	s_mov_b32 s3, exec_lo
	v_cmpx_gt_i32_e32 50, v0
; %bb.794:                              ;   in Loop: Header=BB25_9 Depth=1
	v_cmp_eq_u32_e32 vcc_lo, 0, v0
	s_or_not1_b32 s4, vcc_lo, exec_lo
; %bb.795:                              ;   in Loop: Header=BB25_9 Depth=1
	s_wait_alu 0xfffe
	s_or_b32 exec_lo, exec_lo, s3
	s_mov_b32 s3, s1
                                        ; implicit-def: $vgpr1
                                        ; implicit-def: $vgpr2
	s_and_saveexec_b32 s43, s4
	s_cbranch_execz .LBB25_859
; %bb.796:                              ;   in Loop: Header=BB25_9 Depth=1
	v_mov_b32_e32 v0, 50
	s_and_saveexec_b32 s59, s42
	s_cbranch_execz .LBB25_798
; %bb.797:                              ;   in Loop: Header=BB25_9 Depth=1
	s_clause 0x1
	scratch_load_b32 v0, off, off offset:652
	scratch_load_b32 v2, off, off offset:664
	s_wait_loadcnt 0x1
	ds_load_2addr_b32 v[0:1], v0 offset1:32
	s_wait_loadcnt 0x0
	ds_load_b32 v7, v2 offset:260
	s_wait_dscnt 0x1
	v_cvt_f32_f16_e32 v2, v0
	v_lshrrev_b32_e32 v0, 16, v0
	v_lshrrev_b32_e32 v3, 16, v1
	v_cvt_f32_f16_e32 v1, v1
	s_delay_alu instid0(VALU_DEP_3) | instskip(SKIP_1) | instid1(VALU_DEP_4)
	v_cvt_f32_f16_e32 v0, v0
	v_add_f32_e32 v2, 0, v2
	v_cvt_f32_f16_e32 v3, v3
	s_delay_alu instid0(VALU_DEP_3)
	v_dual_add_f32 v6, 0, v1 :: v_dual_add_f32 v5, 0, v0
	scratch_load_b32 v0, off, off offset:228 th:TH_LOAD_LU ; 4-byte Folded Reload
	s_wait_dscnt 0x0
	v_div_scale_f32 v4, null, v7, v7, v2
	v_div_scale_f32 v15, vcc_lo, v2, v7, v2
	v_div_scale_f32 v10, null, v7, v7, v5
	s_delay_alu instid0(VALU_DEP_3) | instskip(SKIP_1) | instid1(VALU_DEP_2)
	v_rcp_f32_e32 v9, v4
	v_div_scale_f32 v16, s3, v6, v7, v6
	v_rcp_f32_e32 v13, v10
	v_div_scale_f32 v17, s4, v5, v7, v5
	s_wait_loadcnt 0x0
	v_mad_co_u64_u32 v[0:1], null, v0, s25, v[27:28]
	s_delay_alu instid0(TRANS32_DEP_2) | instskip(SKIP_2) | instid1(VALU_DEP_3)
	v_fma_f32 v1, -v4, v9, 1.0
	v_add_f32_e32 v8, 0, v3
	v_div_scale_f32 v3, null, v7, v7, v6
	v_fmac_f32_e32 v9, v1, v9
	s_delay_alu instid0(VALU_DEP_3) | instskip(NEXT) | instid1(VALU_DEP_3)
	v_div_scale_f32 v11, null, v7, v7, v8
	v_rcp_f32_e32 v12, v3
	v_fma_f32 v1, -v10, v13, 1.0
	v_div_scale_f32 v20, s5, v8, v7, v8
	s_delay_alu instid0(VALU_DEP_3) | instskip(SKIP_1) | instid1(VALU_DEP_3)
	v_rcp_f32_e32 v14, v11
	v_lshl_add_u32 v0, v0, 6, v40
	v_fmac_f32_e32 v13, v1, v13
	s_delay_alu instid0(TRANS32_DEP_2) | instskip(NEXT) | instid1(VALU_DEP_2)
	v_fma_f32 v18, -v3, v12, 1.0
	v_mul_f32_e32 v21, v17, v13
	s_delay_alu instid0(TRANS32_DEP_1) | instskip(NEXT) | instid1(VALU_DEP_3)
	v_fma_f32 v19, -v11, v14, 1.0
	v_fmac_f32_e32 v12, v18, v12
	v_mul_f32_e32 v18, v15, v9
	s_delay_alu instid0(VALU_DEP_4) | instskip(NEXT) | instid1(VALU_DEP_3)
	v_fma_f32 v24, -v10, v21, v17
	v_dual_fmac_f32 v14, v19, v14 :: v_dual_mul_f32 v19, v16, v12
	s_delay_alu instid0(VALU_DEP_3) | instskip(NEXT) | instid1(VALU_DEP_2)
	v_fma_f32 v1, -v4, v18, v15
	v_fma_f32 v23, -v3, v19, v16
	s_delay_alu instid0(VALU_DEP_3) | instskip(NEXT) | instid1(VALU_DEP_3)
	v_mul_f32_e32 v22, v20, v14
	v_fmac_f32_e32 v18, v1, v9
	v_ashrrev_i32_e32 v1, 31, v0
	s_delay_alu instid0(VALU_DEP_4) | instskip(NEXT) | instid1(VALU_DEP_4)
	v_fmac_f32_e32 v19, v23, v12
	v_fma_f32 v25, -v11, v22, v20
	s_delay_alu instid0(VALU_DEP_4)
	v_fma_f32 v4, -v4, v18, v15
	v_fmac_f32_e32 v21, v24, v13
	v_lshlrev_b64_e32 v[0:1], 3, v[0:1]
	v_fma_f32 v3, -v3, v19, v16
	v_fmac_f32_e32 v22, v25, v14
	s_wait_alu 0xfffd
	v_div_fmas_f32 v4, v4, v9, v18
	v_fma_f32 v9, -v10, v21, v17
	s_mov_b32 vcc_lo, s4
	v_fma_f32 v10, -v11, v22, v20
	s_delay_alu instid0(VALU_DEP_3)
	v_div_fixup_f32 v2, v4, v7, v2
	s_wait_alu 0xfffe
	v_div_fmas_f32 v4, v9, v13, v21
	s_mov_b32 vcc_lo, s3
	s_wait_alu 0xfffe
	v_div_fmas_f32 v9, v3, v12, v19
	s_mov_b32 vcc_lo, s5
	v_div_fixup_f32 v3, v4, v7, v5
	s_wait_alu 0xfffe
	v_div_fmas_f32 v10, v10, v14, v22
	v_add_co_u32 v4, vcc_lo, s72, v0
	s_wait_alu 0xfffd
	v_add_co_ci_u32_e64 v5, null, s73, v1, vcc_lo
	v_mov_b32_e32 v0, 0
	v_div_fixup_f32 v6, v9, v7, v6
	v_div_fixup_f32 v7, v10, v7, v8
	s_clause 0x1
	global_store_b64 v[4:5], v[2:3], off
	global_store_b64 v[4:5], v[6:7], off offset:256
.LBB25_798:                             ;   in Loop: Header=BB25_9 Depth=1
	s_wait_alu 0xfffe
	s_or_b32 exec_lo, exec_lo, s59
	s_mov_b32 s4, -1
	s_mov_b32 s3, exec_lo
	v_cmpx_gt_i32_e32 50, v0
; %bb.799:                              ;   in Loop: Header=BB25_9 Depth=1
	v_cmp_eq_u32_e32 vcc_lo, 0, v0
	s_or_not1_b32 s4, vcc_lo, exec_lo
; %bb.800:                              ;   in Loop: Header=BB25_9 Depth=1
	s_wait_alu 0xfffe
	s_or_b32 exec_lo, exec_lo, s3
	s_mov_b32 s3, s1
                                        ; implicit-def: $vgpr1
                                        ; implicit-def: $vgpr2
	s_and_saveexec_b32 s42, s4
	s_cbranch_execz .LBB25_858
; %bb.801:                              ;   in Loop: Header=BB25_9 Depth=1
	v_mov_b32_e32 v0, 50
	s_and_saveexec_b32 s59, s41
	s_cbranch_execz .LBB25_803
; %bb.802:                              ;   in Loop: Header=BB25_9 Depth=1
	s_clause 0x1
	scratch_load_b32 v0, off, off offset:660
	scratch_load_b32 v2, off, off offset:672
	s_wait_loadcnt 0x1
	ds_load_2addr_b32 v[0:1], v0 offset1:32
	s_wait_loadcnt 0x0
	ds_load_b32 v7, v2 offset:260
	s_wait_dscnt 0x1
	v_cvt_f32_f16_e32 v2, v0
	v_lshrrev_b32_e32 v0, 16, v0
	v_lshrrev_b32_e32 v3, 16, v1
	v_cvt_f32_f16_e32 v1, v1
	s_delay_alu instid0(VALU_DEP_3) | instskip(SKIP_1) | instid1(VALU_DEP_4)
	v_cvt_f32_f16_e32 v0, v0
	v_add_f32_e32 v2, 0, v2
	v_cvt_f32_f16_e32 v3, v3
	s_delay_alu instid0(VALU_DEP_3)
	v_dual_add_f32 v6, 0, v1 :: v_dual_add_f32 v5, 0, v0
	scratch_load_b32 v0, off, off offset:232 th:TH_LOAD_LU ; 4-byte Folded Reload
	s_wait_dscnt 0x0
	v_div_scale_f32 v4, null, v7, v7, v2
	v_div_scale_f32 v15, vcc_lo, v2, v7, v2
	v_div_scale_f32 v10, null, v7, v7, v5
	s_delay_alu instid0(VALU_DEP_3) | instskip(SKIP_1) | instid1(VALU_DEP_2)
	v_rcp_f32_e32 v9, v4
	v_div_scale_f32 v16, s3, v6, v7, v6
	v_rcp_f32_e32 v13, v10
	v_div_scale_f32 v17, s4, v5, v7, v5
	s_wait_loadcnt 0x0
	v_mad_co_u64_u32 v[0:1], null, v0, s25, v[27:28]
	s_delay_alu instid0(TRANS32_DEP_2) | instskip(SKIP_2) | instid1(VALU_DEP_3)
	v_fma_f32 v1, -v4, v9, 1.0
	v_add_f32_e32 v8, 0, v3
	v_div_scale_f32 v3, null, v7, v7, v6
	v_fmac_f32_e32 v9, v1, v9
	s_delay_alu instid0(VALU_DEP_3) | instskip(NEXT) | instid1(VALU_DEP_3)
	v_div_scale_f32 v11, null, v7, v7, v8
	v_rcp_f32_e32 v12, v3
	v_fma_f32 v1, -v10, v13, 1.0
	v_div_scale_f32 v20, s5, v8, v7, v8
	s_delay_alu instid0(VALU_DEP_3) | instskip(SKIP_1) | instid1(VALU_DEP_3)
	v_rcp_f32_e32 v14, v11
	v_lshl_add_u32 v0, v0, 6, v40
	v_fmac_f32_e32 v13, v1, v13
	s_delay_alu instid0(TRANS32_DEP_2) | instskip(NEXT) | instid1(VALU_DEP_2)
	v_fma_f32 v18, -v3, v12, 1.0
	v_mul_f32_e32 v21, v17, v13
	s_delay_alu instid0(TRANS32_DEP_1) | instskip(NEXT) | instid1(VALU_DEP_3)
	v_fma_f32 v19, -v11, v14, 1.0
	v_fmac_f32_e32 v12, v18, v12
	v_mul_f32_e32 v18, v15, v9
	s_delay_alu instid0(VALU_DEP_4) | instskip(NEXT) | instid1(VALU_DEP_3)
	v_fma_f32 v24, -v10, v21, v17
	v_dual_fmac_f32 v14, v19, v14 :: v_dual_mul_f32 v19, v16, v12
	s_delay_alu instid0(VALU_DEP_3) | instskip(NEXT) | instid1(VALU_DEP_2)
	v_fma_f32 v1, -v4, v18, v15
	v_fma_f32 v23, -v3, v19, v16
	s_delay_alu instid0(VALU_DEP_3) | instskip(NEXT) | instid1(VALU_DEP_3)
	v_mul_f32_e32 v22, v20, v14
	v_fmac_f32_e32 v18, v1, v9
	v_ashrrev_i32_e32 v1, 31, v0
	s_delay_alu instid0(VALU_DEP_4) | instskip(NEXT) | instid1(VALU_DEP_4)
	v_fmac_f32_e32 v19, v23, v12
	v_fma_f32 v25, -v11, v22, v20
	s_delay_alu instid0(VALU_DEP_4)
	v_fma_f32 v4, -v4, v18, v15
	v_fmac_f32_e32 v21, v24, v13
	v_lshlrev_b64_e32 v[0:1], 3, v[0:1]
	v_fma_f32 v3, -v3, v19, v16
	v_fmac_f32_e32 v22, v25, v14
	s_wait_alu 0xfffd
	v_div_fmas_f32 v4, v4, v9, v18
	v_fma_f32 v9, -v10, v21, v17
	s_mov_b32 vcc_lo, s4
	v_fma_f32 v10, -v11, v22, v20
	s_delay_alu instid0(VALU_DEP_3)
	v_div_fixup_f32 v2, v4, v7, v2
	s_wait_alu 0xfffe
	v_div_fmas_f32 v4, v9, v13, v21
	s_mov_b32 vcc_lo, s3
	s_wait_alu 0xfffe
	v_div_fmas_f32 v9, v3, v12, v19
	s_mov_b32 vcc_lo, s5
	v_div_fixup_f32 v3, v4, v7, v5
	s_wait_alu 0xfffe
	v_div_fmas_f32 v10, v10, v14, v22
	v_add_co_u32 v4, vcc_lo, s72, v0
	s_wait_alu 0xfffd
	v_add_co_ci_u32_e64 v5, null, s73, v1, vcc_lo
	v_mov_b32_e32 v0, 0
	v_div_fixup_f32 v6, v9, v7, v6
	v_div_fixup_f32 v7, v10, v7, v8
	s_clause 0x1
	global_store_b64 v[4:5], v[2:3], off
	global_store_b64 v[4:5], v[6:7], off offset:256
.LBB25_803:                             ;   in Loop: Header=BB25_9 Depth=1
	s_wait_alu 0xfffe
	s_or_b32 exec_lo, exec_lo, s59
	s_mov_b32 s4, -1
	s_mov_b32 s3, exec_lo
	v_cmpx_gt_i32_e32 50, v0
; %bb.804:                              ;   in Loop: Header=BB25_9 Depth=1
	v_cmp_eq_u32_e32 vcc_lo, 0, v0
	s_or_not1_b32 s4, vcc_lo, exec_lo
; %bb.805:                              ;   in Loop: Header=BB25_9 Depth=1
	s_wait_alu 0xfffe
	s_or_b32 exec_lo, exec_lo, s3
	s_mov_b32 s3, s1
                                        ; implicit-def: $vgpr1
                                        ; implicit-def: $vgpr2
	s_and_saveexec_b32 s41, s4
	s_cbranch_execz .LBB25_857
; %bb.806:                              ;   in Loop: Header=BB25_9 Depth=1
	v_mov_b32_e32 v0, 50
	s_and_saveexec_b32 s59, s40
	s_cbranch_execz .LBB25_808
; %bb.807:                              ;   in Loop: Header=BB25_9 Depth=1
	s_clause 0x1
	scratch_load_b32 v0, off, off offset:668
	scratch_load_b32 v2, off, off offset:680
	s_wait_loadcnt 0x1
	ds_load_2addr_b32 v[0:1], v0 offset1:32
	s_wait_loadcnt 0x0
	ds_load_b32 v7, v2 offset:260
	s_wait_dscnt 0x1
	v_cvt_f32_f16_e32 v2, v0
	v_lshrrev_b32_e32 v0, 16, v0
	v_lshrrev_b32_e32 v3, 16, v1
	v_cvt_f32_f16_e32 v1, v1
	s_delay_alu instid0(VALU_DEP_3) | instskip(SKIP_1) | instid1(VALU_DEP_4)
	v_cvt_f32_f16_e32 v0, v0
	v_add_f32_e32 v2, 0, v2
	v_cvt_f32_f16_e32 v3, v3
	s_delay_alu instid0(VALU_DEP_3)
	v_dual_add_f32 v6, 0, v1 :: v_dual_add_f32 v5, 0, v0
	scratch_load_b32 v0, off, off offset:236 th:TH_LOAD_LU ; 4-byte Folded Reload
	s_wait_dscnt 0x0
	v_div_scale_f32 v4, null, v7, v7, v2
	v_div_scale_f32 v15, vcc_lo, v2, v7, v2
	v_div_scale_f32 v10, null, v7, v7, v5
	s_delay_alu instid0(VALU_DEP_3) | instskip(SKIP_1) | instid1(VALU_DEP_2)
	v_rcp_f32_e32 v9, v4
	v_div_scale_f32 v16, s3, v6, v7, v6
	v_rcp_f32_e32 v13, v10
	v_div_scale_f32 v17, s4, v5, v7, v5
	s_wait_loadcnt 0x0
	v_mad_co_u64_u32 v[0:1], null, v0, s25, v[27:28]
	s_delay_alu instid0(TRANS32_DEP_2) | instskip(SKIP_2) | instid1(VALU_DEP_3)
	v_fma_f32 v1, -v4, v9, 1.0
	v_add_f32_e32 v8, 0, v3
	v_div_scale_f32 v3, null, v7, v7, v6
	v_fmac_f32_e32 v9, v1, v9
	s_delay_alu instid0(VALU_DEP_3) | instskip(NEXT) | instid1(VALU_DEP_3)
	v_div_scale_f32 v11, null, v7, v7, v8
	v_rcp_f32_e32 v12, v3
	v_fma_f32 v1, -v10, v13, 1.0
	v_div_scale_f32 v20, s5, v8, v7, v8
	s_delay_alu instid0(VALU_DEP_3) | instskip(SKIP_1) | instid1(VALU_DEP_3)
	v_rcp_f32_e32 v14, v11
	v_lshl_add_u32 v0, v0, 6, v40
	v_fmac_f32_e32 v13, v1, v13
	s_delay_alu instid0(TRANS32_DEP_2) | instskip(NEXT) | instid1(VALU_DEP_2)
	v_fma_f32 v18, -v3, v12, 1.0
	v_mul_f32_e32 v21, v17, v13
	s_delay_alu instid0(TRANS32_DEP_1) | instskip(NEXT) | instid1(VALU_DEP_3)
	v_fma_f32 v19, -v11, v14, 1.0
	v_fmac_f32_e32 v12, v18, v12
	v_mul_f32_e32 v18, v15, v9
	s_delay_alu instid0(VALU_DEP_4) | instskip(NEXT) | instid1(VALU_DEP_3)
	v_fma_f32 v24, -v10, v21, v17
	v_dual_fmac_f32 v14, v19, v14 :: v_dual_mul_f32 v19, v16, v12
	s_delay_alu instid0(VALU_DEP_3) | instskip(NEXT) | instid1(VALU_DEP_2)
	v_fma_f32 v1, -v4, v18, v15
	v_fma_f32 v23, -v3, v19, v16
	s_delay_alu instid0(VALU_DEP_3) | instskip(NEXT) | instid1(VALU_DEP_3)
	v_mul_f32_e32 v22, v20, v14
	v_fmac_f32_e32 v18, v1, v9
	v_ashrrev_i32_e32 v1, 31, v0
	s_delay_alu instid0(VALU_DEP_4) | instskip(NEXT) | instid1(VALU_DEP_4)
	v_fmac_f32_e32 v19, v23, v12
	v_fma_f32 v25, -v11, v22, v20
	s_delay_alu instid0(VALU_DEP_4)
	v_fma_f32 v4, -v4, v18, v15
	v_fmac_f32_e32 v21, v24, v13
	v_lshlrev_b64_e32 v[0:1], 3, v[0:1]
	v_fma_f32 v3, -v3, v19, v16
	v_fmac_f32_e32 v22, v25, v14
	s_wait_alu 0xfffd
	v_div_fmas_f32 v4, v4, v9, v18
	v_fma_f32 v9, -v10, v21, v17
	s_mov_b32 vcc_lo, s4
	v_fma_f32 v10, -v11, v22, v20
	s_delay_alu instid0(VALU_DEP_3)
	v_div_fixup_f32 v2, v4, v7, v2
	s_wait_alu 0xfffe
	v_div_fmas_f32 v4, v9, v13, v21
	s_mov_b32 vcc_lo, s3
	s_wait_alu 0xfffe
	v_div_fmas_f32 v9, v3, v12, v19
	s_mov_b32 vcc_lo, s5
	v_div_fixup_f32 v3, v4, v7, v5
	s_wait_alu 0xfffe
	v_div_fmas_f32 v10, v10, v14, v22
	v_add_co_u32 v4, vcc_lo, s72, v0
	s_wait_alu 0xfffd
	v_add_co_ci_u32_e64 v5, null, s73, v1, vcc_lo
	v_mov_b32_e32 v0, 0
	v_div_fixup_f32 v6, v9, v7, v6
	v_div_fixup_f32 v7, v10, v7, v8
	s_clause 0x1
	global_store_b64 v[4:5], v[2:3], off
	global_store_b64 v[4:5], v[6:7], off offset:256
.LBB25_808:                             ;   in Loop: Header=BB25_9 Depth=1
	s_wait_alu 0xfffe
	s_or_b32 exec_lo, exec_lo, s59
	s_mov_b32 s4, -1
	s_mov_b32 s3, exec_lo
	v_cmpx_gt_i32_e32 50, v0
; %bb.809:                              ;   in Loop: Header=BB25_9 Depth=1
	v_cmp_eq_u32_e32 vcc_lo, 0, v0
	s_or_not1_b32 s4, vcc_lo, exec_lo
; %bb.810:                              ;   in Loop: Header=BB25_9 Depth=1
	s_wait_alu 0xfffe
	s_or_b32 exec_lo, exec_lo, s3
	s_mov_b32 s3, s1
                                        ; implicit-def: $vgpr1
                                        ; implicit-def: $vgpr2
	s_and_saveexec_b32 s40, s4
	s_cbranch_execz .LBB25_856
; %bb.811:                              ;   in Loop: Header=BB25_9 Depth=1
	v_mov_b32_e32 v0, 50
	s_and_saveexec_b32 s59, s6
	s_cbranch_execz .LBB25_813
; %bb.812:                              ;   in Loop: Header=BB25_9 Depth=1
	s_clause 0x1
	scratch_load_b32 v0, off, off offset:676
	scratch_load_b32 v2, off, off offset:688
	s_wait_loadcnt 0x1
	ds_load_2addr_b32 v[0:1], v0 offset1:32
	s_wait_loadcnt 0x0
	ds_load_b32 v7, v2 offset:260
	s_wait_dscnt 0x1
	v_cvt_f32_f16_e32 v2, v0
	v_lshrrev_b32_e32 v0, 16, v0
	v_lshrrev_b32_e32 v3, 16, v1
	v_cvt_f32_f16_e32 v1, v1
	s_delay_alu instid0(VALU_DEP_3) | instskip(SKIP_1) | instid1(VALU_DEP_4)
	v_cvt_f32_f16_e32 v0, v0
	v_add_f32_e32 v2, 0, v2
	v_cvt_f32_f16_e32 v3, v3
	s_delay_alu instid0(VALU_DEP_3)
	v_dual_add_f32 v6, 0, v1 :: v_dual_add_f32 v5, 0, v0
	scratch_load_b32 v0, off, off offset:240 th:TH_LOAD_LU ; 4-byte Folded Reload
	s_wait_dscnt 0x0
	v_div_scale_f32 v4, null, v7, v7, v2
	v_div_scale_f32 v15, vcc_lo, v2, v7, v2
	v_div_scale_f32 v10, null, v7, v7, v5
	s_delay_alu instid0(VALU_DEP_3) | instskip(SKIP_1) | instid1(VALU_DEP_2)
	v_rcp_f32_e32 v9, v4
	v_div_scale_f32 v16, s3, v6, v7, v6
	v_rcp_f32_e32 v13, v10
	v_div_scale_f32 v17, s4, v5, v7, v5
	s_wait_loadcnt 0x0
	v_mad_co_u64_u32 v[0:1], null, v0, s25, v[27:28]
	s_delay_alu instid0(TRANS32_DEP_2) | instskip(SKIP_2) | instid1(VALU_DEP_3)
	v_fma_f32 v1, -v4, v9, 1.0
	v_add_f32_e32 v8, 0, v3
	v_div_scale_f32 v3, null, v7, v7, v6
	v_fmac_f32_e32 v9, v1, v9
	s_delay_alu instid0(VALU_DEP_3) | instskip(NEXT) | instid1(VALU_DEP_3)
	v_div_scale_f32 v11, null, v7, v7, v8
	v_rcp_f32_e32 v12, v3
	v_fma_f32 v1, -v10, v13, 1.0
	v_div_scale_f32 v20, s5, v8, v7, v8
	s_delay_alu instid0(VALU_DEP_3) | instskip(SKIP_1) | instid1(VALU_DEP_3)
	v_rcp_f32_e32 v14, v11
	v_lshl_add_u32 v0, v0, 6, v40
	v_fmac_f32_e32 v13, v1, v13
	s_delay_alu instid0(TRANS32_DEP_2) | instskip(NEXT) | instid1(VALU_DEP_2)
	v_fma_f32 v18, -v3, v12, 1.0
	v_mul_f32_e32 v21, v17, v13
	s_delay_alu instid0(TRANS32_DEP_1) | instskip(NEXT) | instid1(VALU_DEP_3)
	v_fma_f32 v19, -v11, v14, 1.0
	v_fmac_f32_e32 v12, v18, v12
	v_mul_f32_e32 v18, v15, v9
	s_delay_alu instid0(VALU_DEP_4) | instskip(NEXT) | instid1(VALU_DEP_3)
	v_fma_f32 v24, -v10, v21, v17
	v_dual_fmac_f32 v14, v19, v14 :: v_dual_mul_f32 v19, v16, v12
	s_delay_alu instid0(VALU_DEP_3) | instskip(NEXT) | instid1(VALU_DEP_2)
	v_fma_f32 v1, -v4, v18, v15
	v_fma_f32 v23, -v3, v19, v16
	s_delay_alu instid0(VALU_DEP_3) | instskip(NEXT) | instid1(VALU_DEP_3)
	v_mul_f32_e32 v22, v20, v14
	v_fmac_f32_e32 v18, v1, v9
	v_ashrrev_i32_e32 v1, 31, v0
	s_delay_alu instid0(VALU_DEP_4) | instskip(NEXT) | instid1(VALU_DEP_4)
	v_fmac_f32_e32 v19, v23, v12
	v_fma_f32 v25, -v11, v22, v20
	s_delay_alu instid0(VALU_DEP_4)
	v_fma_f32 v4, -v4, v18, v15
	v_fmac_f32_e32 v21, v24, v13
	v_lshlrev_b64_e32 v[0:1], 3, v[0:1]
	v_fma_f32 v3, -v3, v19, v16
	v_fmac_f32_e32 v22, v25, v14
	s_wait_alu 0xfffd
	v_div_fmas_f32 v4, v4, v9, v18
	v_fma_f32 v9, -v10, v21, v17
	s_mov_b32 vcc_lo, s4
	v_fma_f32 v10, -v11, v22, v20
	s_delay_alu instid0(VALU_DEP_3)
	v_div_fixup_f32 v2, v4, v7, v2
	s_wait_alu 0xfffe
	v_div_fmas_f32 v4, v9, v13, v21
	s_mov_b32 vcc_lo, s3
	s_wait_alu 0xfffe
	v_div_fmas_f32 v9, v3, v12, v19
	s_mov_b32 vcc_lo, s5
	v_div_fixup_f32 v3, v4, v7, v5
	s_wait_alu 0xfffe
	v_div_fmas_f32 v10, v10, v14, v22
	v_add_co_u32 v4, vcc_lo, s72, v0
	s_wait_alu 0xfffd
	v_add_co_ci_u32_e64 v5, null, s73, v1, vcc_lo
	v_mov_b32_e32 v0, 0
	v_div_fixup_f32 v6, v9, v7, v6
	v_div_fixup_f32 v7, v10, v7, v8
	s_clause 0x1
	global_store_b64 v[4:5], v[2:3], off
	global_store_b64 v[4:5], v[6:7], off offset:256
.LBB25_813:                             ;   in Loop: Header=BB25_9 Depth=1
	s_wait_alu 0xfffe
	s_or_b32 exec_lo, exec_lo, s59
	s_mov_b32 s4, -1
	s_mov_b32 s3, exec_lo
	v_cmpx_gt_i32_e32 50, v0
; %bb.814:                              ;   in Loop: Header=BB25_9 Depth=1
	v_cmp_eq_u32_e32 vcc_lo, 0, v0
	s_or_not1_b32 s4, vcc_lo, exec_lo
; %bb.815:                              ;   in Loop: Header=BB25_9 Depth=1
	s_wait_alu 0xfffe
	s_or_b32 exec_lo, exec_lo, s3
	s_mov_b32 s3, s1
                                        ; implicit-def: $vgpr1
                                        ; implicit-def: $vgpr2
	s_and_saveexec_b32 s6, s4
	s_cbranch_execz .LBB25_855
; %bb.816:                              ;   in Loop: Header=BB25_9 Depth=1
	v_mov_b32_e32 v0, 50
	s_and_saveexec_b32 s59, s95
	s_cbranch_execz .LBB25_818
; %bb.817:                              ;   in Loop: Header=BB25_9 Depth=1
	s_clause 0x1
	scratch_load_b32 v0, off, off offset:684
	scratch_load_b32 v2, off, off offset:696
	s_wait_loadcnt 0x1
	ds_load_2addr_b32 v[0:1], v0 offset1:32
	s_wait_loadcnt 0x0
	ds_load_b32 v7, v2 offset:260
	s_wait_dscnt 0x1
	v_cvt_f32_f16_e32 v2, v0
	v_lshrrev_b32_e32 v0, 16, v0
	v_lshrrev_b32_e32 v3, 16, v1
	v_cvt_f32_f16_e32 v1, v1
	s_delay_alu instid0(VALU_DEP_3) | instskip(SKIP_1) | instid1(VALU_DEP_4)
	v_cvt_f32_f16_e32 v0, v0
	v_add_f32_e32 v2, 0, v2
	v_cvt_f32_f16_e32 v3, v3
	s_delay_alu instid0(VALU_DEP_3)
	v_dual_add_f32 v6, 0, v1 :: v_dual_add_f32 v5, 0, v0
	scratch_load_b32 v0, off, off offset:244 th:TH_LOAD_LU ; 4-byte Folded Reload
	s_wait_dscnt 0x0
	v_div_scale_f32 v4, null, v7, v7, v2
	v_div_scale_f32 v15, vcc_lo, v2, v7, v2
	v_div_scale_f32 v10, null, v7, v7, v5
	s_delay_alu instid0(VALU_DEP_3) | instskip(SKIP_1) | instid1(VALU_DEP_2)
	v_rcp_f32_e32 v9, v4
	v_div_scale_f32 v16, s3, v6, v7, v6
	v_rcp_f32_e32 v13, v10
	v_div_scale_f32 v17, s4, v5, v7, v5
	s_wait_loadcnt 0x0
	v_mad_co_u64_u32 v[0:1], null, v0, s25, v[27:28]
	s_delay_alu instid0(TRANS32_DEP_2) | instskip(SKIP_2) | instid1(VALU_DEP_3)
	v_fma_f32 v1, -v4, v9, 1.0
	v_add_f32_e32 v8, 0, v3
	v_div_scale_f32 v3, null, v7, v7, v6
	v_fmac_f32_e32 v9, v1, v9
	s_delay_alu instid0(VALU_DEP_3) | instskip(NEXT) | instid1(VALU_DEP_3)
	v_div_scale_f32 v11, null, v7, v7, v8
	v_rcp_f32_e32 v12, v3
	v_fma_f32 v1, -v10, v13, 1.0
	v_div_scale_f32 v20, s5, v8, v7, v8
	s_delay_alu instid0(VALU_DEP_3) | instskip(SKIP_1) | instid1(VALU_DEP_3)
	v_rcp_f32_e32 v14, v11
	v_lshl_add_u32 v0, v0, 6, v40
	v_fmac_f32_e32 v13, v1, v13
	s_delay_alu instid0(TRANS32_DEP_2) | instskip(NEXT) | instid1(VALU_DEP_2)
	v_fma_f32 v18, -v3, v12, 1.0
	v_mul_f32_e32 v21, v17, v13
	s_delay_alu instid0(TRANS32_DEP_1) | instskip(NEXT) | instid1(VALU_DEP_3)
	v_fma_f32 v19, -v11, v14, 1.0
	v_fmac_f32_e32 v12, v18, v12
	v_mul_f32_e32 v18, v15, v9
	s_delay_alu instid0(VALU_DEP_4) | instskip(NEXT) | instid1(VALU_DEP_3)
	v_fma_f32 v24, -v10, v21, v17
	v_dual_fmac_f32 v14, v19, v14 :: v_dual_mul_f32 v19, v16, v12
	s_delay_alu instid0(VALU_DEP_3) | instskip(NEXT) | instid1(VALU_DEP_2)
	v_fma_f32 v1, -v4, v18, v15
	v_fma_f32 v23, -v3, v19, v16
	s_delay_alu instid0(VALU_DEP_3) | instskip(NEXT) | instid1(VALU_DEP_3)
	v_mul_f32_e32 v22, v20, v14
	v_fmac_f32_e32 v18, v1, v9
	v_ashrrev_i32_e32 v1, 31, v0
	s_delay_alu instid0(VALU_DEP_4) | instskip(NEXT) | instid1(VALU_DEP_4)
	v_fmac_f32_e32 v19, v23, v12
	v_fma_f32 v25, -v11, v22, v20
	s_delay_alu instid0(VALU_DEP_4)
	v_fma_f32 v4, -v4, v18, v15
	v_fmac_f32_e32 v21, v24, v13
	v_lshlrev_b64_e32 v[0:1], 3, v[0:1]
	v_fma_f32 v3, -v3, v19, v16
	v_fmac_f32_e32 v22, v25, v14
	s_wait_alu 0xfffd
	v_div_fmas_f32 v4, v4, v9, v18
	v_fma_f32 v9, -v10, v21, v17
	s_mov_b32 vcc_lo, s4
	v_fma_f32 v10, -v11, v22, v20
	s_delay_alu instid0(VALU_DEP_3)
	v_div_fixup_f32 v2, v4, v7, v2
	s_wait_alu 0xfffe
	v_div_fmas_f32 v4, v9, v13, v21
	s_mov_b32 vcc_lo, s3
	s_wait_alu 0xfffe
	v_div_fmas_f32 v9, v3, v12, v19
	s_mov_b32 vcc_lo, s5
	v_div_fixup_f32 v3, v4, v7, v5
	s_wait_alu 0xfffe
	v_div_fmas_f32 v10, v10, v14, v22
	v_add_co_u32 v4, vcc_lo, s72, v0
	s_wait_alu 0xfffd
	v_add_co_ci_u32_e64 v5, null, s73, v1, vcc_lo
	v_mov_b32_e32 v0, 0
	v_div_fixup_f32 v6, v9, v7, v6
	v_div_fixup_f32 v7, v10, v7, v8
	s_clause 0x1
	global_store_b64 v[4:5], v[2:3], off
	global_store_b64 v[4:5], v[6:7], off offset:256
.LBB25_818:                             ;   in Loop: Header=BB25_9 Depth=1
	s_wait_alu 0xfffe
	s_or_b32 exec_lo, exec_lo, s59
	s_mov_b32 s4, -1
	s_mov_b32 s3, exec_lo
	v_cmpx_gt_i32_e32 50, v0
; %bb.819:                              ;   in Loop: Header=BB25_9 Depth=1
	v_cmp_eq_u32_e32 vcc_lo, 0, v0
	s_or_not1_b32 s4, vcc_lo, exec_lo
; %bb.820:                              ;   in Loop: Header=BB25_9 Depth=1
	s_wait_alu 0xfffe
	s_or_b32 exec_lo, exec_lo, s3
	s_mov_b32 s3, s1
                                        ; implicit-def: $vgpr1
                                        ; implicit-def: $vgpr2
	s_and_saveexec_b32 s59, s4
	s_cbranch_execz .LBB25_854
; %bb.821:                              ;   in Loop: Header=BB25_9 Depth=1
	v_mov_b32_e32 v0, 50
	s_and_saveexec_b32 s74, s49
	s_cbranch_execz .LBB25_823
; %bb.822:                              ;   in Loop: Header=BB25_9 Depth=1
	s_clause 0x1
	scratch_load_b32 v0, off, off offset:692
	scratch_load_b32 v2, off, off offset:704
	s_wait_loadcnt 0x1
	ds_load_2addr_b32 v[0:1], v0 offset1:32
	s_wait_loadcnt 0x0
	ds_load_b32 v7, v2 offset:260
	s_wait_dscnt 0x1
	v_cvt_f32_f16_e32 v2, v0
	v_lshrrev_b32_e32 v0, 16, v0
	v_lshrrev_b32_e32 v3, 16, v1
	v_cvt_f32_f16_e32 v1, v1
	s_delay_alu instid0(VALU_DEP_3) | instskip(SKIP_1) | instid1(VALU_DEP_4)
	v_cvt_f32_f16_e32 v0, v0
	v_add_f32_e32 v2, 0, v2
	v_cvt_f32_f16_e32 v3, v3
	s_delay_alu instid0(VALU_DEP_3)
	v_dual_add_f32 v6, 0, v1 :: v_dual_add_f32 v5, 0, v0
	scratch_load_b32 v0, off, off offset:248 th:TH_LOAD_LU ; 4-byte Folded Reload
	s_wait_dscnt 0x0
	v_div_scale_f32 v4, null, v7, v7, v2
	v_div_scale_f32 v15, vcc_lo, v2, v7, v2
	v_div_scale_f32 v10, null, v7, v7, v5
	s_delay_alu instid0(VALU_DEP_3) | instskip(SKIP_1) | instid1(VALU_DEP_2)
	v_rcp_f32_e32 v9, v4
	v_div_scale_f32 v16, s3, v6, v7, v6
	v_rcp_f32_e32 v13, v10
	v_div_scale_f32 v17, s4, v5, v7, v5
	s_wait_loadcnt 0x0
	v_mad_co_u64_u32 v[0:1], null, v0, s25, v[27:28]
	s_delay_alu instid0(TRANS32_DEP_2) | instskip(SKIP_2) | instid1(VALU_DEP_3)
	v_fma_f32 v1, -v4, v9, 1.0
	v_add_f32_e32 v8, 0, v3
	v_div_scale_f32 v3, null, v7, v7, v6
	v_fmac_f32_e32 v9, v1, v9
	s_delay_alu instid0(VALU_DEP_3) | instskip(NEXT) | instid1(VALU_DEP_3)
	v_div_scale_f32 v11, null, v7, v7, v8
	v_rcp_f32_e32 v12, v3
	v_fma_f32 v1, -v10, v13, 1.0
	v_div_scale_f32 v20, s5, v8, v7, v8
	s_delay_alu instid0(VALU_DEP_3) | instskip(SKIP_1) | instid1(VALU_DEP_3)
	v_rcp_f32_e32 v14, v11
	v_lshl_add_u32 v0, v0, 6, v40
	v_fmac_f32_e32 v13, v1, v13
	s_delay_alu instid0(TRANS32_DEP_2) | instskip(NEXT) | instid1(VALU_DEP_2)
	v_fma_f32 v18, -v3, v12, 1.0
	v_mul_f32_e32 v21, v17, v13
	s_delay_alu instid0(TRANS32_DEP_1) | instskip(NEXT) | instid1(VALU_DEP_3)
	v_fma_f32 v19, -v11, v14, 1.0
	v_fmac_f32_e32 v12, v18, v12
	v_mul_f32_e32 v18, v15, v9
	s_delay_alu instid0(VALU_DEP_4) | instskip(NEXT) | instid1(VALU_DEP_3)
	v_fma_f32 v24, -v10, v21, v17
	v_dual_fmac_f32 v14, v19, v14 :: v_dual_mul_f32 v19, v16, v12
	s_delay_alu instid0(VALU_DEP_3) | instskip(NEXT) | instid1(VALU_DEP_2)
	v_fma_f32 v1, -v4, v18, v15
	v_fma_f32 v23, -v3, v19, v16
	s_delay_alu instid0(VALU_DEP_3) | instskip(NEXT) | instid1(VALU_DEP_3)
	v_mul_f32_e32 v22, v20, v14
	v_fmac_f32_e32 v18, v1, v9
	v_ashrrev_i32_e32 v1, 31, v0
	s_delay_alu instid0(VALU_DEP_4) | instskip(NEXT) | instid1(VALU_DEP_4)
	v_fmac_f32_e32 v19, v23, v12
	v_fma_f32 v25, -v11, v22, v20
	s_delay_alu instid0(VALU_DEP_4)
	v_fma_f32 v4, -v4, v18, v15
	v_fmac_f32_e32 v21, v24, v13
	v_lshlrev_b64_e32 v[0:1], 3, v[0:1]
	v_fma_f32 v3, -v3, v19, v16
	v_fmac_f32_e32 v22, v25, v14
	s_wait_alu 0xfffd
	v_div_fmas_f32 v4, v4, v9, v18
	v_fma_f32 v9, -v10, v21, v17
	s_mov_b32 vcc_lo, s4
	v_fma_f32 v10, -v11, v22, v20
	s_delay_alu instid0(VALU_DEP_3)
	v_div_fixup_f32 v2, v4, v7, v2
	s_wait_alu 0xfffe
	v_div_fmas_f32 v4, v9, v13, v21
	s_mov_b32 vcc_lo, s3
	s_wait_alu 0xfffe
	v_div_fmas_f32 v9, v3, v12, v19
	s_mov_b32 vcc_lo, s5
	v_div_fixup_f32 v3, v4, v7, v5
	s_wait_alu 0xfffe
	v_div_fmas_f32 v10, v10, v14, v22
	v_add_co_u32 v4, vcc_lo, s72, v0
	s_wait_alu 0xfffd
	v_add_co_ci_u32_e64 v5, null, s73, v1, vcc_lo
	v_mov_b32_e32 v0, 0
	v_div_fixup_f32 v6, v9, v7, v6
	v_div_fixup_f32 v7, v10, v7, v8
	s_clause 0x1
	global_store_b64 v[4:5], v[2:3], off
	global_store_b64 v[4:5], v[6:7], off offset:256
.LBB25_823:                             ;   in Loop: Header=BB25_9 Depth=1
	s_or_b32 exec_lo, exec_lo, s74
	s_mov_b32 s4, -1
	s_mov_b32 s3, exec_lo
	v_cmpx_gt_i32_e32 50, v0
; %bb.824:                              ;   in Loop: Header=BB25_9 Depth=1
	v_cmp_eq_u32_e32 vcc_lo, 0, v0
	s_or_not1_b32 s4, vcc_lo, exec_lo
; %bb.825:                              ;   in Loop: Header=BB25_9 Depth=1
	s_wait_alu 0xfffe
	s_or_b32 exec_lo, exec_lo, s3
	s_mov_b32 s3, s1
                                        ; implicit-def: $vgpr1
                                        ; implicit-def: $vgpr2
	s_and_saveexec_b32 s49, s4
	s_cbranch_execz .LBB25_853
; %bb.826:                              ;   in Loop: Header=BB25_9 Depth=1
	v_mov_b32_e32 v0, 50
	s_and_saveexec_b32 s74, s0
	s_cbranch_execz .LBB25_828
; %bb.827:                              ;   in Loop: Header=BB25_9 Depth=1
	s_clause 0x1
	scratch_load_b32 v0, off, off offset:700
	scratch_load_b32 v2, off, off offset:712
	s_wait_loadcnt 0x1
	ds_load_2addr_b32 v[0:1], v0 offset1:32
	s_wait_loadcnt 0x0
	ds_load_b32 v7, v2 offset:260
	s_wait_dscnt 0x1
	v_cvt_f32_f16_e32 v2, v0
	v_lshrrev_b32_e32 v0, 16, v0
	v_lshrrev_b32_e32 v3, 16, v1
	v_cvt_f32_f16_e32 v1, v1
	s_delay_alu instid0(VALU_DEP_3) | instskip(SKIP_1) | instid1(VALU_DEP_4)
	v_cvt_f32_f16_e32 v0, v0
	v_add_f32_e32 v2, 0, v2
	v_cvt_f32_f16_e32 v3, v3
	s_delay_alu instid0(VALU_DEP_3)
	v_dual_add_f32 v6, 0, v1 :: v_dual_add_f32 v5, 0, v0
	scratch_load_b32 v0, off, off offset:252 th:TH_LOAD_LU ; 4-byte Folded Reload
	s_wait_dscnt 0x0
	v_div_scale_f32 v4, null, v7, v7, v2
	v_div_scale_f32 v15, vcc_lo, v2, v7, v2
	v_div_scale_f32 v10, null, v7, v7, v5
	s_delay_alu instid0(VALU_DEP_3) | instskip(SKIP_1) | instid1(VALU_DEP_2)
	v_rcp_f32_e32 v9, v4
	v_div_scale_f32 v16, s3, v6, v7, v6
	v_rcp_f32_e32 v13, v10
	v_div_scale_f32 v17, s4, v5, v7, v5
	s_wait_loadcnt 0x0
	v_mad_co_u64_u32 v[0:1], null, v0, s25, v[27:28]
	s_delay_alu instid0(TRANS32_DEP_2) | instskip(SKIP_2) | instid1(VALU_DEP_3)
	v_fma_f32 v1, -v4, v9, 1.0
	v_add_f32_e32 v8, 0, v3
	v_div_scale_f32 v3, null, v7, v7, v6
	v_fmac_f32_e32 v9, v1, v9
	s_delay_alu instid0(VALU_DEP_3) | instskip(NEXT) | instid1(VALU_DEP_3)
	v_div_scale_f32 v11, null, v7, v7, v8
	v_rcp_f32_e32 v12, v3
	v_fma_f32 v1, -v10, v13, 1.0
	v_div_scale_f32 v20, s5, v8, v7, v8
	s_delay_alu instid0(VALU_DEP_3) | instskip(SKIP_1) | instid1(VALU_DEP_3)
	v_rcp_f32_e32 v14, v11
	v_lshl_add_u32 v0, v0, 6, v40
	v_fmac_f32_e32 v13, v1, v13
	s_delay_alu instid0(TRANS32_DEP_2) | instskip(NEXT) | instid1(VALU_DEP_2)
	v_fma_f32 v18, -v3, v12, 1.0
	v_mul_f32_e32 v21, v17, v13
	s_delay_alu instid0(TRANS32_DEP_1) | instskip(NEXT) | instid1(VALU_DEP_3)
	v_fma_f32 v19, -v11, v14, 1.0
	v_fmac_f32_e32 v12, v18, v12
	v_mul_f32_e32 v18, v15, v9
	s_delay_alu instid0(VALU_DEP_4) | instskip(NEXT) | instid1(VALU_DEP_3)
	v_fma_f32 v24, -v10, v21, v17
	v_dual_fmac_f32 v14, v19, v14 :: v_dual_mul_f32 v19, v16, v12
	s_delay_alu instid0(VALU_DEP_3) | instskip(NEXT) | instid1(VALU_DEP_2)
	v_fma_f32 v1, -v4, v18, v15
	v_fma_f32 v23, -v3, v19, v16
	s_delay_alu instid0(VALU_DEP_3) | instskip(NEXT) | instid1(VALU_DEP_3)
	v_mul_f32_e32 v22, v20, v14
	v_fmac_f32_e32 v18, v1, v9
	v_ashrrev_i32_e32 v1, 31, v0
	s_delay_alu instid0(VALU_DEP_4) | instskip(NEXT) | instid1(VALU_DEP_4)
	v_fmac_f32_e32 v19, v23, v12
	v_fma_f32 v25, -v11, v22, v20
	s_delay_alu instid0(VALU_DEP_4)
	v_fma_f32 v4, -v4, v18, v15
	v_fmac_f32_e32 v21, v24, v13
	v_lshlrev_b64_e32 v[0:1], 3, v[0:1]
	v_fma_f32 v3, -v3, v19, v16
	v_fmac_f32_e32 v22, v25, v14
	s_wait_alu 0xfffd
	v_div_fmas_f32 v4, v4, v9, v18
	v_fma_f32 v9, -v10, v21, v17
	s_mov_b32 vcc_lo, s4
	v_fma_f32 v10, -v11, v22, v20
	s_delay_alu instid0(VALU_DEP_3)
	v_div_fixup_f32 v2, v4, v7, v2
	s_wait_alu 0xfffe
	v_div_fmas_f32 v4, v9, v13, v21
	s_mov_b32 vcc_lo, s3
	s_wait_alu 0xfffe
	v_div_fmas_f32 v9, v3, v12, v19
	s_mov_b32 vcc_lo, s5
	v_div_fixup_f32 v3, v4, v7, v5
	s_wait_alu 0xfffe
	v_div_fmas_f32 v10, v10, v14, v22
	v_add_co_u32 v4, vcc_lo, s72, v0
	s_wait_alu 0xfffd
	v_add_co_ci_u32_e64 v5, null, s73, v1, vcc_lo
	v_mov_b32_e32 v0, 0
	v_div_fixup_f32 v6, v9, v7, v6
	v_div_fixup_f32 v7, v10, v7, v8
	s_clause 0x1
	global_store_b64 v[4:5], v[2:3], off
	global_store_b64 v[4:5], v[6:7], off offset:256
.LBB25_828:                             ;   in Loop: Header=BB25_9 Depth=1
	s_or_b32 exec_lo, exec_lo, s74
	s_mov_b32 s4, -1
	s_mov_b32 s0, exec_lo
	v_cmpx_gt_i32_e32 50, v0
; %bb.829:                              ;   in Loop: Header=BB25_9 Depth=1
	v_cmp_eq_u32_e32 vcc_lo, 0, v0
	s_or_not1_b32 s4, vcc_lo, exec_lo
; %bb.830:                              ;   in Loop: Header=BB25_9 Depth=1
	s_wait_alu 0xfffe
	s_or_b32 exec_lo, exec_lo, s0
	s_mov_b32 s3, s1
                                        ; implicit-def: $vgpr1
                                        ; implicit-def: $vgpr2
	s_and_saveexec_b32 s0, s4
	s_cbranch_execz .LBB25_852
; %bb.831:                              ;   in Loop: Header=BB25_9 Depth=1
	v_mov_b32_e32 v0, 50
	s_and_saveexec_b32 s74, s93
	s_cbranch_execz .LBB25_833
; %bb.832:                              ;   in Loop: Header=BB25_9 Depth=1
	s_clause 0x1
	scratch_load_b32 v0, off, off offset:708
	scratch_load_b32 v2, off, off offset:720
	s_wait_loadcnt 0x1
	ds_load_2addr_b32 v[0:1], v0 offset1:32
	s_wait_loadcnt 0x0
	ds_load_b32 v7, v2 offset:260
	s_wait_dscnt 0x1
	v_cvt_f32_f16_e32 v2, v0
	v_lshrrev_b32_e32 v0, 16, v0
	v_lshrrev_b32_e32 v3, 16, v1
	v_cvt_f32_f16_e32 v1, v1
	s_delay_alu instid0(VALU_DEP_3) | instskip(SKIP_1) | instid1(VALU_DEP_4)
	v_cvt_f32_f16_e32 v0, v0
	v_add_f32_e32 v2, 0, v2
	v_cvt_f32_f16_e32 v3, v3
	s_delay_alu instid0(VALU_DEP_3)
	v_dual_add_f32 v6, 0, v1 :: v_dual_add_f32 v5, 0, v0
	scratch_load_b32 v0, off, off offset:328 th:TH_LOAD_LU ; 4-byte Folded Reload
	s_wait_dscnt 0x0
	v_div_scale_f32 v4, null, v7, v7, v2
	v_div_scale_f32 v15, vcc_lo, v2, v7, v2
	v_div_scale_f32 v10, null, v7, v7, v5
	s_delay_alu instid0(VALU_DEP_3) | instskip(SKIP_1) | instid1(VALU_DEP_2)
	v_rcp_f32_e32 v9, v4
	v_div_scale_f32 v16, s3, v6, v7, v6
	v_rcp_f32_e32 v13, v10
	v_div_scale_f32 v17, s4, v5, v7, v5
	s_wait_loadcnt 0x0
	v_mad_co_u64_u32 v[0:1], null, v0, s25, v[27:28]
	s_delay_alu instid0(TRANS32_DEP_2) | instskip(SKIP_2) | instid1(VALU_DEP_3)
	v_fma_f32 v1, -v4, v9, 1.0
	v_add_f32_e32 v8, 0, v3
	v_div_scale_f32 v3, null, v7, v7, v6
	v_fmac_f32_e32 v9, v1, v9
	s_delay_alu instid0(VALU_DEP_3) | instskip(NEXT) | instid1(VALU_DEP_3)
	v_div_scale_f32 v11, null, v7, v7, v8
	v_rcp_f32_e32 v12, v3
	v_fma_f32 v1, -v10, v13, 1.0
	v_div_scale_f32 v20, s5, v8, v7, v8
	s_delay_alu instid0(VALU_DEP_3) | instskip(SKIP_1) | instid1(VALU_DEP_3)
	v_rcp_f32_e32 v14, v11
	v_lshl_add_u32 v0, v0, 6, v40
	v_fmac_f32_e32 v13, v1, v13
	s_delay_alu instid0(TRANS32_DEP_2) | instskip(NEXT) | instid1(VALU_DEP_2)
	v_fma_f32 v18, -v3, v12, 1.0
	v_mul_f32_e32 v21, v17, v13
	s_delay_alu instid0(TRANS32_DEP_1) | instskip(NEXT) | instid1(VALU_DEP_3)
	v_fma_f32 v19, -v11, v14, 1.0
	v_fmac_f32_e32 v12, v18, v12
	v_mul_f32_e32 v18, v15, v9
	s_delay_alu instid0(VALU_DEP_4) | instskip(NEXT) | instid1(VALU_DEP_3)
	v_fma_f32 v24, -v10, v21, v17
	v_dual_fmac_f32 v14, v19, v14 :: v_dual_mul_f32 v19, v16, v12
	s_delay_alu instid0(VALU_DEP_3) | instskip(NEXT) | instid1(VALU_DEP_2)
	v_fma_f32 v1, -v4, v18, v15
	v_fma_f32 v23, -v3, v19, v16
	s_delay_alu instid0(VALU_DEP_3) | instskip(NEXT) | instid1(VALU_DEP_3)
	v_mul_f32_e32 v22, v20, v14
	v_fmac_f32_e32 v18, v1, v9
	v_ashrrev_i32_e32 v1, 31, v0
	s_delay_alu instid0(VALU_DEP_4) | instskip(NEXT) | instid1(VALU_DEP_4)
	v_fmac_f32_e32 v19, v23, v12
	v_fma_f32 v25, -v11, v22, v20
	s_delay_alu instid0(VALU_DEP_4)
	v_fma_f32 v4, -v4, v18, v15
	v_fmac_f32_e32 v21, v24, v13
	v_lshlrev_b64_e32 v[0:1], 3, v[0:1]
	v_fma_f32 v3, -v3, v19, v16
	v_fmac_f32_e32 v22, v25, v14
	s_wait_alu 0xfffd
	v_div_fmas_f32 v4, v4, v9, v18
	v_fma_f32 v9, -v10, v21, v17
	s_mov_b32 vcc_lo, s4
	v_fma_f32 v10, -v11, v22, v20
	s_delay_alu instid0(VALU_DEP_3)
	v_div_fixup_f32 v2, v4, v7, v2
	s_wait_alu 0xfffe
	v_div_fmas_f32 v4, v9, v13, v21
	s_mov_b32 vcc_lo, s3
	s_wait_alu 0xfffe
	v_div_fmas_f32 v9, v3, v12, v19
	s_mov_b32 vcc_lo, s5
	v_div_fixup_f32 v3, v4, v7, v5
	s_wait_alu 0xfffe
	v_div_fmas_f32 v10, v10, v14, v22
	v_add_co_u32 v4, vcc_lo, s72, v0
	s_wait_alu 0xfffd
	v_add_co_ci_u32_e64 v5, null, s73, v1, vcc_lo
	v_mov_b32_e32 v0, 0
	v_div_fixup_f32 v6, v9, v7, v6
	v_div_fixup_f32 v7, v10, v7, v8
	s_clause 0x1
	global_store_b64 v[4:5], v[2:3], off
	global_store_b64 v[4:5], v[6:7], off offset:256
.LBB25_833:                             ;   in Loop: Header=BB25_9 Depth=1
	s_or_b32 exec_lo, exec_lo, s74
	s_mov_b32 s4, -1
	s_mov_b32 s3, exec_lo
	v_cmpx_gt_i32_e32 50, v0
; %bb.834:                              ;   in Loop: Header=BB25_9 Depth=1
	v_cmp_eq_u32_e32 vcc_lo, 0, v0
	s_or_not1_b32 s4, vcc_lo, exec_lo
; %bb.835:                              ;   in Loop: Header=BB25_9 Depth=1
	s_wait_alu 0xfffe
	s_or_b32 exec_lo, exec_lo, s3
	s_mov_b32 s3, s1
                                        ; implicit-def: $vgpr1
                                        ; implicit-def: $vgpr2
	s_and_saveexec_b32 s74, s4
	s_cbranch_execz .LBB25_851
; %bb.836:                              ;   in Loop: Header=BB25_9 Depth=1
	v_mov_b32_e32 v0, 50
	s_and_saveexec_b32 s75, s92
	s_cbranch_execz .LBB25_838
; %bb.837:                              ;   in Loop: Header=BB25_9 Depth=1
	s_clause 0x1
	scratch_load_b32 v0, off, off offset:716
	scratch_load_b32 v2, off, off offset:728
	s_wait_loadcnt 0x1
	ds_load_2addr_b32 v[0:1], v0 offset1:32
	s_wait_loadcnt 0x0
	ds_load_b32 v7, v2 offset:260
	s_wait_dscnt 0x1
	v_cvt_f32_f16_e32 v2, v0
	v_lshrrev_b32_e32 v0, 16, v0
	v_lshrrev_b32_e32 v3, 16, v1
	v_cvt_f32_f16_e32 v1, v1
	s_delay_alu instid0(VALU_DEP_3) | instskip(SKIP_1) | instid1(VALU_DEP_4)
	v_cvt_f32_f16_e32 v0, v0
	v_add_f32_e32 v2, 0, v2
	v_cvt_f32_f16_e32 v3, v3
	s_delay_alu instid0(VALU_DEP_3)
	v_dual_add_f32 v6, 0, v1 :: v_dual_add_f32 v5, 0, v0
	scratch_load_b32 v0, off, off offset:332 th:TH_LOAD_LU ; 4-byte Folded Reload
	s_wait_dscnt 0x0
	v_div_scale_f32 v4, null, v7, v7, v2
	v_div_scale_f32 v15, vcc_lo, v2, v7, v2
	v_div_scale_f32 v10, null, v7, v7, v5
	s_delay_alu instid0(VALU_DEP_3) | instskip(SKIP_1) | instid1(VALU_DEP_2)
	v_rcp_f32_e32 v9, v4
	v_div_scale_f32 v16, s3, v6, v7, v6
	v_rcp_f32_e32 v13, v10
	v_div_scale_f32 v17, s4, v5, v7, v5
	s_wait_loadcnt 0x0
	v_mad_co_u64_u32 v[0:1], null, v0, s25, v[27:28]
	s_delay_alu instid0(TRANS32_DEP_2) | instskip(SKIP_2) | instid1(VALU_DEP_3)
	v_fma_f32 v1, -v4, v9, 1.0
	v_add_f32_e32 v8, 0, v3
	v_div_scale_f32 v3, null, v7, v7, v6
	v_fmac_f32_e32 v9, v1, v9
	s_delay_alu instid0(VALU_DEP_3) | instskip(NEXT) | instid1(VALU_DEP_3)
	v_div_scale_f32 v11, null, v7, v7, v8
	v_rcp_f32_e32 v12, v3
	v_fma_f32 v1, -v10, v13, 1.0
	v_div_scale_f32 v20, s5, v8, v7, v8
	s_delay_alu instid0(VALU_DEP_3) | instskip(SKIP_1) | instid1(VALU_DEP_3)
	v_rcp_f32_e32 v14, v11
	v_lshl_add_u32 v0, v0, 6, v40
	v_fmac_f32_e32 v13, v1, v13
	s_delay_alu instid0(TRANS32_DEP_2) | instskip(NEXT) | instid1(VALU_DEP_2)
	v_fma_f32 v18, -v3, v12, 1.0
	v_mul_f32_e32 v21, v17, v13
	s_delay_alu instid0(TRANS32_DEP_1) | instskip(NEXT) | instid1(VALU_DEP_3)
	v_fma_f32 v19, -v11, v14, 1.0
	v_fmac_f32_e32 v12, v18, v12
	v_mul_f32_e32 v18, v15, v9
	s_delay_alu instid0(VALU_DEP_4) | instskip(NEXT) | instid1(VALU_DEP_3)
	v_fma_f32 v24, -v10, v21, v17
	v_dual_fmac_f32 v14, v19, v14 :: v_dual_mul_f32 v19, v16, v12
	s_delay_alu instid0(VALU_DEP_3) | instskip(NEXT) | instid1(VALU_DEP_2)
	v_fma_f32 v1, -v4, v18, v15
	v_fma_f32 v23, -v3, v19, v16
	s_delay_alu instid0(VALU_DEP_3) | instskip(NEXT) | instid1(VALU_DEP_3)
	v_mul_f32_e32 v22, v20, v14
	v_fmac_f32_e32 v18, v1, v9
	v_ashrrev_i32_e32 v1, 31, v0
	s_delay_alu instid0(VALU_DEP_4) | instskip(NEXT) | instid1(VALU_DEP_4)
	v_fmac_f32_e32 v19, v23, v12
	v_fma_f32 v25, -v11, v22, v20
	s_delay_alu instid0(VALU_DEP_4)
	v_fma_f32 v4, -v4, v18, v15
	v_fmac_f32_e32 v21, v24, v13
	v_lshlrev_b64_e32 v[0:1], 3, v[0:1]
	v_fma_f32 v3, -v3, v19, v16
	v_fmac_f32_e32 v22, v25, v14
	s_wait_alu 0xfffd
	v_div_fmas_f32 v4, v4, v9, v18
	v_fma_f32 v9, -v10, v21, v17
	s_mov_b32 vcc_lo, s4
	v_fma_f32 v10, -v11, v22, v20
	s_delay_alu instid0(VALU_DEP_3)
	v_div_fixup_f32 v2, v4, v7, v2
	s_wait_alu 0xfffe
	v_div_fmas_f32 v4, v9, v13, v21
	s_mov_b32 vcc_lo, s3
	s_wait_alu 0xfffe
	v_div_fmas_f32 v9, v3, v12, v19
	s_mov_b32 vcc_lo, s5
	v_div_fixup_f32 v3, v4, v7, v5
	s_wait_alu 0xfffe
	v_div_fmas_f32 v10, v10, v14, v22
	v_add_co_u32 v4, vcc_lo, s72, v0
	s_wait_alu 0xfffd
	v_add_co_ci_u32_e64 v5, null, s73, v1, vcc_lo
	v_mov_b32_e32 v0, 0
	v_div_fixup_f32 v6, v9, v7, v6
	v_div_fixup_f32 v7, v10, v7, v8
	s_clause 0x1
	global_store_b64 v[4:5], v[2:3], off
	global_store_b64 v[4:5], v[6:7], off offset:256
.LBB25_838:                             ;   in Loop: Header=BB25_9 Depth=1
	s_or_b32 exec_lo, exec_lo, s75
	s_mov_b32 s4, -1
	s_mov_b32 s3, exec_lo
	v_cmpx_gt_i32_e32 50, v0
; %bb.839:                              ;   in Loop: Header=BB25_9 Depth=1
	v_cmp_eq_u32_e32 vcc_lo, 0, v0
	s_or_not1_b32 s4, vcc_lo, exec_lo
; %bb.840:                              ;   in Loop: Header=BB25_9 Depth=1
	s_wait_alu 0xfffe
	s_or_b32 exec_lo, exec_lo, s3
	s_mov_b32 s3, s1
                                        ; implicit-def: $vgpr1
                                        ; implicit-def: $vgpr2
	s_and_saveexec_b32 s75, s4
	s_cbranch_execz .LBB25_850
; %bb.841:                              ;   in Loop: Header=BB25_9 Depth=1
	v_mov_b32_e32 v0, 50
	s_and_saveexec_b32 s76, s67
	s_cbranch_execz .LBB25_843
; %bb.842:                              ;   in Loop: Header=BB25_9 Depth=1
	s_clause 0x1
	scratch_load_b32 v0, off, off offset:724
	scratch_load_b32 v2, off, off offset:740
	s_wait_loadcnt 0x1
	ds_load_2addr_b32 v[0:1], v0 offset1:32
	s_wait_loadcnt 0x0
	ds_load_b32 v7, v2 offset:260
	s_wait_dscnt 0x1
	v_cvt_f32_f16_e32 v2, v0
	v_lshrrev_b32_e32 v0, 16, v0
	v_lshrrev_b32_e32 v3, 16, v1
	v_cvt_f32_f16_e32 v1, v1
	s_delay_alu instid0(VALU_DEP_3) | instskip(SKIP_1) | instid1(VALU_DEP_4)
	v_cvt_f32_f16_e32 v0, v0
	v_add_f32_e32 v2, 0, v2
	v_cvt_f32_f16_e32 v3, v3
	s_delay_alu instid0(VALU_DEP_3)
	v_dual_add_f32 v6, 0, v1 :: v_dual_add_f32 v5, 0, v0
	scratch_load_b32 v0, off, off offset:336 th:TH_LOAD_LU ; 4-byte Folded Reload
	s_wait_dscnt 0x0
	v_div_scale_f32 v4, null, v7, v7, v2
	v_div_scale_f32 v15, vcc_lo, v2, v7, v2
	v_div_scale_f32 v10, null, v7, v7, v5
	s_delay_alu instid0(VALU_DEP_3) | instskip(SKIP_1) | instid1(VALU_DEP_2)
	v_rcp_f32_e32 v9, v4
	v_div_scale_f32 v16, s3, v6, v7, v6
	v_rcp_f32_e32 v13, v10
	v_div_scale_f32 v17, s4, v5, v7, v5
	s_wait_loadcnt 0x0
	v_mad_co_u64_u32 v[0:1], null, v0, s25, v[27:28]
	s_delay_alu instid0(TRANS32_DEP_2) | instskip(SKIP_2) | instid1(VALU_DEP_3)
	v_fma_f32 v1, -v4, v9, 1.0
	v_add_f32_e32 v8, 0, v3
	v_div_scale_f32 v3, null, v7, v7, v6
	v_fmac_f32_e32 v9, v1, v9
	s_delay_alu instid0(VALU_DEP_3) | instskip(NEXT) | instid1(VALU_DEP_3)
	v_div_scale_f32 v11, null, v7, v7, v8
	v_rcp_f32_e32 v12, v3
	v_fma_f32 v1, -v10, v13, 1.0
	v_div_scale_f32 v20, s5, v8, v7, v8
	s_delay_alu instid0(VALU_DEP_3) | instskip(SKIP_1) | instid1(VALU_DEP_3)
	v_rcp_f32_e32 v14, v11
	v_lshl_add_u32 v0, v0, 6, v40
	v_fmac_f32_e32 v13, v1, v13
	s_delay_alu instid0(TRANS32_DEP_2) | instskip(NEXT) | instid1(VALU_DEP_2)
	v_fma_f32 v18, -v3, v12, 1.0
	v_mul_f32_e32 v21, v17, v13
	s_delay_alu instid0(TRANS32_DEP_1) | instskip(NEXT) | instid1(VALU_DEP_3)
	v_fma_f32 v19, -v11, v14, 1.0
	v_fmac_f32_e32 v12, v18, v12
	v_mul_f32_e32 v18, v15, v9
	s_delay_alu instid0(VALU_DEP_4) | instskip(NEXT) | instid1(VALU_DEP_3)
	v_fma_f32 v24, -v10, v21, v17
	v_dual_fmac_f32 v14, v19, v14 :: v_dual_mul_f32 v19, v16, v12
	s_delay_alu instid0(VALU_DEP_3) | instskip(NEXT) | instid1(VALU_DEP_2)
	v_fma_f32 v1, -v4, v18, v15
	v_fma_f32 v23, -v3, v19, v16
	s_delay_alu instid0(VALU_DEP_3) | instskip(NEXT) | instid1(VALU_DEP_3)
	v_mul_f32_e32 v22, v20, v14
	v_fmac_f32_e32 v18, v1, v9
	v_ashrrev_i32_e32 v1, 31, v0
	s_delay_alu instid0(VALU_DEP_4) | instskip(NEXT) | instid1(VALU_DEP_4)
	v_fmac_f32_e32 v19, v23, v12
	v_fma_f32 v25, -v11, v22, v20
	s_delay_alu instid0(VALU_DEP_4)
	v_fma_f32 v4, -v4, v18, v15
	v_fmac_f32_e32 v21, v24, v13
	v_lshlrev_b64_e32 v[0:1], 3, v[0:1]
	v_fma_f32 v3, -v3, v19, v16
	v_fmac_f32_e32 v22, v25, v14
	s_wait_alu 0xfffd
	v_div_fmas_f32 v4, v4, v9, v18
	v_fma_f32 v9, -v10, v21, v17
	s_mov_b32 vcc_lo, s4
	v_fma_f32 v10, -v11, v22, v20
	s_delay_alu instid0(VALU_DEP_3)
	v_div_fixup_f32 v2, v4, v7, v2
	s_wait_alu 0xfffe
	v_div_fmas_f32 v4, v9, v13, v21
	s_mov_b32 vcc_lo, s3
	s_wait_alu 0xfffe
	v_div_fmas_f32 v9, v3, v12, v19
	s_mov_b32 vcc_lo, s5
	v_div_fixup_f32 v3, v4, v7, v5
	s_wait_alu 0xfffe
	v_div_fmas_f32 v10, v10, v14, v22
	v_add_co_u32 v4, vcc_lo, s72, v0
	s_wait_alu 0xfffd
	v_add_co_ci_u32_e64 v5, null, s73, v1, vcc_lo
	v_mov_b32_e32 v0, 0
	v_div_fixup_f32 v6, v9, v7, v6
	v_div_fixup_f32 v7, v10, v7, v8
	s_clause 0x1
	global_store_b64 v[4:5], v[2:3], off
	global_store_b64 v[4:5], v[6:7], off offset:256
.LBB25_843:                             ;   in Loop: Header=BB25_9 Depth=1
	s_or_b32 exec_lo, exec_lo, s76
	s_mov_b32 s4, -1
	s_mov_b32 s3, exec_lo
	v_cmpx_gt_i32_e32 50, v0
; %bb.844:                              ;   in Loop: Header=BB25_9 Depth=1
	v_cmp_eq_u32_e32 vcc_lo, 0, v0
	s_or_not1_b32 s4, vcc_lo, exec_lo
; %bb.845:                              ;   in Loop: Header=BB25_9 Depth=1
	s_wait_alu 0xfffe
	s_or_b32 exec_lo, exec_lo, s3
	s_mov_b32 s3, s1
                                        ; implicit-def: $vgpr1
                                        ; implicit-def: $vgpr2
	s_and_saveexec_b32 s67, s4
	s_cbranch_execz .LBB25_849
; %bb.846:                              ;   in Loop: Header=BB25_9 Depth=1
	s_mov_b32 s3, s1
                                        ; implicit-def: $vgpr1
                                        ; implicit-def: $vgpr2
	s_and_saveexec_b32 s76, s51
	s_cbranch_execz .LBB25_848
; %bb.847:                              ;   in Loop: Header=BB25_9 Depth=1
	s_clause 0x2
	scratch_load_b32 v0, off, off offset:732
	scratch_load_b32 v2, off, off offset:744
	scratch_load_b32 v5, off, off offset:340 th:TH_LOAD_LU
	s_wait_loadcnt 0x2
	ds_load_2addr_b32 v[0:1], v0 offset1:32
	s_wait_loadcnt 0x1
	ds_load_b32 v2, v2 offset:260
	s_wait_loadcnt 0x0
	v_mul_lo_u32 v5, v5, s25
	s_delay_alu instid0(VALU_DEP_1)
	v_add_lshl_u32 v15, v5, v27, 6
	s_wait_dscnt 0x1
	v_lshrrev_b32_e32 v3, 16, v0
	v_cvt_f32_f16_e32 v0, v0
	v_lshrrev_b32_e32 v4, 16, v1
	v_cvt_f32_f16_e32 v1, v1
	s_delay_alu instid0(VALU_DEP_4) | instskip(NEXT) | instid1(VALU_DEP_4)
	v_cvt_f32_f16_e32 v3, v3
	v_add_f32_e32 v6, 0, v0
	s_delay_alu instid0(VALU_DEP_4) | instskip(NEXT) | instid1(VALU_DEP_3)
	v_cvt_f32_f16_e32 v0, v4
	v_dual_add_f32 v7, 0, v1 :: v_dual_add_f32 v8, 0, v3
	s_wait_dscnt 0x0
	s_delay_alu instid0(VALU_DEP_3) | instskip(NEXT) | instid1(VALU_DEP_2)
	v_div_scale_f32 v3, null, v2, v2, v6
	v_div_scale_f32 v4, null, v2, v2, v7
	v_add_f32_e32 v9, 0, v0
	v_div_scale_f32 v10, null, v2, v2, v8
	s_delay_alu instid0(VALU_DEP_4) | instskip(NEXT) | instid1(VALU_DEP_3)
	v_rcp_f32_e32 v11, v3
	v_rcp_f32_e32 v12, v4
	s_delay_alu instid0(VALU_DEP_2) | instskip(NEXT) | instid1(VALU_DEP_2)
	v_div_scale_f32 v13, null, v2, v2, v9
	v_rcp_f32_e32 v14, v10
	v_div_scale_f32 v17, s3, v7, v2, v7
	s_delay_alu instid0(VALU_DEP_2) | instskip(SKIP_2) | instid1(TRANS32_DEP_3)
	v_rcp_f32_e32 v16, v13
	v_div_scale_f32 v5, vcc_lo, v6, v2, v6
	v_fma_f32 v0, -v3, v11, 1.0
	v_fma_f32 v1, -v4, v12, 1.0
	v_div_scale_f32 v19, s4, v8, v2, v8
	s_delay_alu instid0(TRANS32_DEP_2) | instskip(NEXT) | instid1(VALU_DEP_3)
	v_fma_f32 v18, -v10, v14, 1.0
	v_dual_fmac_f32 v11, v0, v11 :: v_dual_fmac_f32 v12, v1, v12
	s_delay_alu instid0(TRANS32_DEP_1) | instskip(NEXT) | instid1(VALU_DEP_3)
	v_fma_f32 v0, -v13, v16, 1.0
	v_fmac_f32_e32 v14, v18, v14
	v_div_scale_f32 v18, s5, v9, v2, v9
	s_delay_alu instid0(VALU_DEP_4) | instskip(NEXT) | instid1(VALU_DEP_4)
	v_mul_f32_e32 v21, v17, v12
	v_fmac_f32_e32 v16, v0, v16
	v_mul_f32_e32 v20, v5, v11
	s_delay_alu instid0(VALU_DEP_3) | instskip(NEXT) | instid1(VALU_DEP_3)
	v_fma_f32 v24, -v4, v21, v17
	v_dual_mul_f32 v22, v19, v14 :: v_dual_mul_f32 v25, v18, v16
	s_delay_alu instid0(VALU_DEP_3) | instskip(NEXT) | instid1(VALU_DEP_3)
	v_fma_f32 v23, -v3, v20, v5
	v_fmac_f32_e32 v21, v24, v12
	s_delay_alu instid0(VALU_DEP_3) | instskip(NEXT) | instid1(VALU_DEP_3)
	v_fma_f32 v26, -v10, v22, v19
	v_fmac_f32_e32 v20, v23, v11
	v_fma_f32 v23, -v13, v25, v18
	v_add_nc_u32_e32 v0, v40, v15
	s_delay_alu instid0(VALU_DEP_4)
	v_fmac_f32_e32 v22, v26, v14
	v_fma_f32 v4, -v4, v21, v17
	v_fma_f32 v3, -v3, v20, v5
	v_fmac_f32_e32 v25, v23, v16
	v_ashrrev_i32_e32 v1, 31, v0
	v_fma_f32 v5, -v10, v22, v19
	s_wait_alu 0xfffd
	v_div_fmas_f32 v10, v3, v11, v20
	s_mov_b32 vcc_lo, s4
	v_fma_f32 v3, -v13, v25, v18
	s_wait_alu 0xfffe
	v_div_fmas_f32 v11, v5, v14, v22
	s_mov_b32 vcc_lo, s3
	v_lshlrev_b64_e32 v[0:1], 3, v[0:1]
	s_wait_alu 0xfffe
	v_div_fmas_f32 v12, v4, v12, v21
	s_mov_b32 vcc_lo, s5
	v_div_fixup_f32 v5, v10, v2, v6
	s_wait_alu 0xfffe
	v_div_fmas_f32 v13, v3, v16, v25
	v_div_fixup_f32 v6, v11, v2, v8
	v_add_co_u32 v3, vcc_lo, s72, v0
	s_wait_alu 0xfffd
	v_add_co_ci_u32_e64 v4, null, s73, v1, vcc_lo
	v_div_fixup_f32 v0, v12, v2, v7
	v_div_fixup_f32 v1, v13, v2, v9
	scratch_load_b32 v2, off, off offset:736 ; 4-byte Folded Reload
	s_or_b32 s3, s1, exec_lo
	global_store_b64 v[3:4], v[5:6], off
	s_wait_loadcnt 0x0
	v_add_nc_u32_e32 v2, v2, v15
.LBB25_848:                             ;   in Loop: Header=BB25_9 Depth=1
	s_or_b32 exec_lo, exec_lo, s76
	s_delay_alu instid0(SALU_CYCLE_1)
	s_and_not1_b32 s4, s1, exec_lo
	s_wait_alu 0xfffe
	s_and_b32 s3, s3, exec_lo
	s_wait_alu 0xfffe
	s_or_b32 s3, s4, s3
.LBB25_849:                             ;   in Loop: Header=BB25_9 Depth=1
	s_wait_alu 0xfffe
	s_or_b32 exec_lo, exec_lo, s67
	s_delay_alu instid0(SALU_CYCLE_1)
	s_and_not1_b32 s4, s1, exec_lo
	s_and_b32 s3, s3, exec_lo
	s_wait_alu 0xfffe
	s_or_b32 s3, s4, s3
.LBB25_850:                             ;   in Loop: Header=BB25_9 Depth=1
	s_or_b32 exec_lo, exec_lo, s75
	s_delay_alu instid0(SALU_CYCLE_1)
	s_and_not1_b32 s4, s1, exec_lo
	s_wait_alu 0xfffe
	s_and_b32 s3, s3, exec_lo
	s_wait_alu 0xfffe
	s_or_b32 s3, s4, s3
.LBB25_851:                             ;   in Loop: Header=BB25_9 Depth=1
	s_or_b32 exec_lo, exec_lo, s74
	s_delay_alu instid0(SALU_CYCLE_1)
	s_and_not1_b32 s4, s1, exec_lo
	s_wait_alu 0xfffe
	s_and_b32 s3, s3, exec_lo
	s_wait_alu 0xfffe
	s_or_b32 s3, s4, s3
.LBB25_852:                             ;   in Loop: Header=BB25_9 Depth=1
	s_wait_alu 0xfffe
	s_or_b32 exec_lo, exec_lo, s0
	s_delay_alu instid0(SALU_CYCLE_1)
	s_and_not1_b32 s0, s1, exec_lo
	s_and_b32 s3, s3, exec_lo
	s_wait_alu 0xfffe
	s_or_b32 s3, s0, s3
.LBB25_853:                             ;   in Loop: Header=BB25_9 Depth=1
	s_wait_alu 0xfffe
	s_or_b32 exec_lo, exec_lo, s49
	s_delay_alu instid0(SALU_CYCLE_1)
	s_and_not1_b32 s0, s1, exec_lo
	s_and_b32 s3, s3, exec_lo
	s_wait_alu 0xfffe
	s_or_b32 s3, s0, s3
.LBB25_854:                             ;   in Loop: Header=BB25_9 Depth=1
	s_wait_alu 0xfffe
	s_or_b32 exec_lo, exec_lo, s59
	s_delay_alu instid0(SALU_CYCLE_1)
	s_and_not1_b32 s0, s1, exec_lo
	s_and_b32 s3, s3, exec_lo
	s_wait_alu 0xfffe
	s_or_b32 s3, s0, s3
.LBB25_855:                             ;   in Loop: Header=BB25_9 Depth=1
	s_wait_alu 0xfffe
	s_or_b32 exec_lo, exec_lo, s6
	s_delay_alu instid0(SALU_CYCLE_1)
	s_and_not1_b32 s0, s1, exec_lo
	s_and_b32 s3, s3, exec_lo
	s_wait_alu 0xfffe
	s_or_b32 s3, s0, s3
.LBB25_856:                             ;   in Loop: Header=BB25_9 Depth=1
	s_wait_alu 0xfffe
	s_or_b32 exec_lo, exec_lo, s40
	s_delay_alu instid0(SALU_CYCLE_1)
	s_and_not1_b32 s0, s1, exec_lo
	s_and_b32 s3, s3, exec_lo
	s_wait_alu 0xfffe
	s_or_b32 s3, s0, s3
.LBB25_857:                             ;   in Loop: Header=BB25_9 Depth=1
	s_wait_alu 0xfffe
	s_or_b32 exec_lo, exec_lo, s41
	s_delay_alu instid0(SALU_CYCLE_1)
	s_and_not1_b32 s0, s1, exec_lo
	s_and_b32 s3, s3, exec_lo
	s_wait_alu 0xfffe
	s_or_b32 s3, s0, s3
.LBB25_858:                             ;   in Loop: Header=BB25_9 Depth=1
	s_wait_alu 0xfffe
	s_or_b32 exec_lo, exec_lo, s42
	s_delay_alu instid0(SALU_CYCLE_1)
	s_and_not1_b32 s0, s1, exec_lo
	s_and_b32 s3, s3, exec_lo
	s_wait_alu 0xfffe
	s_or_b32 s3, s0, s3
.LBB25_859:                             ;   in Loop: Header=BB25_9 Depth=1
	s_wait_alu 0xfffe
	s_or_b32 exec_lo, exec_lo, s43
	s_delay_alu instid0(SALU_CYCLE_1)
	s_and_not1_b32 s0, s1, exec_lo
	s_and_b32 s3, s3, exec_lo
	s_wait_alu 0xfffe
	s_or_b32 s3, s0, s3
.LBB25_860:                             ;   in Loop: Header=BB25_9 Depth=1
	s_wait_alu 0xfffe
	s_or_b32 exec_lo, exec_lo, s58
	s_delay_alu instid0(SALU_CYCLE_1)
	s_and_not1_b32 s0, s1, exec_lo
	s_and_b32 s3, s3, exec_lo
	s_wait_alu 0xfffe
	s_or_b32 s3, s0, s3
.LBB25_861:                             ;   in Loop: Header=BB25_9 Depth=1
	s_wait_alu 0xfffe
	s_or_b32 exec_lo, exec_lo, s45
	s_delay_alu instid0(SALU_CYCLE_1)
	s_and_not1_b32 s0, s1, exec_lo
	s_and_b32 s3, s3, exec_lo
	s_wait_alu 0xfffe
	s_or_b32 s3, s0, s3
.LBB25_862:                             ;   in Loop: Header=BB25_9 Depth=1
	s_wait_alu 0xfffe
	s_or_b32 exec_lo, exec_lo, s56
	s_delay_alu instid0(SALU_CYCLE_1)
	s_and_not1_b32 s0, s1, exec_lo
	s_and_b32 s1, s3, exec_lo
	s_wait_alu 0xfffe
	s_or_b32 s1, s0, s1
.LBB25_863:                             ;   in Loop: Header=BB25_9 Depth=1
	s_wait_alu 0xfffe
	s_or_b32 exec_lo, exec_lo, s44
.LBB25_864:                             ;   in Loop: Header=BB25_9 Depth=1
	s_wait_alu 0xfffe
	s_and_saveexec_b32 s0, s1
	s_cbranch_execz .LBB25_8
; %bb.865:                              ;   in Loop: Header=BB25_9 Depth=1
	v_ashrrev_i32_e32 v3, 31, v2
	s_delay_alu instid0(VALU_DEP_1) | instskip(NEXT) | instid1(VALU_DEP_1)
	v_lshlrev_b64_e32 v[2:3], 3, v[2:3]
	v_add_co_u32 v2, vcc_lo, s72, v2
	s_wait_alu 0xfffd
	s_delay_alu instid0(VALU_DEP_2)
	v_add_co_ci_u32_e64 v3, null, s73, v3, vcc_lo
	global_store_b64 v[2:3], v[0:1], off
	s_branch .LBB25_8
.LBB25_866:                             ;   in Loop: Header=BB25_9 Depth=1
                                        ; implicit-def: $vgpr62
                                        ; implicit-def: $vgpr63
                                        ; implicit-def: $vgpr65
                                        ; implicit-def: $vgpr66
                                        ; implicit-def: $vgpr67
                                        ; implicit-def: $vgpr57
                                        ; implicit-def: $vgpr59
                                        ; implicit-def: $vgpr61
                                        ; implicit-def: $vgpr55
                                        ; implicit-def: $vgpr56
                                        ; implicit-def: $vgpr58
                                        ; implicit-def: $vgpr60
                                        ; implicit-def: $vgpr51
                                        ; implicit-def: $vgpr52
                                        ; implicit-def: $vgpr53
                                        ; implicit-def: $vgpr54
                                        ; implicit-def: $vgpr49
                                        ; implicit-def: $vgpr44_vgpr45_vgpr46_vgpr47
                                        ; implicit-def: $vgpr40_vgpr41_vgpr42_vgpr43
                                        ; implicit-def: $vgpr36_vgpr37_vgpr38_vgpr39
                                        ; implicit-def: $vgpr32_vgpr33_vgpr34_vgpr35
	s_branch .LBB25_342
.LBB25_867:                             ;   in Loop: Header=BB25_9 Depth=1
                                        ; implicit-def: $vgpr62
                                        ; implicit-def: $vgpr63
                                        ; implicit-def: $vgpr65
                                        ; implicit-def: $vgpr66
                                        ; implicit-def: $vgpr67
                                        ; implicit-def: $vgpr57
                                        ; implicit-def: $vgpr59
                                        ; implicit-def: $vgpr61
                                        ; implicit-def: $vgpr55
                                        ; implicit-def: $vgpr56
                                        ; implicit-def: $vgpr58
                                        ; implicit-def: $vgpr60
                                        ; implicit-def: $vgpr51
                                        ; implicit-def: $vgpr52
                                        ; implicit-def: $vgpr53
                                        ; implicit-def: $vgpr54
                                        ; implicit-def: $vgpr50
                                        ; implicit-def: $vgpr49
                                        ; implicit-def: $vgpr44_vgpr45_vgpr46_vgpr47
                                        ; implicit-def: $vgpr40_vgpr41_vgpr42_vgpr43
                                        ; implicit-def: $vgpr36_vgpr37_vgpr38_vgpr39
                                        ; implicit-def: $vgpr32_vgpr33_vgpr34_vgpr35
	s_branch .LBB25_768
.LBB25_868:
	v_dual_mov_b32 v27, v57 :: v_dual_mov_b32 v28, v58
.LBB25_869:
	s_and_not1_b32 vcc_lo, exec_lo, s0
	v_readlane_b32 s0, v255, 11
	s_add_nc_u64 s[4:5], s[60:61], 0xd0
	v_readlane_b32 s1, v255, 12
	s_wait_alu 0xfffe
	s_cbranch_vccnz .LBB25_1206
; %bb.870:
	s_mov_b32 s30, s0
	s_abs_i32 s0, s98
	s_abs_i32 s3, s48
	s_wait_alu 0xfffe
	s_cvt_f32_u32 s1, s0
	s_sub_co_i32 s2, 0, s0
	s_wait_alu 0xfffe
	s_delay_alu instid0(SALU_CYCLE_1) | instskip(NEXT) | instid1(TRANS32_DEP_1)
	v_rcp_iflag_f32_e32 v0, s1
	v_readfirstlane_b32 s1, v0
	s_mul_f32 s1, s1, 0x4f7ffffe
	s_wait_alu 0xfffe
	s_delay_alu instid0(SALU_CYCLE_2) | instskip(SKIP_1) | instid1(SALU_CYCLE_2)
	s_cvt_u32_f32 s1, s1
	s_wait_alu 0xfffe
	s_mul_i32 s2, s2, s1
	s_wait_alu 0xfffe
	s_mul_hi_u32 s2, s1, s2
	s_wait_alu 0xfffe
	s_add_co_i32 s1, s1, s2
	s_xor_b32 s2, s48, s98
	s_wait_alu 0xfffe
	s_mul_hi_u32 s1, s3, s1
	s_ashr_i32 s2, s2, 31
	s_wait_alu 0xfffe
	s_mul_i32 s6, s1, s0
	s_wait_alu 0xfffe
	s_sub_co_i32 s3, s3, s6
	s_add_co_i32 s6, s1, 1
	s_wait_alu 0xfffe
	s_sub_co_i32 s16, s3, s0
	s_cmp_ge_u32 s3, s0
	s_cselect_b32 s1, s6, s1
	s_cselect_b32 s3, s16, s3
	s_wait_alu 0xfffe
	s_add_co_i32 s6, s1, 1
	s_cmp_ge_u32 s3, s0
	s_wait_alu 0xfffe
	s_cselect_b32 s0, s6, s1
	s_abs_i32 s1, s97
	s_wait_alu 0xfffe
	s_xor_b32 s0, s0, s2
	s_cvt_f32_u32 s3, s1
	s_wait_alu 0xfffe
	s_sub_co_i32 s2, s0, s2
	s_sub_co_i32 s0, 0, s1
	s_wait_alu 0xfffe
	s_mul_i32 s6, s2, s98
	v_rcp_iflag_f32_e32 v0, s3
	s_wait_alu 0xfffe
	s_sub_co_i32 s6, s48, s6
	s_wait_alu 0xfffe
	s_abs_i32 s16, s6
	s_delay_alu instid0(TRANS32_DEP_1) | instskip(SKIP_2) | instid1(SALU_CYCLE_2)
	v_readfirstlane_b32 s3, v0
	s_mul_f32 s3, s3, 0x4f7ffffe
	s_wait_alu 0xfffe
	s_cvt_u32_f32 s3, s3
	s_wait_alu 0xfffe
	s_delay_alu instid0(SALU_CYCLE_2)
	s_mul_i32 s0, s0, s3
	s_wait_alu 0xfffe
	s_mul_hi_u32 s0, s3, s0
	s_wait_alu 0xfffe
	s_add_co_i32 s3, s3, s0
	s_wait_alu 0xfffe
	s_mul_hi_u32 s0, s16, s3
	s_xor_b32 s3, s6, s97
	s_wait_alu 0xfffe
	s_mul_i32 s17, s0, s1
	s_ashr_i32 s3, s3, 31
	s_sub_co_i32 s16, s16, s17
	s_add_co_i32 s17, s0, 1
	s_sub_co_i32 s20, s16, s1
	s_cmp_ge_u32 s16, s1
	s_cselect_b32 s0, s17, s0
	s_cselect_b32 s16, s20, s16
	s_wait_alu 0xfffe
	s_add_co_i32 s17, s0, 1
	s_cmp_ge_u32 s16, s1
	s_cselect_b32 s0, s17, s0
	s_abs_i32 s1, s96
	s_wait_alu 0xfffe
	s_xor_b32 s0, s0, s3
	s_cvt_f32_u32 s16, s1
	s_wait_alu 0xfffe
	s_sub_co_i32 s20, s0, s3
	s_sub_co_i32 s0, 0, s1
	s_mul_i32 s3, s20, s97
	v_rcp_iflag_f32_e32 v0, s16
	s_wait_alu 0xfffe
	s_sub_co_i32 s3, s6, s3
	s_wait_alu 0xfffe
	s_abs_i32 s6, s3
	s_delay_alu instid0(TRANS32_DEP_1) | instskip(SKIP_2) | instid1(SALU_CYCLE_2)
	v_readfirstlane_b32 s16, v0
	s_mul_f32 s16, s16, 0x4f7ffffe
	s_wait_alu 0xfffe
	s_cvt_u32_f32 s16, s16
	s_wait_alu 0xfffe
	s_delay_alu instid0(SALU_CYCLE_2)
	s_mul_i32 s0, s0, s16
	s_wait_alu 0xfffe
	s_mul_hi_u32 s0, s16, s0
	s_wait_alu 0xfffe
	s_add_co_i32 s16, s16, s0
	s_wait_alu 0xfffe
	s_mul_hi_u32 s0, s6, s16
	s_xor_b32 s16, s3, s96
	s_wait_alu 0xfffe
	s_mul_i32 s17, s0, s1
	s_ashr_i32 s16, s16, 31
	s_wait_alu 0xfffe
	s_sub_co_i32 s6, s6, s17
	s_add_co_i32 s17, s0, 1
	s_wait_alu 0xfffe
	s_sub_co_i32 s21, s6, s1
	s_cmp_ge_u32 s6, s1
	s_cselect_b32 s0, s17, s0
	s_cselect_b32 s6, s21, s6
	s_wait_alu 0xfffe
	s_add_co_i32 s17, s0, 1
	s_cmp_ge_u32 s6, s1
	v_readlane_b32 s6, v255, 7
	s_wait_alu 0xfffe
	s_cselect_b32 s0, s17, s0
	s_mov_b32 s17, 0
	s_wait_alu 0xfffe
	s_xor_b32 s0, s0, s16
	s_wait_alu 0xfffe
	s_sub_co_i32 s0, s0, s16
	s_wait_alu 0xfffe
	s_mul_i32 s1, s0, s96
	s_wait_alu 0xfffe
	s_sub_co_i32 s1, s3, s1
	s_wait_alu 0xfffe
	s_abs_i32 s16, s1
	s_ashr_i32 s1, s1, 31
	s_wait_alu 0xfffe
	s_mul_u64 s[40:41], s[16:17], s[52:53]
	s_xor_b32 s1, s1, s6
	s_wait_alu 0xfffe
	s_mul_i32 s3, s41, s55
	s_add_co_i32 s6, s41, 1
	s_wait_alu 0xfffe
	s_sub_co_i32 s3, s16, s3
	s_wait_alu 0xfffe
	s_sub_co_i32 s16, s3, s55
	s_cmp_ge_u32 s3, s55
	s_cselect_b32 s6, s6, s41
	s_wait_alu 0xfffe
	s_cselect_b32 s3, s16, s3
	s_add_co_i32 s16, s6, 1
	s_wait_alu 0xfffe
	s_cmp_ge_u32 s3, s55
	s_cselect_b32 s3, s16, s6
	s_abs_i32 s21, s30
	s_wait_alu 0xfffe
	s_xor_b32 s3, s3, s1
	s_cvt_f32_u32 s6, s21
	s_wait_alu 0xfffe
	s_sub_co_i32 s1, s3, s1
	s_cmp_eq_u64 s[18:19], 0
	v_rcp_iflag_f32_e32 v0, s6
	s_delay_alu instid0(TRANS32_DEP_1)
	v_readfirstlane_b32 s16, v0
	v_mov_b32_e32 v0, s44
	s_cbranch_scc1 .LBB25_872
; %bb.871:
	v_readlane_b32 s3, v255, 0
	v_mov_b32_e32 v0, 0
	s_mul_i32 s3, s2, s3
	s_wait_alu 0xfffe
	s_add_co_i32 s40, s1, s3
	s_wait_alu 0xfffe
	s_ashr_i32 s41, s40, 31
	s_wait_alu 0xfffe
	s_lshl_b64 s[40:41], s[40:41], 2
	s_wait_alu 0xfffe
	s_add_nc_u64 s[18:19], s[18:19], s[40:41]
	global_load_b32 v0, v0, s[18:19]
	s_wait_loadcnt 0x0
	v_ashrrev_i32_e32 v1, 31, v0
	s_delay_alu instid0(VALU_DEP_1) | instskip(NEXT) | instid1(VALU_DEP_1)
	v_lshrrev_b32_e32 v1, 26, v1
	v_add_nc_u32_e32 v0, v0, v1
	s_delay_alu instid0(VALU_DEP_1) | instskip(NEXT) | instid1(VALU_DEP_1)
	v_ashrrev_i32_e32 v0, 6, v0
	v_min_i32_e32 v0, s44, v0
.LBB25_872:
	s_wait_loadcnt 0x1
	v_bfe_u32 v1, v28, 1, 9
	s_lshl_b32 s18, s0, 1
	s_wait_alu 0xfffe
	s_lshl_b32 s6, s1, 5
	v_or_b32_e32 v3, s18, v27
	s_mul_i32 s3, s20, s94
	s_wait_alu 0xfffe
	v_add_nc_u32_e32 v2, s6, v1
	s_mul_i32 s0, s2, s47
	s_add_co_i32 s3, s18, s3
	s_wait_alu 0xfffe
	s_ashr_i32 s1, s0, 31
	s_mul_i32 s18, s3, s46
	s_wait_alu 0xfffe
	s_add_nc_u64 s[8:9], s[8:9], s[0:1]
	v_cmp_le_i32_e64 s0, s24, v2
	v_cmp_le_i32_e64 s1, s94, v3
	v_readlane_b32 s3, v255, 13
	v_lshl_add_u32 v1, v40, 2, 0
	s_ashr_i32 s19, s18, 31
	v_cmp_gt_i32_e32 vcc_lo, s94, v3
	s_or_b32 s0, s0, s1
	s_and_b32 s3, 0xffff, s3
	s_wait_alu 0xfffe
	s_and_saveexec_b32 s1, s0
	s_wait_alu 0xfffe
	s_xor_b32 s0, exec_lo, s1
	s_cbranch_execz .LBB25_874
; %bb.873:
	scratch_load_b32 v2, off, off offset:80 ; 4-byte Folded Reload
	v_mov_b32_e32 v3, 0
	s_wait_loadcnt 0x0
	v_mad_u32_u24 v2, 0x110, v2, v1
	ds_store_2addr_b32 v2, v3, v3 offset1:32
                                        ; implicit-def: $vgpr2
.LBB25_874:
	s_wait_alu 0xfffe
	s_or_saveexec_b32 s1, s0
	scratch_load_b32 v7, off, off offset:636 ; 4-byte Folded Reload
	v_lshlrev_b32_e32 v15, 2, v40
	v_readlane_b32 s27, v255, 10
	s_add_nc_u64 s[8:9], s[8:9], s[18:19]
	s_mul_i32 s18, s3, 0x10001
	s_wait_alu 0xfffe
	s_xor_b32 exec_lo, exec_lo, s1
	s_cbranch_execz .LBB25_876
; %bb.875:
	v_mul_lo_u32 v2, v2, s33
	v_mul_lo_u32 v3, v27, s27
	s_delay_alu instid0(VALU_DEP_1) | instskip(NEXT) | instid1(VALU_DEP_1)
	v_add3_u32 v2, v2, v3, v40
	v_ashrrev_i32_e32 v3, 31, v2
	s_delay_alu instid0(VALU_DEP_1) | instskip(NEXT) | instid1(VALU_DEP_1)
	v_lshlrev_b64_e32 v[2:3], 3, v[2:3]
	v_add_co_u32 v2, s0, s8, v2
	s_wait_alu 0xf1ff
	s_delay_alu instid0(VALU_DEP_2)
	v_add_co_ci_u32_e64 v3, null, s9, v3, s0
	s_clause 0x1
	global_load_b64 v[4:5], v[2:3], off
	global_load_b64 v[2:3], v[2:3], off offset:256
	s_wait_loadcnt 0x1
	v_cvt_f16_f32_e32 v4, v4
	s_wait_loadcnt 0x0
	v_cvt_f16_f32_e32 v2, v2
	v_cvt_f16_f32_e32 v3, v3
	;; [unrolled: 1-line block ×3, first 2 shown]
	s_delay_alu instid0(VALU_DEP_2) | instskip(SKIP_3) | instid1(VALU_DEP_2)
	v_pack_b32_f16 v2, v2, v3
	scratch_load_b32 v3, off, off offset:208 ; 4-byte Folded Reload
	v_pack_b32_f16 v4, v4, v5
	v_pk_mul_f16 v2, v2, s18
	v_pk_mul_f16 v4, v4, s18
	s_wait_loadcnt 0x0
	v_add3_u32 v3, 0, v3, v15
	ds_store_2addr_b32 v3, v4, v2 offset1:32
.LBB25_876:
	s_or_b32 exec_lo, exec_lo, s1
	scratch_load_b32 v2, off, off offset:92 ; 4-byte Folded Reload
	s_xor_b32 s3, vcc_lo, -1
	s_wait_loadcnt 0x0
	v_lshrrev_b32_e32 v2, 1, v2
	s_delay_alu instid0(VALU_DEP_1) | instskip(NEXT) | instid1(VALU_DEP_1)
	v_add_nc_u32_e32 v2, s6, v2
	v_cmp_le_i32_e64 s0, s24, v2
	s_wait_alu 0xfffe
	s_or_b32 s0, s0, s3
	s_wait_alu 0xfffe
	s_and_saveexec_b32 s1, s0
	s_wait_alu 0xfffe
	s_xor_b32 s0, exec_lo, s1
	s_cbranch_execz .LBB25_878
; %bb.877:
	scratch_load_b32 v2, off, off offset:92 ; 4-byte Folded Reload
	v_mov_b32_e32 v3, 0
	s_wait_loadcnt 0x0
	v_mad_u32_u24 v2, 0x110, v2, v1
	ds_store_2addr_b32 v2, v3, v3 offset1:32
                                        ; implicit-def: $vgpr2
.LBB25_878:
	s_wait_alu 0xfffe
	s_and_not1_saveexec_b32 s0, s0
	s_cbranch_execz .LBB25_880
; %bb.879:
	v_mul_lo_u32 v2, v2, s33
	v_mul_lo_u32 v3, v27, s27
	s_delay_alu instid0(VALU_DEP_1) | instskip(NEXT) | instid1(VALU_DEP_1)
	v_add3_u32 v2, v2, v3, v40
	v_ashrrev_i32_e32 v3, 31, v2
	s_delay_alu instid0(VALU_DEP_1) | instskip(NEXT) | instid1(VALU_DEP_1)
	v_lshlrev_b64_e32 v[2:3], 3, v[2:3]
	v_add_co_u32 v2, vcc_lo, s8, v2
	s_wait_alu 0xfffd
	s_delay_alu instid0(VALU_DEP_2)
	v_add_co_ci_u32_e64 v3, null, s9, v3, vcc_lo
	s_clause 0x1
	global_load_b64 v[4:5], v[2:3], off
	global_load_b64 v[2:3], v[2:3], off offset:256
	scratch_load_b32 v6, off, off offset:92 ; 4-byte Folded Reload
	s_wait_loadcnt 0x2
	v_cvt_f16_f32_e32 v4, v4
	v_cvt_f16_f32_e32 v5, v5
	s_wait_loadcnt 0x1
	v_cvt_f16_f32_e32 v2, v2
	v_cvt_f16_f32_e32 v3, v3
	s_wait_loadcnt 0x0
	v_mul_u32_u24_e32 v6, 0x110, v6
	v_pack_b32_f16 v4, v4, v5
	s_delay_alu instid0(VALU_DEP_3) | instskip(NEXT) | instid1(VALU_DEP_3)
	v_pack_b32_f16 v2, v2, v3
	v_add3_u32 v3, 0, v6, v15
	s_delay_alu instid0(VALU_DEP_3) | instskip(NEXT) | instid1(VALU_DEP_3)
	v_pk_mul_f16 v4, v4, s18
	v_pk_mul_f16 v2, v2, s18
	ds_store_2addr_b32 v3, v4, v2 offset1:32
.LBB25_880:
	s_wait_alu 0xfffe
	s_or_b32 exec_lo, exec_lo, s0
	scratch_load_b32 v2, off, off offset:88 ; 4-byte Folded Reload
	s_wait_loadcnt 0x0
	v_lshrrev_b32_e32 v2, 1, v2
	s_delay_alu instid0(VALU_DEP_1) | instskip(NEXT) | instid1(VALU_DEP_1)
	v_add_nc_u32_e32 v2, s6, v2
	v_cmp_le_i32_e32 vcc_lo, s24, v2
	s_or_b32 s0, vcc_lo, s3
	s_wait_alu 0xfffe
	s_and_saveexec_b32 s1, s0
	s_wait_alu 0xfffe
	s_xor_b32 s0, exec_lo, s1
	s_cbranch_execz .LBB25_882
; %bb.881:
	scratch_load_b32 v2, off, off offset:88 ; 4-byte Folded Reload
	v_mov_b32_e32 v3, 0
	s_wait_loadcnt 0x0
	v_mad_u32_u24 v2, 0x110, v2, v1
	ds_store_2addr_b32 v2, v3, v3 offset1:32
                                        ; implicit-def: $vgpr2
.LBB25_882:
	s_wait_alu 0xfffe
	s_and_not1_saveexec_b32 s0, s0
	s_cbranch_execz .LBB25_884
; %bb.883:
	v_mul_lo_u32 v2, v2, s33
	v_mul_lo_u32 v3, v27, s27
	s_delay_alu instid0(VALU_DEP_1) | instskip(NEXT) | instid1(VALU_DEP_1)
	v_add3_u32 v2, v2, v3, v40
	v_ashrrev_i32_e32 v3, 31, v2
	s_delay_alu instid0(VALU_DEP_1) | instskip(NEXT) | instid1(VALU_DEP_1)
	v_lshlrev_b64_e32 v[2:3], 3, v[2:3]
	v_add_co_u32 v2, vcc_lo, s8, v2
	s_wait_alu 0xfffd
	s_delay_alu instid0(VALU_DEP_2)
	v_add_co_ci_u32_e64 v3, null, s9, v3, vcc_lo
	s_clause 0x1
	global_load_b64 v[4:5], v[2:3], off
	global_load_b64 v[2:3], v[2:3], off offset:256
	scratch_load_b32 v6, off, off offset:88 ; 4-byte Folded Reload
	s_wait_loadcnt 0x2
	v_cvt_f16_f32_e32 v4, v4
	v_cvt_f16_f32_e32 v5, v5
	s_wait_loadcnt 0x1
	v_cvt_f16_f32_e32 v2, v2
	v_cvt_f16_f32_e32 v3, v3
	s_wait_loadcnt 0x0
	v_mul_u32_u24_e32 v6, 0x110, v6
	v_pack_b32_f16 v4, v4, v5
	s_delay_alu instid0(VALU_DEP_3) | instskip(NEXT) | instid1(VALU_DEP_3)
	v_pack_b32_f16 v2, v2, v3
	v_add3_u32 v3, 0, v6, v15
	s_delay_alu instid0(VALU_DEP_3) | instskip(NEXT) | instid1(VALU_DEP_3)
	v_pk_mul_f16 v4, v4, s18
	v_pk_mul_f16 v2, v2, s18
	ds_store_2addr_b32 v3, v4, v2 offset1:32
.LBB25_884:
	s_wait_alu 0xfffe
	s_or_b32 exec_lo, exec_lo, s0
	scratch_load_b32 v2, off, off offset:80 ; 4-byte Folded Reload
	s_wait_loadcnt 0x0
	v_add_nc_u32_e32 v2, 12, v2
	s_delay_alu instid0(VALU_DEP_1) | instskip(NEXT) | instid1(VALU_DEP_1)
	v_lshrrev_b32_e32 v2, 1, v2
	v_add_nc_u32_e32 v2, s6, v2
	s_delay_alu instid0(VALU_DEP_1)
	v_cmp_le_i32_e32 vcc_lo, s24, v2
	s_or_b32 s0, vcc_lo, s3
	s_wait_alu 0xfffe
	s_and_saveexec_b32 s1, s0
	s_wait_alu 0xfffe
	s_xor_b32 s0, exec_lo, s1
	s_cbranch_execz .LBB25_886
; %bb.885:
	scratch_load_b32 v2, off, off offset:80 ; 4-byte Folded Reload
	s_wait_loadcnt 0x0
	v_dual_mov_b32 v3, 0 :: v_dual_add_nc_u32 v2, 12, v2
	s_delay_alu instid0(VALU_DEP_1)
	v_mad_u32_u24 v2, 0x110, v2, v1
	ds_store_2addr_b32 v2, v3, v3 offset1:32
                                        ; implicit-def: $vgpr2
.LBB25_886:
	s_wait_alu 0xfffe
	s_and_not1_saveexec_b32 s0, s0
	s_cbranch_execz .LBB25_888
; %bb.887:
	v_mul_lo_u32 v2, v2, s33
	v_mul_lo_u32 v3, v27, s27
	s_delay_alu instid0(VALU_DEP_1) | instskip(NEXT) | instid1(VALU_DEP_1)
	v_add3_u32 v2, v2, v3, v40
	v_ashrrev_i32_e32 v3, 31, v2
	s_delay_alu instid0(VALU_DEP_1) | instskip(NEXT) | instid1(VALU_DEP_1)
	v_lshlrev_b64_e32 v[2:3], 3, v[2:3]
	v_add_co_u32 v2, vcc_lo, s8, v2
	s_wait_alu 0xfffd
	s_delay_alu instid0(VALU_DEP_2)
	v_add_co_ci_u32_e64 v3, null, s9, v3, vcc_lo
	s_clause 0x1
	global_load_b64 v[4:5], v[2:3], off
	global_load_b64 v[2:3], v[2:3], off offset:256
	scratch_load_b32 v6, off, off offset:80 ; 4-byte Folded Reload
	s_wait_loadcnt 0x2
	v_cvt_f16_f32_e32 v4, v4
	v_cvt_f16_f32_e32 v5, v5
	s_wait_loadcnt 0x1
	v_cvt_f16_f32_e32 v2, v2
	v_cvt_f16_f32_e32 v3, v3
	s_wait_loadcnt 0x0
	v_add_nc_u32_e32 v6, 12, v6
	v_pack_b32_f16 v4, v4, v5
	s_delay_alu instid0(VALU_DEP_3) | instskip(NEXT) | instid1(VALU_DEP_3)
	v_pack_b32_f16 v2, v2, v3
	v_mul_u32_u24_e32 v6, 0x110, v6
	s_delay_alu instid0(VALU_DEP_3) | instskip(NEXT) | instid1(VALU_DEP_3)
	v_pk_mul_f16 v4, v4, s18
	v_pk_mul_f16 v2, v2, s18
	s_delay_alu instid0(VALU_DEP_3)
	v_add3_u32 v3, 0, v6, v15
	ds_store_2addr_b32 v3, v4, v2 offset1:32
.LBB25_888:
	s_wait_alu 0xfffe
	s_or_b32 exec_lo, exec_lo, s0
	scratch_load_b32 v2, off, off offset:80 ; 4-byte Folded Reload
	s_wait_loadcnt 0x0
	v_add_nc_u32_e32 v2, 16, v2
	s_delay_alu instid0(VALU_DEP_1) | instskip(NEXT) | instid1(VALU_DEP_1)
	v_lshrrev_b32_e32 v2, 1, v2
	v_add_nc_u32_e32 v2, s6, v2
	s_delay_alu instid0(VALU_DEP_1)
	v_cmp_le_i32_e32 vcc_lo, s24, v2
	s_or_b32 s0, vcc_lo, s3
	s_wait_alu 0xfffe
	s_and_saveexec_b32 s1, s0
	s_wait_alu 0xfffe
	s_xor_b32 s0, exec_lo, s1
	s_cbranch_execz .LBB25_890
; %bb.889:
	scratch_load_b32 v2, off, off offset:80 ; 4-byte Folded Reload
	s_wait_loadcnt 0x0
	v_dual_mov_b32 v3, 0 :: v_dual_add_nc_u32 v2, 16, v2
	s_delay_alu instid0(VALU_DEP_1)
	v_mad_u32_u24 v2, 0x110, v2, v1
	ds_store_2addr_b32 v2, v3, v3 offset1:32
                                        ; implicit-def: $vgpr2
.LBB25_890:
	s_wait_alu 0xfffe
	s_and_not1_saveexec_b32 s0, s0
	s_cbranch_execz .LBB25_892
; %bb.891:
	v_mul_lo_u32 v2, v2, s33
	v_mul_lo_u32 v3, v27, s27
	s_delay_alu instid0(VALU_DEP_1) | instskip(NEXT) | instid1(VALU_DEP_1)
	v_add3_u32 v2, v2, v3, v40
	v_ashrrev_i32_e32 v3, 31, v2
	s_delay_alu instid0(VALU_DEP_1) | instskip(NEXT) | instid1(VALU_DEP_1)
	v_lshlrev_b64_e32 v[2:3], 3, v[2:3]
	v_add_co_u32 v2, vcc_lo, s8, v2
	s_wait_alu 0xfffd
	s_delay_alu instid0(VALU_DEP_2)
	v_add_co_ci_u32_e64 v3, null, s9, v3, vcc_lo
	s_clause 0x1
	global_load_b64 v[4:5], v[2:3], off
	global_load_b64 v[2:3], v[2:3], off offset:256
	scratch_load_b32 v6, off, off offset:80 ; 4-byte Folded Reload
	s_wait_loadcnt 0x2
	v_cvt_f16_f32_e32 v4, v4
	v_cvt_f16_f32_e32 v5, v5
	s_wait_loadcnt 0x1
	v_cvt_f16_f32_e32 v2, v2
	v_cvt_f16_f32_e32 v3, v3
	s_wait_loadcnt 0x0
	v_add_nc_u32_e32 v6, 16, v6
	v_pack_b32_f16 v4, v4, v5
	s_delay_alu instid0(VALU_DEP_3) | instskip(NEXT) | instid1(VALU_DEP_3)
	v_pack_b32_f16 v2, v2, v3
	v_mul_u32_u24_e32 v6, 0x110, v6
	s_delay_alu instid0(VALU_DEP_3) | instskip(NEXT) | instid1(VALU_DEP_3)
	v_pk_mul_f16 v4, v4, s18
	v_pk_mul_f16 v2, v2, s18
	s_delay_alu instid0(VALU_DEP_3)
	v_add3_u32 v3, 0, v6, v15
	ds_store_2addr_b32 v3, v4, v2 offset1:32
.LBB25_892:
	;; [unrolled: 63-line block ×9, first 2 shown]
	s_wait_alu 0xfffe
	s_or_b32 exec_lo, exec_lo, s0
	scratch_load_b32 v2, off, off offset:80 ; 4-byte Folded Reload
	s_wait_loadcnt 0x0
	v_add_nc_u32_e32 v2, 48, v2
	s_delay_alu instid0(VALU_DEP_1) | instskip(NEXT) | instid1(VALU_DEP_1)
	v_lshrrev_b32_e32 v2, 1, v2
	v_add_nc_u32_e32 v2, s6, v2
	s_delay_alu instid0(VALU_DEP_1)
	v_cmp_le_i32_e32 vcc_lo, s24, v2
	s_or_b32 s0, vcc_lo, s3
	s_wait_alu 0xfffe
	s_and_saveexec_b32 s1, s0
	s_wait_alu 0xfffe
	s_xor_b32 s0, exec_lo, s1
	s_cbranch_execz .LBB25_922
; %bb.921:
	scratch_load_b32 v2, off, off offset:80 ; 4-byte Folded Reload
	s_wait_loadcnt 0x0
	v_dual_mov_b32 v3, 0 :: v_dual_add_nc_u32 v2, 48, v2
	s_delay_alu instid0(VALU_DEP_1)
	v_mad_u32_u24 v2, 0x110, v2, v1
	ds_store_2addr_b32 v2, v3, v3 offset1:32
                                        ; implicit-def: $vgpr2
.LBB25_922:
	s_wait_alu 0xfffe
	s_or_saveexec_b32 s1, s0
	s_mul_f32 s0, s16, 0x4f7ffffe
	s_wait_alu 0xfffe
	s_xor_b32 exec_lo, exec_lo, s1
	s_cbranch_execz .LBB25_924
; %bb.923:
	v_mul_lo_u32 v2, v2, s33
	v_mul_lo_u32 v3, v27, s27
	s_delay_alu instid0(VALU_DEP_1) | instskip(NEXT) | instid1(VALU_DEP_1)
	v_add3_u32 v2, v2, v3, v40
	v_ashrrev_i32_e32 v3, 31, v2
	s_delay_alu instid0(VALU_DEP_1) | instskip(NEXT) | instid1(VALU_DEP_1)
	v_lshlrev_b64_e32 v[2:3], 3, v[2:3]
	v_add_co_u32 v2, vcc_lo, s8, v2
	s_wait_alu 0xfffd
	s_delay_alu instid0(VALU_DEP_2)
	v_add_co_ci_u32_e64 v3, null, s9, v3, vcc_lo
	s_clause 0x1
	global_load_b64 v[4:5], v[2:3], off
	global_load_b64 v[2:3], v[2:3], off offset:256
	scratch_load_b32 v6, off, off offset:80 ; 4-byte Folded Reload
	s_wait_loadcnt 0x2
	v_cvt_f16_f32_e32 v4, v4
	v_cvt_f16_f32_e32 v5, v5
	s_wait_loadcnt 0x1
	v_cvt_f16_f32_e32 v2, v2
	v_cvt_f16_f32_e32 v3, v3
	s_wait_loadcnt 0x0
	v_add_nc_u32_e32 v6, 48, v6
	v_pack_b32_f16 v4, v4, v5
	s_delay_alu instid0(VALU_DEP_3) | instskip(NEXT) | instid1(VALU_DEP_3)
	v_pack_b32_f16 v2, v2, v3
	v_mul_u32_u24_e32 v6, 0x110, v6
	s_delay_alu instid0(VALU_DEP_3) | instskip(NEXT) | instid1(VALU_DEP_3)
	v_pk_mul_f16 v4, v4, s18
	v_pk_mul_f16 v2, v2, s18
	s_delay_alu instid0(VALU_DEP_3)
	v_add3_u32 v3, 0, v6, v15
	ds_store_2addr_b32 v3, v4, v2 offset1:32
.LBB25_924:
	s_or_b32 exec_lo, exec_lo, s1
	scratch_load_b32 v2, off, off offset:80 ; 4-byte Folded Reload
	s_cvt_u32_f32 s0, s0
	s_sub_co_i32 s1, 0, s21
	s_wait_loadcnt 0x0
	v_add_nc_u32_e32 v2, 52, v2
	s_delay_alu instid0(VALU_DEP_1) | instskip(NEXT) | instid1(VALU_DEP_1)
	v_lshrrev_b32_e32 v2, 1, v2
	v_add_nc_u32_e32 v2, s6, v2
	s_delay_alu instid0(VALU_DEP_1)
	v_cmp_le_i32_e32 vcc_lo, s24, v2
	s_or_b32 s16, vcc_lo, s3
	s_wait_alu 0xfffe
	s_and_saveexec_b32 s19, s16
	s_wait_alu 0xfffe
	s_xor_b32 s16, exec_lo, s19
	s_cbranch_execz .LBB25_926
; %bb.925:
	scratch_load_b32 v2, off, off offset:80 ; 4-byte Folded Reload
	s_wait_loadcnt 0x0
	v_dual_mov_b32 v3, 0 :: v_dual_add_nc_u32 v2, 52, v2
	s_delay_alu instid0(VALU_DEP_1)
	v_mad_u32_u24 v2, 0x110, v2, v1
	ds_store_2addr_b32 v2, v3, v3 offset1:32
                                        ; implicit-def: $vgpr2
.LBB25_926:
	s_wait_alu 0xfffe
	s_or_saveexec_b32 s16, s16
	s_mul_i32 s1, s1, s0
	s_wait_alu 0xfffe
	s_xor_b32 exec_lo, exec_lo, s16
	s_cbranch_execz .LBB25_928
; %bb.927:
	v_mul_lo_u32 v2, v2, s33
	v_mul_lo_u32 v3, v27, s27
	s_delay_alu instid0(VALU_DEP_1) | instskip(NEXT) | instid1(VALU_DEP_1)
	v_add3_u32 v2, v2, v3, v40
	v_ashrrev_i32_e32 v3, 31, v2
	s_delay_alu instid0(VALU_DEP_1) | instskip(NEXT) | instid1(VALU_DEP_1)
	v_lshlrev_b64_e32 v[2:3], 3, v[2:3]
	v_add_co_u32 v2, vcc_lo, s8, v2
	s_wait_alu 0xfffd
	s_delay_alu instid0(VALU_DEP_2)
	v_add_co_ci_u32_e64 v3, null, s9, v3, vcc_lo
	s_clause 0x1
	global_load_b64 v[4:5], v[2:3], off
	global_load_b64 v[2:3], v[2:3], off offset:256
	scratch_load_b32 v6, off, off offset:80 ; 4-byte Folded Reload
	s_wait_loadcnt 0x2
	v_cvt_f16_f32_e32 v4, v4
	v_cvt_f16_f32_e32 v5, v5
	s_wait_loadcnt 0x1
	v_cvt_f16_f32_e32 v2, v2
	v_cvt_f16_f32_e32 v3, v3
	s_wait_loadcnt 0x0
	v_add_nc_u32_e32 v6, 52, v6
	v_pack_b32_f16 v4, v4, v5
	s_delay_alu instid0(VALU_DEP_3) | instskip(NEXT) | instid1(VALU_DEP_3)
	v_pack_b32_f16 v2, v2, v3
	v_mul_u32_u24_e32 v6, 0x110, v6
	s_delay_alu instid0(VALU_DEP_3) | instskip(NEXT) | instid1(VALU_DEP_3)
	v_pk_mul_f16 v4, v4, s18
	v_pk_mul_f16 v2, v2, s18
	s_delay_alu instid0(VALU_DEP_3)
	v_add3_u32 v3, 0, v6, v15
	ds_store_2addr_b32 v3, v4, v2 offset1:32
.LBB25_928:
	s_or_b32 exec_lo, exec_lo, s16
	scratch_load_b32 v2, off, off offset:80 ; 4-byte Folded Reload
	s_mul_hi_u32 s19, s0, s1
	s_wait_loadcnt 0x0
	v_add_nc_u32_e32 v2, 56, v2
	s_delay_alu instid0(VALU_DEP_1) | instskip(NEXT) | instid1(VALU_DEP_1)
	v_lshrrev_b32_e32 v2, 1, v2
	v_add_nc_u32_e32 v2, s6, v2
	s_delay_alu instid0(VALU_DEP_1)
	v_cmp_le_i32_e32 vcc_lo, s24, v2
	s_or_b32 s1, vcc_lo, s3
	s_wait_alu 0xfffe
	s_and_saveexec_b32 s16, s1
	s_wait_alu 0xfffe
	s_xor_b32 s1, exec_lo, s16
	s_cbranch_execz .LBB25_930
; %bb.929:
	scratch_load_b32 v2, off, off offset:80 ; 4-byte Folded Reload
	s_wait_loadcnt 0x0
	v_dual_mov_b32 v3, 0 :: v_dual_add_nc_u32 v2, 56, v2
	s_delay_alu instid0(VALU_DEP_1)
	v_mad_u32_u24 v2, 0x110, v2, v1
	ds_store_2addr_b32 v2, v3, v3 offset1:32
                                        ; implicit-def: $vgpr2
.LBB25_930:
	s_wait_alu 0xfffe
	s_or_saveexec_b32 s1, s1
	s_abs_i32 s16, s2
	s_add_co_i32 s0, s0, s19
	s_wait_alu 0xfffe
	s_xor_b32 exec_lo, exec_lo, s1
	s_cbranch_execz .LBB25_932
; %bb.931:
	v_mul_lo_u32 v2, v2, s33
	v_mul_lo_u32 v3, v27, s27
	s_delay_alu instid0(VALU_DEP_1) | instskip(NEXT) | instid1(VALU_DEP_1)
	v_add3_u32 v2, v2, v3, v40
	v_ashrrev_i32_e32 v3, 31, v2
	s_delay_alu instid0(VALU_DEP_1) | instskip(NEXT) | instid1(VALU_DEP_1)
	v_lshlrev_b64_e32 v[2:3], 3, v[2:3]
	v_add_co_u32 v2, vcc_lo, s8, v2
	s_wait_alu 0xfffd
	s_delay_alu instid0(VALU_DEP_2)
	v_add_co_ci_u32_e64 v3, null, s9, v3, vcc_lo
	s_clause 0x1
	global_load_b64 v[4:5], v[2:3], off
	global_load_b64 v[2:3], v[2:3], off offset:256
	scratch_load_b32 v6, off, off offset:80 ; 4-byte Folded Reload
	s_wait_loadcnt 0x2
	v_cvt_f16_f32_e32 v4, v4
	v_cvt_f16_f32_e32 v5, v5
	s_wait_loadcnt 0x1
	v_cvt_f16_f32_e32 v2, v2
	v_cvt_f16_f32_e32 v3, v3
	s_wait_loadcnt 0x0
	v_add_nc_u32_e32 v6, 56, v6
	v_pack_b32_f16 v4, v4, v5
	s_delay_alu instid0(VALU_DEP_3) | instskip(NEXT) | instid1(VALU_DEP_3)
	v_pack_b32_f16 v2, v2, v3
	v_mul_u32_u24_e32 v6, 0x110, v6
	s_delay_alu instid0(VALU_DEP_3) | instskip(NEXT) | instid1(VALU_DEP_3)
	v_pk_mul_f16 v4, v4, s18
	v_pk_mul_f16 v2, v2, s18
	s_delay_alu instid0(VALU_DEP_3)
	v_add3_u32 v3, 0, v6, v15
	ds_store_2addr_b32 v3, v4, v2 offset1:32
.LBB25_932:
	s_or_b32 exec_lo, exec_lo, s1
	v_lshrrev_b32_e32 v2, 1, v7
	s_mov_b32 s1, s17
	s_delay_alu instid0(VALU_DEP_1) | instskip(NEXT) | instid1(VALU_DEP_1)
	v_add_nc_u32_e32 v2, s6, v2
	v_cmp_le_i32_e32 vcc_lo, s24, v2
	s_or_b32 s3, vcc_lo, s3
	s_wait_alu 0xfffe
	s_and_saveexec_b32 s19, s3
	s_wait_alu 0xfffe
	s_xor_b32 s3, exec_lo, s19
; %bb.933:
	v_mad_u32_u24 v1, 0x110, v7, v1
	v_mov_b32_e32 v2, 0
                                        ; implicit-def: $vgpr27
	ds_store_2addr_b32 v1, v2, v2 offset1:32
                                        ; implicit-def: $vgpr2
; %bb.934:
	s_wait_alu 0xfffe
	s_or_saveexec_b32 s19, s3
	s_mul_u64 s[0:1], s[16:17], s[0:1]
	s_ashr_i32 s3, s2, 31
	s_wait_alu 0xfffe
	s_xor_b32 exec_lo, exec_lo, s19
	s_cbranch_execz .LBB25_936
; %bb.935:
	v_mul_lo_u32 v1, v2, s33
	v_mul_lo_u32 v2, v27, s27
	v_mul_u32_u24_e32 v5, 0x110, v7
	s_delay_alu instid0(VALU_DEP_2) | instskip(NEXT) | instid1(VALU_DEP_1)
	v_add3_u32 v1, v1, v2, v40
	v_ashrrev_i32_e32 v2, 31, v1
	s_delay_alu instid0(VALU_DEP_1) | instskip(NEXT) | instid1(VALU_DEP_1)
	v_lshlrev_b64_e32 v[1:2], 3, v[1:2]
	v_add_co_u32 v1, vcc_lo, s8, v1
	s_wait_alu 0xfffd
	s_delay_alu instid0(VALU_DEP_2)
	v_add_co_ci_u32_e64 v2, null, s9, v2, vcc_lo
	s_clause 0x1
	global_load_b64 v[3:4], v[1:2], off
	global_load_b64 v[1:2], v[1:2], off offset:256
	s_wait_loadcnt 0x1
	v_cvt_f16_f32_e32 v3, v3
	v_cvt_f16_f32_e32 v4, v4
	s_wait_loadcnt 0x0
	v_cvt_f16_f32_e32 v1, v1
	v_cvt_f16_f32_e32 v2, v2
	s_delay_alu instid0(VALU_DEP_3) | instskip(NEXT) | instid1(VALU_DEP_2)
	v_pack_b32_f16 v3, v3, v4
	v_pack_b32_f16 v1, v1, v2
	v_add3_u32 v2, 0, v5, v15
	s_delay_alu instid0(VALU_DEP_3) | instskip(NEXT) | instid1(VALU_DEP_3)
	v_pk_mul_f16 v3, v3, s18
	v_pk_mul_f16 v1, v1, s18
	ds_store_2addr_b32 v2, v3, v1 offset1:32
.LBB25_936:
	s_or_b32 exec_lo, exec_lo, s19
	scratch_load_b32 v14, off, off offset:80 ; 4-byte Folded Reload
	v_lshrrev_b32_e32 v2, 2, v40
	v_dual_mov_b32 v97, 0 :: v_dual_and_b32 v4, 15, v40
	v_readlane_b32 s8, v255, 8
	v_readlane_b32 s9, v255, 9
	s_delay_alu instid0(VALU_DEP_4) | instskip(NEXT) | instid1(VALU_DEP_4)
	v_and_b32_e32 v1, 0xfc, v2
	v_mul_u32_u24_e32 v16, 0x110, v4
	s_mul_i32 s1, s1, s21
	scratch_store_b32 off, v4, off offset:52 ; 4-byte Folded Spill
	s_mul_i32 s0, s20, s9
	v_lshlrev_b32_e32 v17, 2, v1
	s_wait_alu 0xfffe
	s_sub_co_i32 s8, s16, s1
	s_ashr_i32 s1, s0, 31
	s_wait_alu 0xfffe
	s_sub_co_i32 s9, s8, s21
	s_wait_storecnt 0x0
	s_wait_loadcnt_dscnt 0x0
	s_barrier_signal -1
	s_barrier_wait -1
	global_inv scope:SCOPE_SE
	s_cmp_ge_u32 s8, s21
	s_mul_u64 s[16:17], s[28:29], s[2:3]
	s_wait_alu 0xfffe
	s_cselect_b32 s8, s9, s8
	s_add_nc_u64 s[10:11], s[10:11], s[16:17]
	s_wait_alu 0xfffe
	s_sub_co_i32 s9, s8, s21
	s_cmp_ge_u32 s8, s21
	v_readlane_b32 s16, v255, 5
	s_wait_alu 0xfffe
	s_cselect_b32 s8, s9, s8
	v_readlane_b32 s17, v255, 6
	s_wait_alu 0xfffe
	s_xor_b32 s8, s8, s3
	v_add_nc_u32_e32 v231, -1, v0
	s_wait_alu 0xfffe
	s_sub_co_i32 s8, s8, s3
	s_mov_b32 s18, -1
	s_wait_alu 0xfffe
	s_ashr_i32 s9, s8, 31
	s_wait_alu 0xfffe
	s_mul_u64 s[8:9], s[16:17], s[8:9]
	v_readlane_b32 s16, v255, 3
	v_readlane_b32 s17, v255, 4
	v_cmp_lt_i32_e32 vcc_lo, s51, v231
	s_mul_u64 s[16:17], s[16:17], s[2:3]
	s_mul_i32 s2, s20, s31
	s_wait_alu 0xfffe
	s_add_nc_u64 s[16:17], s[12:13], s[16:17]
	s_ashr_i32 s3, s2, 31
	s_movk_i32 s12, 0x110
	s_and_b32 vcc_lo, exec_lo, vcc_lo
	v_mad_u32_u24 v3, 0x1100, v14, 0
	s_delay_alu instid0(VALU_DEP_1)
	v_add3_u32 v1, v3, v16, v17
	v_lshlrev_b32_e32 v3, 1, v40
	ds_load_b128 v[92:95], v1
	ds_load_b128 v[88:91], v1 offset:32
	ds_load_b128 v[84:87], v1 offset:64
	;; [unrolled: 1-line block ×7, first 2 shown]
	s_wait_loadcnt_dscnt 0x0
	s_barrier_signal -1
	s_barrier_wait -1
	global_inv scope:SCOPE_SE
	s_wait_alu 0xfffe
	s_cbranch_vccnz .LBB25_940
; %bb.937:
	s_clause 0x1
	scratch_load_b32 v1, off, off offset:92
	scratch_load_b32 v4, off, off offset:88
	s_ashr_i32 s35, s34, 31
	v_add_nc_u32_e32 v0, s6, v14
	v_add_nc_u32_e32 v8, 12, v14
	s_movk_i32 s13, 0x240
	s_movk_i32 s18, 0x480
	s_wait_alu 0xfffe
	v_mad_u32_u24 v18, 0x90, v14, s13
	v_mul_hi_u32 v5, s36, v0
	v_add_nc_u32_e32 v8, s6, v8
	v_mul_u32_u24_e32 v6, 0x90, v14
	v_add_nc_u32_e32 v9, 16, v14
	scratch_store_b32 off, v18, off offset:140 ; 4-byte Folded Spill
	v_mad_u32_u24 v18, 0x90, v14, s18
	v_mul_hi_u32 v10, s36, v8
	s_movk_i32 s13, 0x6c0
	v_add_nc_u32_e32 v5, v0, v5
	v_add_nc_u32_e32 v9, s6, v9
	scratch_store_b32 off, v18, off offset:144 ; 4-byte Folded Spill
	v_add_nc_u32_e32 v11, 20, v14
	v_add_nc_u32_e32 v13, 24, v14
	v_lshrrev_b32_e32 v5, s37, v5
	v_add_nc_u32_e32 v10, v8, v10
	v_mul_hi_u32 v12, s36, v9
	v_add_nc_u32_e32 v11, s6, v11
	v_add_nc_u32_e32 v13, s6, v13
	v_mul_lo_u32 v5, v5, s24
	v_lshrrev_b32_e32 v10, s37, v10
	s_movk_i32 s18, 0x880
	v_dual_mov_b32 v178, 0 :: v_dual_and_b32 v177, 60, v15
	v_add_nc_u32_e32 v12, v9, v12
	s_delay_alu instid0(VALU_DEP_4) | instskip(SKIP_1) | instid1(VALU_DEP_1)
	v_sub_nc_u32_e32 v0, v0, v5
	v_mul_lo_u32 v5, v10, s24
	v_sub_nc_u32_e32 v5, v8, v5
	s_delay_alu instid0(VALU_DEP_1)
	v_mad_co_i64_i32 v[18:19], null, v5, s38, 0
	scratch_store_b32 off, v6, off          ; 4-byte Folded Spill
	s_wait_loadcnt 0x1
	v_add_nc_u32_e32 v1, s6, v1
	s_wait_loadcnt 0x0
	v_add_nc_u32_e32 v4, s6, v4
	s_delay_alu instid0(VALU_DEP_2) | instskip(NEXT) | instid1(VALU_DEP_2)
	v_mul_hi_u32 v6, s36, v1
	v_mul_hi_u32 v7, s36, v4
	s_delay_alu instid0(VALU_DEP_2) | instskip(NEXT) | instid1(VALU_DEP_2)
	v_add_nc_u32_e32 v6, v1, v6
	v_add_nc_u32_e32 v7, v4, v7
	s_delay_alu instid0(VALU_DEP_2) | instskip(NEXT) | instid1(VALU_DEP_2)
	v_lshrrev_b32_e32 v6, s37, v6
	v_lshrrev_b32_e32 v7, s37, v7
	s_delay_alu instid0(VALU_DEP_2) | instskip(NEXT) | instid1(VALU_DEP_2)
	v_mul_lo_u32 v6, v6, s24
	v_mul_lo_u32 v7, v7, s24
	s_delay_alu instid0(VALU_DEP_2) | instskip(NEXT) | instid1(VALU_DEP_2)
	v_sub_nc_u32_e32 v1, v1, v6
	v_sub_nc_u32_e32 v4, v4, v7
	v_mad_co_i64_i32 v[6:7], null, v0, s38, 0
	s_delay_alu instid0(VALU_DEP_3) | instskip(SKIP_3) | instid1(VALU_DEP_1)
	v_mad_co_i64_i32 v[0:1], null, v1, s38, 0
	scratch_store_b64 off, v[6:7], off offset:20 ; 8-byte Folded Spill
	v_mad_co_i64_i32 v[6:7], null, v4, s38, 0
	v_lshrrev_b32_e32 v4, s37, v12
	v_mul_lo_u32 v4, v4, s24
	scratch_store_b64 off, v[6:7], off offset:28 ; 8-byte Folded Spill
	v_add_nc_u32_e32 v6, 28, v14
	s_wait_alu 0xfffe
	v_mad_u32_u24 v7, 0x90, v14, s13
	s_movk_i32 s13, 0x900
	s_delay_alu instid0(VALU_DEP_2) | instskip(SKIP_3) | instid1(VALU_DEP_2)
	v_add_nc_u32_e32 v6, s6, v6
	scratch_store_b32 off, v7, off offset:148 ; 4-byte Folded Spill
	v_sub_nc_u32_e32 v4, v9, v4
	v_mul_hi_u32 v7, s36, v6
	v_mad_co_i64_i32 v[187:188], null, v4, s38, 0
	s_delay_alu instid0(VALU_DEP_2) | instskip(SKIP_3) | instid1(VALU_DEP_2)
	v_add_nc_u32_e32 v5, v6, v7
	s_wait_alu 0xfffe
	v_mad_u32_u24 v7, 0x90, v14, s13
	s_movk_i32 s13, 0xb40
	v_lshrrev_b32_e32 v4, s37, v5
	s_wait_alu 0xfffe
	v_mad_u32_u24 v5, 0x90, v14, s13
	scratch_store_b64 off, v[0:1], off offset:12 ; 8-byte Folded Spill
	v_mul_hi_u32 v0, s36, v11
	v_mul_hi_u32 v1, s36, v13
	v_mul_lo_u32 v4, v4, s24
	s_movk_i32 s13, 0xd80
	scratch_store_b32 off, v5, off offset:4 ; 4-byte Folded Spill
	v_lshrrev_b32_e32 v5, 4, v40
	v_add_nc_u32_e32 v0, v11, v0
	v_add_nc_u32_e32 v1, v13, v1
	s_delay_alu instid0(VALU_DEP_3) | instskip(NEXT) | instid1(VALU_DEP_3)
	v_lshl_add_u32 v5, v14, 1, v5
	v_lshrrev_b32_e32 v0, s37, v0
	s_delay_alu instid0(VALU_DEP_3) | instskip(NEXT) | instid1(VALU_DEP_3)
	v_lshrrev_b32_e32 v1, s37, v1
	v_mul_lo_u32 v191, s34, v5
	s_delay_alu instid0(VALU_DEP_3) | instskip(NEXT) | instid1(VALU_DEP_3)
	v_mul_lo_u32 v0, v0, s24
	v_mul_lo_u32 v1, v1, s24
	s_delay_alu instid0(VALU_DEP_3) | instskip(NEXT) | instid1(VALU_DEP_3)
	v_ashrrev_i32_e32 v192, 31, v191
	v_sub_nc_u32_e32 v0, v11, v0
	s_delay_alu instid0(VALU_DEP_3) | instskip(NEXT) | instid1(VALU_DEP_2)
	v_sub_nc_u32_e32 v1, v13, v1
	v_mad_co_i64_i32 v[193:194], null, v0, s38, 0
	s_wait_alu 0xfffe
	v_mad_u32_u24 v0, 0x90, v14, s13
	scratch_store_b32 off, v7, off offset:152 ; 4-byte Folded Spill
	s_movk_i32 s13, 0xfc0
	v_mad_co_i64_i32 v[189:190], null, v1, s38, 0
	scratch_store_b32 off, v0, off offset:156 ; 4-byte Folded Spill
	v_sub_nc_u32_e32 v0, v6, v4
	s_wait_alu 0xfffe
	v_mad_u32_u24 v1, 0x90, v14, s13
	s_lshl_b32 s13, s34, 3
	s_wait_alu 0xfffe
	v_add_nc_u32_e32 v195, s13, v191
	v_mad_co_i64_i32 v[197:198], null, v0, s38, 0
	v_mul_u32_u24_e32 v0, 0x110, v5
	s_delay_alu instid0(VALU_DEP_3)
	v_add_nc_u32_e32 v199, s13, v195
	v_ashrrev_i32_e32 v196, 31, v195
	scratch_store_b32 off, v0, off offset:160 ; 4-byte Folded Spill
	v_add_nc_u32_e32 v0, 8, v5
	s_clause 0x1
	scratch_store_b64 off, v[18:19], off offset:36
	scratch_store_b32 off, v1, off offset:164
	v_add_nc_u32_e32 v201, s13, v199
	v_ashrrev_i32_e32 v200, 31, v199
	scratch_store_b32 off, v0, off offset:76 ; 4-byte Folded Spill
	v_mad_u32_u24 v0, 0x110, v5, s18
	s_mov_b32 s18, 0
	v_add_nc_u32_e32 v203, s13, v201
	v_ashrrev_i32_e32 v202, 31, v201
	scratch_store_b32 off, v0, off offset:168 ; 4-byte Folded Spill
	v_add_nc_u32_e32 v0, 16, v5
	v_add_nc_u32_e32 v205, s13, v203
	v_ashrrev_i32_e32 v204, 31, v203
	scratch_store_b32 off, v0, off offset:84 ; 4-byte Folded Spill
	v_mad_u32_u24 v0, v5, s12, 0x1100
	s_movk_i32 s12, 0x1980
	v_add_nc_u32_e32 v207, s13, v205
	v_ashrrev_i32_e32 v206, 31, v205
	scratch_store_b32 off, v0, off offset:172 ; 4-byte Folded Spill
	v_add_nc_u32_e32 v0, 24, v5
	v_add_nc_u32_e32 v209, s13, v207
	v_ashrrev_i32_e32 v208, 31, v207
	scratch_store_b32 off, v0, off offset:104 ; 4-byte Folded Spill
	s_wait_alu 0xfffe
	v_mad_u32_u24 v0, 0x110, v5, s12
	s_movk_i32 s12, 0x2200
	v_ashrrev_i32_e32 v210, 31, v209
	scratch_store_b32 off, v0, off offset:180 ; 4-byte Folded Spill
	v_add_nc_u32_e32 v0, 32, v5
	scratch_store_b32 off, v0, off offset:112 ; 4-byte Folded Spill
	s_wait_alu 0xfffe
	v_mad_u32_u24 v0, 0x110, v5, s12
	s_movk_i32 s12, 0x2a80
	scratch_store_b32 off, v0, off offset:184 ; 4-byte Folded Spill
	v_add_nc_u32_e32 v0, 40, v5
	scratch_store_b32 off, v0, off offset:116 ; 4-byte Folded Spill
	s_wait_alu 0xfffe
	v_mad_u32_u24 v0, 0x110, v5, s12
	s_movk_i32 s12, 0x3300
	;; [unrolled: 6-line block ×3, first 2 shown]
	scratch_store_b32 off, v0, off offset:196 ; 4-byte Folded Spill
	v_add_nc_u32_e32 v0, 56, v5
	s_clause 0x1
	scratch_store_b32 off, v0, off offset:124
	scratch_store_b32 off, v5, off offset:72
	s_wait_alu 0xfffe
	v_mad_u32_u24 v0, 0x110, v5, s12
	scratch_store_b32 off, v0, off offset:200 ; 4-byte Folded Spill
	v_dual_mov_b32 v0, s34 :: v_dual_mov_b32 v1, s35
	s_branch .LBB25_941
.LBB25_938:
                                        ; implicit-def: $sgpr48_sgpr49
	s_load_b64 s[46:47], s[60:61], 0x74
	v_cvt_f32_u32_e32 v1, s22
	s_branch .LBB25_2
.LBB25_939:
                                        ; implicit-def: $sgpr54_sgpr55
	s_load_b64 s[36:37], s[60:61], 0x5c
	s_branch .LBB25_5
.LBB25_940:
                                        ; implicit-def: $vgpr4
                                        ; kill: killed $vgpr4
                                        ; implicit-def: $vgpr0
                                        ; kill: killed $vgpr0
                                        ; implicit-def: $vgpr187_vgpr188
                                        ; implicit-def: $vgpr193_vgpr194
                                        ; implicit-def: $vgpr189_vgpr190
                                        ; implicit-def: $vgpr197_vgpr198
                                        ; implicit-def: $vgpr177
                                        ; implicit-def: $vgpr191_vgpr192
                                        ; implicit-def: $vgpr195_vgpr196
                                        ; implicit-def: $vgpr199_vgpr200
                                        ; implicit-def: $vgpr201_vgpr202
                                        ; implicit-def: $vgpr203_vgpr204
                                        ; implicit-def: $vgpr205_vgpr206
                                        ; implicit-def: $vgpr207_vgpr208
                                        ; implicit-def: $vgpr209_vgpr210
                                        ; implicit-def: $vgpr4
                                        ; kill: killed $vgpr4
                                        ; implicit-def: $vgpr0_vgpr1
                                        ; kill: killed $vgpr0_vgpr1
                                        ; implicit-def: $vgpr4
                                        ; kill: killed $vgpr4
                                        ; implicit-def: $vgpr0
                                        ; kill: killed $vgpr0
                                        ; implicit-def: $vgpr4
                                        ; kill: killed $vgpr4
                                        ; implicit-def: $vgpr0_vgpr1
                                        ; kill: killed $vgpr0_vgpr1
                                        ; implicit-def: $vgpr4
                                        ; kill: killed $vgpr4
                                        ; implicit-def: $vgpr0
                                        ; kill: killed $vgpr0
	;; [unrolled: 8-line block ×4, first 2 shown]
                                        ; implicit-def: $vgpr4
                                        ; kill: killed $vgpr4
                                        ; implicit-def: $vgpr0
                                        ; kill: killed $vgpr0
                                        ; implicit-def: $vgpr4
                                        ; kill: killed $vgpr4
                                        ; implicit-def: $vgpr0
                                        ; kill: killed $vgpr0
	;; [unrolled: 4-line block ×3, first 2 shown]
                                        ; implicit-def: $vgpr4
                                        ; kill: killed $vgpr4
                                        ; implicit-def: $vgpr0_vgpr1
                                        ; implicit-def: $vgpr4
                                        ; kill: killed $vgpr4
                                        ; implicit-def: $vgpr4
                                        ; kill: killed $vgpr4
	;; [unrolled: 2-line block ×3, first 2 shown]
.LBB25_941:
	v_lshl_or_b32 v13, v2, 2, 12
	v_lshlrev_b32_e32 v11, 1, v2
	v_and_b32_e32 v2, 15, v40
	v_lshlrev_b32_e32 v7, 1, v3
	v_mbcnt_lo_u32_b32 v12, -1, 0
	s_add_nc_u64 s[10:11], s[10:11], s[0:1]
	s_add_nc_u64 s[12:13], s[14:15], s[8:9]
	v_lshlrev_b32_e32 v25, 2, v2
	s_and_not1_b32 vcc_lo, exec_lo, s18
	s_add_nc_u64 s[8:9], s[16:17], s[2:3]
	s_clause 0x6
	scratch_store_b32 off, v15, off offset:44
	scratch_store_b32 off, v25, off offset:60
	;; [unrolled: 1-line block ×7, first 2 shown]
	s_wait_alu 0xfffe
	s_cbranch_vccnz .LBB25_1073
; %bb.942:
	s_clause 0x2
	scratch_load_b32 v10, off, off offset:80
	scratch_load_b32 v1, off, off offset:92
	;; [unrolled: 1-line block ×3, first 2 shown]
	v_dual_mov_b32 v242, 0xfeffffff :: v_dual_add_nc_u32 v185, 0, v7
	v_add_co_u32 v236, s0, s12, v7
	s_wait_alu 0xf1ff
	v_add_co_ci_u32_e64 v237, null, s13, 0, s0
	s_movk_i32 s0, 0x240
	s_movk_i32 s1, 0x880
	v_or_b32_e32 v22, 7, v11
	v_add3_u32 v250, 0, v16, v17
	s_ashr_i32 s35, s34, 31
	s_ashr_i32 s27, s26, 31
	s_lshl_b32 s14, s51, 6
	v_mul_u32_u24_e32 v22, 0x110, v22
	s_mov_b32 s3, 0xbbbac73d
	v_dual_mov_b32 v178, 0 :: v_dual_and_b32 v177, 60, v15
	v_or_b32_e32 v15, 6, v11
	s_delay_alu instid0(VALU_DEP_3) | instskip(NEXT) | instid1(VALU_DEP_3)
	v_add3_u32 v232, 0, v22, v25
	v_mov_b32_e32 v33, v178
	v_mov_b32_e32 v35, v178
	;; [unrolled: 1-line block ×4, first 2 shown]
	v_dual_mov_b32 v43, v178 :: v_dual_mov_b32 v38, v178
	v_mul_u32_u24_e32 v24, 0x110, v15
	v_dual_mov_b32 v230, v178 :: v_dual_lshlrev_b32 v233, 2, v177
	v_mov_b32_e32 v39, v178
	v_mov_b32_e32 v45, v178
	s_delay_alu instid0(VALU_DEP_4)
	v_add3_u32 v227, 0, v24, v25
	v_dual_mov_b32 v32, v178 :: v_dual_mov_b32 v47, v178
	v_dual_mov_b32 v36, v178 :: v_dual_mov_b32 v51, v178
	;; [unrolled: 1-line block ×3, first 2 shown]
	v_mov_b32_e32 v49, v178
	v_dual_mov_b32 v59, v178 :: v_dual_mov_b32 v42, v178
	v_dual_mov_b32 v53, v178 :: v_dual_mov_b32 v54, v178
	v_mov_b32_e32 v44, v178
	v_mov_b32_e32 v46, v178
	;; [unrolled: 1-line block ×3, first 2 shown]
	v_dual_mov_b32 v58, v178 :: v_dual_mov_b32 v55, v178
	v_dual_mov_b32 v60, v178 :: v_dual_mov_b32 v63, v178
	;; [unrolled: 1-line block ×3, first 2 shown]
	v_mov_b32_e32 v56, v178
	v_mov_b32_e32 v52, v178
	;; [unrolled: 1-line block ×3, first 2 shown]
	s_wait_loadcnt 0x2
	v_add_nc_u32_e32 v0, s6, v10
	s_wait_loadcnt 0x1
	v_add_nc_u32_e32 v1, s6, v1
	;; [unrolled: 2-line block ×3, first 2 shown]
	v_add_nc_u32_e32 v6, 12, v10
	v_add_nc_u32_e32 v8, 16, v10
	v_mul_hi_u32 v3, s36, v0
	v_mul_hi_u32 v4, s36, v1
	;; [unrolled: 1-line block ×3, first 2 shown]
	v_add_nc_u32_e32 v6, s6, v6
	v_mul_u32_u24_e32 v9, 0x90, v10
	v_add_nc_u32_e32 v8, s6, v8
	v_add_nc_u32_e32 v3, v0, v3
	;; [unrolled: 1-line block ×4, first 2 shown]
	v_mul_hi_u32 v7, s36, v6
	s_delay_alu instid0(VALU_DEP_4) | instskip(NEXT) | instid1(VALU_DEP_4)
	v_lshrrev_b32_e32 v3, s37, v3
	v_lshrrev_b32_e32 v4, s37, v4
	s_delay_alu instid0(VALU_DEP_4) | instskip(NEXT) | instid1(VALU_DEP_3)
	v_lshrrev_b32_e32 v5, s37, v5
	v_mul_lo_u32 v3, v3, s24
	s_delay_alu instid0(VALU_DEP_3) | instskip(NEXT) | instid1(VALU_DEP_3)
	v_mul_lo_u32 v4, v4, s24
	v_mul_lo_u32 v5, v5, s24
	v_add_nc_u32_e32 v7, v6, v7
	s_delay_alu instid0(VALU_DEP_4) | instskip(NEXT) | instid1(VALU_DEP_4)
	v_sub_nc_u32_e32 v0, v0, v3
	v_sub_nc_u32_e32 v1, v1, v4
	s_delay_alu instid0(VALU_DEP_4) | instskip(NEXT) | instid1(VALU_DEP_4)
	v_sub_nc_u32_e32 v2, v2, v5
	v_lshrrev_b32_e32 v3, s37, v7
	s_delay_alu instid0(VALU_DEP_4) | instskip(NEXT) | instid1(VALU_DEP_4)
	v_mad_co_i64_i32 v[4:5], null, v0, s38, 0
	v_mad_co_i64_i32 v[0:1], null, v1, s38, 0
	scratch_store_b32 off, v9, off          ; 4-byte Folded Spill
	s_wait_alu 0xfffe
	v_mad_u32_u24 v9, 0x90, v10, s0
	s_movk_i32 s0, 0x480
	v_mad_co_i64_i32 v[18:19], null, v2, s38, 0
	s_clause 0x1
	scratch_store_b64 off, v[4:5], off offset:20
	scratch_store_b64 off, v[0:1], off offset:12
	v_add_nc_u32_e32 v0, 20, v10
	v_mul_lo_u32 v1, v3, s24
	s_wait_alu 0xfffe
	v_mad_u32_u24 v3, 0x90, v10, s0
	scratch_store_b32 off, v9, off offset:140 ; 4-byte Folded Spill
	v_mul_hi_u32 v9, s36, v8
	v_add_nc_u32_e32 v0, s6, v0
	s_movk_i32 s0, 0x6c0
	scratch_store_b32 off, v3, off offset:144 ; 4-byte Folded Spill
	v_add_nc_u32_e32 v3, 24, v10
	v_sub_nc_u32_e32 v1, v6, v1
	v_mul_hi_u32 v4, s36, v0
	v_add_nc_u32_e32 v6, 28, v10
	v_add_nc_u32_e32 v5, v8, v9
	;; [unrolled: 1-line block ×3, first 2 shown]
	scratch_store_b64 off, v[18:19], off offset:28 ; 8-byte Folded Spill
	s_wait_alu 0xfffe
	v_mad_u32_u24 v7, 0x90, v10, s0
	v_add_nc_u32_e32 v6, s6, v6
	v_lshrrev_b32_e32 v5, s37, v5
	v_mul_hi_u32 v2, s36, v3
	v_add_nc_u32_e32 v4, v0, v4
	v_mad_co_i64_i32 v[18:19], null, v1, s38, 0
	s_delay_alu instid0(VALU_DEP_4) | instskip(SKIP_1) | instid1(VALU_DEP_3)
	v_mul_lo_u32 v5, v5, s24
	s_movk_i32 s0, 0x900
	v_lshrrev_b32_e32 v4, s37, v4
	v_add_nc_u32_e32 v2, v3, v2
	s_delay_alu instid0(VALU_DEP_1) | instskip(NEXT) | instid1(VALU_DEP_3)
	v_lshrrev_b32_e32 v1, s37, v2
	v_mul_lo_u32 v2, v4, s24
	v_sub_nc_u32_e32 v4, v8, v5
	s_wait_alu 0xfffe
	v_mad_u32_u24 v5, 0x90, v10, s0
	s_movk_i32 s0, 0xb40
	v_mul_lo_u32 v1, v1, s24
	v_mad_co_i64_i32 v[187:188], null, v4, s38, 0
	s_wait_alu 0xfffe
	v_mad_u32_u24 v4, 0x90, v10, s0
	s_clause 0x1
	scratch_store_b32 off, v7, off offset:148
	scratch_store_b64 off, v[18:19], off offset:36
	v_mul_hi_u32 v7, s36, v6
	v_sub_nc_u32_e32 v0, v0, v2
	s_movk_i32 s0, 0xd80
	v_sub_nc_u32_e32 v1, v3, v1
	v_lshrrev_b32_e32 v3, 4, v40
	scratch_store_b32 off, v4, off offset:4 ; 4-byte Folded Spill
	v_mad_co_i64_i32 v[193:194], null, v0, s38, 0
	s_wait_alu 0xfffe
	v_mad_u32_u24 v0, 0x90, v10, s0
	scratch_store_b32 off, v5, off offset:152 ; 4-byte Folded Spill
	v_add_nc_u32_e32 v5, v6, v7
	v_lshl_add_u32 v4, v10, 1, v3
	v_mad_co_i64_i32 v[189:190], null, v1, s38, 0
	scratch_store_b32 off, v0, off offset:156 ; 4-byte Folded Spill
	v_lshrrev_b32_e32 v2, s37, v5
	v_lshlrev_b32_e32 v1, 2, v177
	s_movk_i32 s0, 0xfc0
	v_mul_lo_u32 v191, s34, v4
	s_wait_alu 0xfffe
	v_mad_u32_u24 v3, 0x90, v10, s0
	v_mul_lo_u32 v2, v2, s24
	s_lshl_b32 s0, s34, 3
	scratch_store_b32 off, v4, off offset:72 ; 4-byte Folded Spill
	s_wait_alu 0xfffe
	v_add_nc_u32_e32 v195, s0, v191
	v_ashrrev_i32_e32 v192, 31, v191
	v_sub_nc_u32_e32 v0, v6, v2
	v_mul_u32_u24_e32 v2, 0x110, v4
	s_delay_alu instid0(VALU_DEP_4) | instskip(SKIP_1) | instid1(VALU_DEP_4)
	v_add_nc_u32_e32 v199, s0, v195
	v_ashrrev_i32_e32 v196, 31, v195
	v_mad_co_i64_i32 v[197:198], null, v0, s38, 0
	v_add_nc_u32_e32 v0, 8, v4
	v_add3_u32 v238, 0, v2, v1
	v_add_nc_u32_e32 v1, 48, v4
	v_add_nc_u32_e32 v201, s0, v199
	v_ashrrev_i32_e32 v200, 31, v199
	scratch_store_b32 off, v0, off offset:76 ; 4-byte Folded Spill
	v_mad_u32_u24 v0, 0x110, v4, s1
	s_clause 0x1
	scratch_store_b32 off, v2, off offset:160
	scratch_store_b32 off, v1, off offset:120
	s_movk_i32 s1, 0x1100
	v_add_nc_u32_e32 v2, 56, v4
	scratch_store_b32 off, v0, off offset:168 ; 4-byte Folded Spill
	v_add_nc_u32_e32 v0, 16, v4
	v_add_nc_u32_e32 v203, s0, v201
	;; [unrolled: 1-line block ×3, first 2 shown]
	scratch_store_b32 off, v2, off offset:124 ; 4-byte Folded Spill
	v_add_nc_u32_e32 v228, 0x1100, v238
	scratch_store_b32 off, v0, off offset:84 ; 4-byte Folded Spill
	s_wait_alu 0xfffe
	v_mad_u32_u24 v0, 0x110, v4, s1
	s_movk_i32 s1, 0x1980
	v_add_nc_u32_e32 v205, s0, v203
	v_add_nc_u32_e32 v243, 0x1980, v238
	v_ashrrev_i32_e32 v202, 31, v201
	scratch_store_b32 off, v0, off offset:172 ; 4-byte Folded Spill
	v_add_nc_u32_e32 v0, 24, v4
	scratch_store_b32 off, v3, off offset:164 ; 4-byte Folded Spill
	v_add_nc_u32_e32 v207, s0, v205
	v_and_b32_e32 v3, 0x3f0, v40
	v_add_nc_u32_e32 v244, 0x2200, v238
	scratch_store_b32 off, v0, off offset:104 ; 4-byte Folded Spill
	s_wait_alu 0xfffe
	v_mad_u32_u24 v0, 0x110, v4, s1
	s_movk_i32 s1, 0x2200
	v_add_nc_u32_e32 v209, s0, v207
	s_lshl_b32 s0, s26, 3
	v_ashrrev_i32_e32 v204, 31, v203
	scratch_store_b32 off, v0, off offset:180 ; 4-byte Folded Spill
	v_add_nc_u32_e32 v0, 32, v4
	v_add_nc_u32_e32 v245, 0x2a80, v238
	v_ashrrev_i32_e32 v206, 31, v205
	v_add_nc_u32_e32 v239, 0x3300, v238
	v_ashrrev_i32_e32 v208, 31, v207
	scratch_store_b32 off, v0, off offset:112 ; 4-byte Folded Spill
	s_wait_alu 0xfffe
	v_mad_u32_u24 v0, 0x110, v4, s1
	s_movk_i32 s1, 0x2a80
	v_add_nc_u32_e32 v246, 0x3b80, v238
	v_ashrrev_i32_e32 v210, 31, v209
	scratch_store_b32 off, v0, off offset:184 ; 4-byte Folded Spill
	v_add_nc_u32_e32 v0, 40, v4
	scratch_store_b32 off, v0, off offset:116 ; 4-byte Folded Spill
	s_wait_alu 0xfffe
	v_mad_u32_u24 v0, 0x110, v4, s1
	s_movk_i32 s1, 0x3300
	s_wait_alu 0xfffe
	v_mad_u32_u24 v1, 0x110, v4, s1
	s_movk_i32 s1, 0x3b80
	scratch_store_b32 off, v0, off offset:192 ; 4-byte Folded Spill
	v_and_b32_e32 v0, 14, v40
	s_wait_alu 0xfffe
	v_mad_u32_u24 v2, 0x110, v4, s1
	scratch_store_b32 off, v1, off offset:196 ; 4-byte Folded Spill
	v_mov_b32_e32 v40, v178
	v_lshl_or_b32 v0, v10, 4, v0
	scratch_store_b32 off, v2, off offset:200 ; 4-byte Folded Spill
	v_lshrrev_b32_e32 v1, 1, v0
	v_mul_lo_u32 v0, s26, v4
	s_delay_alu instid0(VALU_DEP_2) | instskip(NEXT) | instid1(VALU_DEP_2)
	v_mad_u32_u24 v1, 0x90, v1, 0
	v_add_nc_u32_e32 v2, s0, v0
	s_delay_alu instid0(VALU_DEP_2)
	v_add_nc_u32_e32 v248, v1, v3
	v_add_nc_u32_e32 v251, v1, v13
	v_xor_b32_e32 v1, 16, v12
	v_and_b32_e32 v13, 0x1f8, v11
	v_add_nc_u32_e32 v4, s0, v2
	v_ashrrev_i32_e32 v3, 31, v2
	v_add_nc_u32_e32 v16, 32, v248
	v_cmp_gt_i32_e32 vcc_lo, 32, v1
	v_mul_u32_u24_e32 v23, 0x110, v13
	v_add_nc_u32_e32 v6, s0, v4
	v_ashrrev_i32_e32 v5, 31, v4
	v_add_nc_u32_e32 v17, 40, v248
	s_wait_alu 0xfffd
	v_dual_cndmask_b32 v1, v12, v1 :: v_dual_add_nc_u32 v18, 64, v248
	v_add_nc_u32_e32 v8, s0, v6
	v_ashrrev_i32_e32 v7, 31, v6
	v_add_nc_u32_e32 v19, 0x48, v248
	s_delay_alu instid0(VALU_DEP_4)
	v_lshlrev_b32_e32 v252, 2, v1
	v_ashrrev_i32_e32 v1, 31, v0
	v_add_nc_u32_e32 v10, s0, v8
	v_ashrrev_i32_e32 v9, 31, v8
	v_add_nc_u32_e32 v20, 0x60, v248
	v_add_nc_u32_e32 v21, 0x68, v248
	v_lshlrev_b64_e32 v[211:212], 2, v[0:1]
	v_add_nc_u32_e32 v12, s0, v10
	v_ashrrev_i32_e32 v11, 31, v10
	v_lshlrev_b64_e32 v[213:214], 2, v[2:3]
	v_lshlrev_b64_e32 v[215:216], 2, v[4:5]
	;; [unrolled: 1-line block ×3, first 2 shown]
	v_add_nc_u32_e32 v14, s0, v12
	v_ashrrev_i32_e32 v13, 31, v12
	v_lshlrev_b64_e32 v[219:220], 2, v[8:9]
	v_lshlrev_b64_e32 v[221:222], 2, v[10:11]
	v_add3_u32 v254, 0, v23, v25
	v_ashrrev_i32_e32 v15, 31, v14
	v_lshlrev_b64_e32 v[223:224], 2, v[12:13]
	v_add_nc_u32_e32 v234, 0x4400, v16
	v_add_nc_u32_e32 v249, 0x4400, v17
	;; [unrolled: 1-line block ×3, first 2 shown]
	v_lshlrev_b64_e32 v[225:226], 2, v[14:15]
	v_add_nc_u32_e32 v229, 0x4400, v19
	v_add_nc_u32_e32 v176, 0x4400, v20
	v_add_nc_u32_e32 v253, 0x4400, v21
.LBB25_943:                             ; =>This Inner Loop Header: Depth=1
	s_clause 0x3
	scratch_load_b64 v[0:1], off, off offset:20
	scratch_load_b64 v[4:5], off, off offset:28
	;; [unrolled: 1-line block ×4, first 2 shown]
	s_ashr_i32 s15, s14, 31
	v_lshlrev_b64_e32 v[8:9], 1, v[187:188]
	s_lshl_b64 s[0:1], s[14:15], 1
	v_lshlrev_b64_e32 v[10:11], 1, v[193:194]
	s_wait_alu 0xfffe
	v_add_co_u32 v16, vcc_lo, v236, s0
	s_wait_alu 0xfffd
	v_add_co_ci_u32_e64 v17, null, s1, v237, vcc_lo
	v_lshlrev_b64_e32 v[12:13], 1, v[189:190]
	v_lshlrev_b64_e32 v[14:15], 1, v[197:198]
	s_mul_u64 s[0:1], s[14:15], s[34:35]
                                        ; implicit-def: $vgpr247
	s_wait_alu 0xfffe
	s_lshl_b64 s[0:1], s[0:1], 2
	s_wait_alu 0xfffe
	s_add_nc_u64 s[0:1], s[10:11], s[0:1]
	s_wait_loadcnt 0x3
	v_lshlrev_b64_e32 v[0:1], 1, v[0:1]
	s_wait_loadcnt 0x2
	v_lshlrev_b64_e32 v[4:5], 1, v[4:5]
	;; [unrolled: 2-line block ×4, first 2 shown]
	v_add_co_u32 v0, vcc_lo, v16, v0
	s_wait_alu 0xfffd
	v_add_co_ci_u32_e64 v1, null, v17, v1, vcc_lo
	s_delay_alu instid0(VALU_DEP_3)
	v_add_co_u32 v2, vcc_lo, v16, v2
	s_wait_alu 0xfffd
	v_add_co_ci_u32_e64 v3, null, v17, v3, vcc_lo
	v_add_co_u32 v4, vcc_lo, v16, v4
	s_wait_alu 0xfffd
	v_add_co_ci_u32_e64 v5, null, v17, v5, vcc_lo
	;; [unrolled: 3-line block ×7, first 2 shown]
	s_clause 0x6
	global_load_b32 v0, v[0:1], off
	global_load_b32 v1, v[2:3], off
	;; [unrolled: 1-line block ×7, first 2 shown]
	scratch_load_b32 v7, off, off           ; 4-byte Folded Reload
	v_mov_b32_e32 v9, v185
	s_wait_loadcnt 0x0
	s_delay_alu instid0(VALU_DEP_1) | instskip(NEXT) | instid1(VALU_DEP_1)
	v_add_nc_u32_e32 v7, v9, v7
	v_add_nc_u32_e32 v8, 0x4400, v7
	ds_store_2addr_b32 v8, v0, v1 offset1:144
	v_add_nc_u32_e32 v0, 0x4800, v7
	ds_store_2addr_b32 v0, v2, v3 offset0:32 offset1:176
	global_load_b32 v0, v[10:11], off
	scratch_load_b32 v1, off, off offset:4  ; 4-byte Folded Reload
	s_wait_loadcnt 0x0
	v_add_nc_u32_e32 v1, v9, v1
	s_delay_alu instid0(VALU_DEP_1)
	v_add_nc_u32_e32 v2, 0x4400, v1
	ds_store_2addr_b32 v2, v0, v4 offset1:144
	ds_store_b32 v7, v6 offset:19712
	ds_store_b32 v1, v5 offset:18560
	v_lshlrev_b64_e32 v[0:1], 2, v[191:192]
	s_wait_alu 0xfffe
	s_delay_alu instid0(VALU_DEP_1) | instskip(SKIP_1) | instid1(VALU_DEP_2)
	v_add_co_u32 v2, vcc_lo, s0, v0
	s_wait_alu 0xfffd
	v_add_co_ci_u32_e64 v3, null, s1, v1, vcc_lo
	v_lshlrev_b64_e32 v[0:1], 2, v[195:196]
	s_delay_alu instid0(VALU_DEP_1) | instskip(SKIP_1) | instid1(VALU_DEP_2)
	v_add_co_u32 v4, vcc_lo, s0, v0
	s_wait_alu 0xfffd
	v_add_co_ci_u32_e64 v5, null, s1, v1, vcc_lo
	v_add_co_u32 v0, vcc_lo, v2, v233
	s_wait_alu 0xfffd
	v_add_co_ci_u32_e64 v1, null, 0, v3, vcc_lo
	v_add_co_u32 v4, vcc_lo, v4, v233
	s_wait_alu 0xfffd
	v_add_co_ci_u32_e64 v5, null, 0, v5, vcc_lo
	s_clause 0x1
	global_load_b128 v[0:3], v[0:1], off
	global_load_b128 v[4:7], v[4:5], off
	s_wait_loadcnt 0x1
	ds_store_b128 v238, v[0:3]
	s_wait_loadcnt 0x0
	ds_store_b128 v240, v[4:7]
	v_lshlrev_b64_e32 v[0:1], 2, v[199:200]
	s_delay_alu instid0(VALU_DEP_1) | instskip(SKIP_1) | instid1(VALU_DEP_2)
	v_add_co_u32 v2, vcc_lo, s0, v0
	s_wait_alu 0xfffd
	v_add_co_ci_u32_e64 v3, null, s1, v1, vcc_lo
	v_lshlrev_b64_e32 v[0:1], 2, v[201:202]
	s_delay_alu instid0(VALU_DEP_1) | instskip(SKIP_1) | instid1(VALU_DEP_2)
	v_add_co_u32 v4, vcc_lo, s0, v0
	s_wait_alu 0xfffd
	v_add_co_ci_u32_e64 v5, null, s1, v1, vcc_lo
	v_add_co_u32 v0, vcc_lo, v2, v233
	s_wait_alu 0xfffd
	v_add_co_ci_u32_e64 v1, null, 0, v3, vcc_lo
	v_add_co_u32 v4, vcc_lo, v4, v233
	s_wait_alu 0xfffd
	v_add_co_ci_u32_e64 v5, null, 0, v5, vcc_lo
	s_clause 0x1
	global_load_b128 v[0:3], v[0:1], off
	global_load_b128 v[4:7], v[4:5], off
	s_wait_loadcnt 0x1
	ds_store_b128 v228, v[0:3]
	s_wait_loadcnt 0x0
	ds_store_b128 v243, v[4:7]
	v_lshlrev_b64_e32 v[0:1], 2, v[203:204]
	;; [unrolled: 23-line block ×3, first 2 shown]
	s_delay_alu instid0(VALU_DEP_1) | instskip(SKIP_1) | instid1(VALU_DEP_2)
	v_add_co_u32 v2, vcc_lo, s0, v0
	s_wait_alu 0xfffd
	v_add_co_ci_u32_e64 v3, null, s1, v1, vcc_lo
	v_lshlrev_b64_e32 v[0:1], 2, v[209:210]
	s_delay_alu instid0(VALU_DEP_1) | instskip(SKIP_1) | instid1(VALU_DEP_2)
	v_add_co_u32 v4, vcc_lo, s0, v0
	s_wait_alu 0xfffd
	v_add_co_ci_u32_e64 v5, null, s1, v1, vcc_lo
	v_add_co_u32 v0, vcc_lo, v2, v233
	s_wait_alu 0xfffd
	v_add_co_ci_u32_e64 v1, null, 0, v3, vcc_lo
	;; [unrolled: 3-line block ×3, first 2 shown]
	s_clause 0x1
	global_load_b128 v[0:3], v[0:1], off
	global_load_b128 v[4:7], v[4:5], off
	s_wait_loadcnt 0x1
	ds_store_b128 v239, v[0:3]
	s_wait_loadcnt 0x0
	ds_store_b128 v246, v[4:7]
	s_wait_storecnt_dscnt 0x0
	s_barrier_signal -1
	s_barrier_wait -1
	global_inv scope:SCOPE_SE
	ds_load_b128 v[8:11], v250
	ds_load_b128 v[12:15], v250 offset:32
	s_wait_dscnt 0x1
	v_wmma_f32_16x16x16_f16 v[0:7], v[8:11], v[92:95], 0
	s_wait_dscnt 0x0
	s_delay_alu instid0(VALU_DEP_1)
	v_wmma_f32_16x16x16_f16 v[0:7], v[12:15], v[88:91], v[0:7]
	ds_load_b128 v[8:11], v250 offset:64
	ds_load_b128 v[12:15], v250 offset:96
	s_wait_dscnt 0x1
	v_wmma_f32_16x16x16_f16 v[0:7], v[8:11], v[84:87], v[0:7]
	s_wait_dscnt 0x0
	s_delay_alu instid0(VALU_DEP_1)
	v_wmma_f32_16x16x16_f16 v[0:7], v[12:15], v[80:83], v[0:7]
	ds_load_b128 v[8:11], v250 offset:128
	;; [unrolled: 7-line block ×3, first 2 shown]
	ds_load_b128 v[12:15], v250 offset:224
	ds_load_b128 v[172:175], v250 offset:4352
	ds_load_b128 v[168:171], v250 offset:4384
	ds_load_b128 v[164:167], v250 offset:4416
	ds_load_b128 v[160:163], v250 offset:4448
	ds_load_b128 v[156:159], v250 offset:4480
	ds_load_b128 v[152:155], v250 offset:4512
	ds_load_b128 v[20:23], v250 offset:4544
	ds_load_b128 v[16:19], v250 offset:4576
	ds_load_b128 v[148:151], v250 offset:8704
	ds_load_b128 v[144:147], v250 offset:8736
	ds_load_b128 v[140:143], v250 offset:8768
	ds_load_b128 v[136:139], v250 offset:8800
	ds_load_b128 v[132:135], v250 offset:8832
	ds_load_b128 v[128:131], v250 offset:8864
	ds_load_b128 v[28:31], v250 offset:8896
	ds_load_b128 v[24:27], v250 offset:8928
	ds_load_b128 v[124:127], v250 offset:13056
	ds_load_b128 v[120:123], v250 offset:13088
	ds_load_b128 v[116:119], v250 offset:13120
	ds_load_b128 v[112:115], v250 offset:13152
	ds_load_b128 v[108:111], v250 offset:13184
	ds_load_b128 v[104:107], v250 offset:13216
	ds_load_b128 v[100:103], v250 offset:13248
	ds_load_b128 v[96:99], v250 offset:13280
	s_wait_loadcnt_dscnt 0x0
	s_barrier_signal -1
	s_barrier_wait -1
	global_inv scope:SCOPE_SE
	v_wmma_f32_16x16x16_f16 v[0:7], v[8:11], v[68:71], v[0:7]
	s_delay_alu instid0(VALU_DEP_1) | instskip(NEXT) | instid1(VALU_DEP_1)
	v_wmma_f32_16x16x16_f16 v[0:7], v[12:15], v[64:67], v[0:7]
	v_cmp_ngt_f32_e64 s0, 0x3f200000, |v0|
	s_and_saveexec_b32 s1, s0
	s_wait_alu 0xfffe
	s_xor_b32 s0, exec_lo, s1
	s_cbranch_execz .LBB25_945
; %bb.944:                              ;   in Loop: Header=BB25_943 Depth=1
	v_add_f32_e64 v8, |v0|, |v0|
	s_delay_alu instid0(VALU_DEP_1) | instskip(SKIP_1) | instid1(VALU_DEP_2)
	v_mul_f32_e32 v9, 0x3fb8aa3b, v8
	v_cmp_ngt_f32_e32 vcc_lo, 0xc2ce8ed0, v8
	v_rndne_f32_e32 v10, v9
	v_fma_f32 v11, 0x3fb8aa3b, v8, -v9
	s_delay_alu instid0(VALU_DEP_2) | instskip(NEXT) | instid1(VALU_DEP_2)
	v_sub_f32_e32 v9, v9, v10
	v_fmac_f32_e32 v11, 0x32a5705f, v8
	v_cvt_i32_f32_e32 v10, v10
	s_delay_alu instid0(VALU_DEP_2) | instskip(NEXT) | instid1(VALU_DEP_1)
	v_add_f32_e32 v9, v9, v11
	v_exp_f32_e32 v9, v9
	s_delay_alu instid0(TRANS32_DEP_1) | instskip(SKIP_1) | instid1(VALU_DEP_1)
	v_ldexp_f32 v9, v9, v10
	s_wait_alu 0xfffd
	v_cndmask_b32_e32 v9, 0, v9, vcc_lo
	v_cmp_nlt_f32_e32 vcc_lo, 0x42b17218, v8
	s_wait_alu 0xfffd
	s_delay_alu instid0(VALU_DEP_2) | instskip(NEXT) | instid1(VALU_DEP_1)
	v_cndmask_b32_e32 v8, 0x7f800000, v9, vcc_lo
	v_add_f32_e32 v8, 1.0, v8
	s_delay_alu instid0(VALU_DEP_1) | instskip(NEXT) | instid1(TRANS32_DEP_1)
	v_rcp_f32_e32 v8, v8
	v_fma_f32 v247, v8, -2.0, 1.0
.LBB25_945:                             ;   in Loop: Header=BB25_943 Depth=1
	s_wait_alu 0xfffe
	s_and_not1_saveexec_b32 s0, s0
	s_cbranch_execz .LBB25_947
; %bb.946:                              ;   in Loop: Header=BB25_943 Depth=1
	v_mul_f32_e32 v8, v0, v0
	s_delay_alu instid0(VALU_DEP_1) | instskip(NEXT) | instid1(VALU_DEP_1)
	v_fmaak_f32 v9, s3, v8, 0x3ca908c9
	v_fmaak_f32 v9, v8, v9, 0xbd5c1c4e
	s_delay_alu instid0(VALU_DEP_1) | instskip(NEXT) | instid1(VALU_DEP_1)
	v_fmaak_f32 v9, v8, v9, 0x3e088382
	v_fmaak_f32 v9, v8, v9, 0xbeaaaa99
	s_delay_alu instid0(VALU_DEP_1) | instskip(NEXT) | instid1(VALU_DEP_1)
	v_mul_f32_e64 v9, |v0|, v9
	v_fma_f32 v247, v8, v9, |v0|
.LBB25_947:                             ;   in Loop: Header=BB25_943 Depth=1
	s_wait_alu 0xfffe
	s_or_b32 exec_lo, exec_lo, s0
	v_cmp_ngt_f32_e64 s0, 0x3f200000, |v1|
                                        ; implicit-def: $vgpr235
	s_and_saveexec_b32 s1, s0
	s_wait_alu 0xfffe
	s_xor_b32 s0, exec_lo, s1
	s_cbranch_execz .LBB25_949
; %bb.948:                              ;   in Loop: Header=BB25_943 Depth=1
	v_add_f32_e64 v8, |v1|, |v1|
	s_delay_alu instid0(VALU_DEP_1) | instskip(SKIP_1) | instid1(VALU_DEP_2)
	v_mul_f32_e32 v9, 0x3fb8aa3b, v8
	v_cmp_ngt_f32_e32 vcc_lo, 0xc2ce8ed0, v8
	v_rndne_f32_e32 v10, v9
	v_fma_f32 v11, 0x3fb8aa3b, v8, -v9
	s_delay_alu instid0(VALU_DEP_2) | instskip(NEXT) | instid1(VALU_DEP_2)
	v_sub_f32_e32 v9, v9, v10
	v_fmac_f32_e32 v11, 0x32a5705f, v8
	v_cvt_i32_f32_e32 v10, v10
	s_delay_alu instid0(VALU_DEP_2) | instskip(NEXT) | instid1(VALU_DEP_1)
	v_add_f32_e32 v9, v9, v11
	v_exp_f32_e32 v9, v9
	s_delay_alu instid0(TRANS32_DEP_1) | instskip(SKIP_1) | instid1(VALU_DEP_1)
	v_ldexp_f32 v9, v9, v10
	s_wait_alu 0xfffd
	v_cndmask_b32_e32 v9, 0, v9, vcc_lo
	v_cmp_nlt_f32_e32 vcc_lo, 0x42b17218, v8
	s_wait_alu 0xfffd
	s_delay_alu instid0(VALU_DEP_2) | instskip(NEXT) | instid1(VALU_DEP_1)
	v_cndmask_b32_e32 v8, 0x7f800000, v9, vcc_lo
	v_add_f32_e32 v8, 1.0, v8
	s_delay_alu instid0(VALU_DEP_1) | instskip(NEXT) | instid1(TRANS32_DEP_1)
	v_rcp_f32_e32 v8, v8
	v_fma_f32 v235, v8, -2.0, 1.0
.LBB25_949:                             ;   in Loop: Header=BB25_943 Depth=1
	s_wait_alu 0xfffe
	s_and_not1_saveexec_b32 s0, s0
	s_cbranch_execz .LBB25_951
; %bb.950:                              ;   in Loop: Header=BB25_943 Depth=1
	v_mul_f32_e32 v8, v1, v1
	s_delay_alu instid0(VALU_DEP_1) | instskip(NEXT) | instid1(VALU_DEP_1)
	v_fmaak_f32 v9, s3, v8, 0x3ca908c9
	v_fmaak_f32 v9, v8, v9, 0xbd5c1c4e
	s_delay_alu instid0(VALU_DEP_1) | instskip(NEXT) | instid1(VALU_DEP_1)
	v_fmaak_f32 v9, v8, v9, 0x3e088382
	v_fmaak_f32 v9, v8, v9, 0xbeaaaa99
	s_delay_alu instid0(VALU_DEP_1) | instskip(NEXT) | instid1(VALU_DEP_1)
	v_mul_f32_e64 v9, |v1|, v9
	v_fma_f32 v235, v8, v9, |v1|
.LBB25_951:                             ;   in Loop: Header=BB25_943 Depth=1
	s_wait_alu 0xfffe
	s_or_b32 exec_lo, exec_lo, s0
	v_cmp_ngt_f32_e64 s0, 0x3f200000, |v2|
                                        ; implicit-def: $vgpr179
	s_and_saveexec_b32 s1, s0
	s_wait_alu 0xfffe
	s_xor_b32 s0, exec_lo, s1
	s_cbranch_execz .LBB25_953
; %bb.952:                              ;   in Loop: Header=BB25_943 Depth=1
	v_add_f32_e64 v8, |v2|, |v2|
	s_delay_alu instid0(VALU_DEP_1) | instskip(SKIP_1) | instid1(VALU_DEP_2)
	v_mul_f32_e32 v9, 0x3fb8aa3b, v8
	v_cmp_ngt_f32_e32 vcc_lo, 0xc2ce8ed0, v8
	v_rndne_f32_e32 v10, v9
	v_fma_f32 v11, 0x3fb8aa3b, v8, -v9
	s_delay_alu instid0(VALU_DEP_2) | instskip(NEXT) | instid1(VALU_DEP_2)
	v_sub_f32_e32 v9, v9, v10
	v_fmac_f32_e32 v11, 0x32a5705f, v8
	v_cvt_i32_f32_e32 v10, v10
	s_delay_alu instid0(VALU_DEP_2) | instskip(NEXT) | instid1(VALU_DEP_1)
	v_add_f32_e32 v9, v9, v11
	v_exp_f32_e32 v9, v9
	s_delay_alu instid0(TRANS32_DEP_1) | instskip(SKIP_1) | instid1(VALU_DEP_1)
	v_ldexp_f32 v9, v9, v10
	s_wait_alu 0xfffd
	v_cndmask_b32_e32 v9, 0, v9, vcc_lo
	v_cmp_nlt_f32_e32 vcc_lo, 0x42b17218, v8
	s_wait_alu 0xfffd
	s_delay_alu instid0(VALU_DEP_2) | instskip(NEXT) | instid1(VALU_DEP_1)
	v_cndmask_b32_e32 v8, 0x7f800000, v9, vcc_lo
	v_add_f32_e32 v8, 1.0, v8
	s_delay_alu instid0(VALU_DEP_1) | instskip(NEXT) | instid1(TRANS32_DEP_1)
	v_rcp_f32_e32 v8, v8
	v_fma_f32 v179, v8, -2.0, 1.0
.LBB25_953:                             ;   in Loop: Header=BB25_943 Depth=1
	s_wait_alu 0xfffe
	s_and_not1_saveexec_b32 s0, s0
	s_cbranch_execz .LBB25_955
; %bb.954:                              ;   in Loop: Header=BB25_943 Depth=1
	v_mul_f32_e32 v8, v2, v2
	s_delay_alu instid0(VALU_DEP_1) | instskip(NEXT) | instid1(VALU_DEP_1)
	v_fmaak_f32 v9, s3, v8, 0x3ca908c9
	v_fmaak_f32 v9, v8, v9, 0xbd5c1c4e
	s_delay_alu instid0(VALU_DEP_1) | instskip(NEXT) | instid1(VALU_DEP_1)
	v_fmaak_f32 v9, v8, v9, 0x3e088382
	v_fmaak_f32 v9, v8, v9, 0xbeaaaa99
	s_delay_alu instid0(VALU_DEP_1) | instskip(NEXT) | instid1(VALU_DEP_1)
	v_mul_f32_e64 v9, |v2|, v9
	v_fma_f32 v179, v8, v9, |v2|
.LBB25_955:                             ;   in Loop: Header=BB25_943 Depth=1
	s_wait_alu 0xfffe
	s_or_b32 exec_lo, exec_lo, s0
	v_cmp_ngt_f32_e64 s0, 0x3f200000, |v3|
                                        ; implicit-def: $vgpr180
	s_and_saveexec_b32 s1, s0
	s_wait_alu 0xfffe
	s_xor_b32 s0, exec_lo, s1
	s_cbranch_execz .LBB25_957
; %bb.956:                              ;   in Loop: Header=BB25_943 Depth=1
	v_add_f32_e64 v8, |v3|, |v3|
	s_delay_alu instid0(VALU_DEP_1) | instskip(SKIP_1) | instid1(VALU_DEP_2)
	v_mul_f32_e32 v9, 0x3fb8aa3b, v8
	v_cmp_ngt_f32_e32 vcc_lo, 0xc2ce8ed0, v8
	v_rndne_f32_e32 v10, v9
	v_fma_f32 v11, 0x3fb8aa3b, v8, -v9
	s_delay_alu instid0(VALU_DEP_2) | instskip(NEXT) | instid1(VALU_DEP_2)
	v_sub_f32_e32 v9, v9, v10
	v_fmac_f32_e32 v11, 0x32a5705f, v8
	v_cvt_i32_f32_e32 v10, v10
	s_delay_alu instid0(VALU_DEP_2) | instskip(NEXT) | instid1(VALU_DEP_1)
	v_add_f32_e32 v9, v9, v11
	v_exp_f32_e32 v9, v9
	s_delay_alu instid0(TRANS32_DEP_1) | instskip(SKIP_1) | instid1(VALU_DEP_1)
	v_ldexp_f32 v9, v9, v10
	s_wait_alu 0xfffd
	v_cndmask_b32_e32 v9, 0, v9, vcc_lo
	v_cmp_nlt_f32_e32 vcc_lo, 0x42b17218, v8
	s_wait_alu 0xfffd
	s_delay_alu instid0(VALU_DEP_2) | instskip(NEXT) | instid1(VALU_DEP_1)
	v_cndmask_b32_e32 v8, 0x7f800000, v9, vcc_lo
	v_add_f32_e32 v8, 1.0, v8
	s_delay_alu instid0(VALU_DEP_1) | instskip(NEXT) | instid1(TRANS32_DEP_1)
	v_rcp_f32_e32 v8, v8
	v_fma_f32 v180, v8, -2.0, 1.0
.LBB25_957:                             ;   in Loop: Header=BB25_943 Depth=1
	s_wait_alu 0xfffe
	s_and_not1_saveexec_b32 s0, s0
	s_cbranch_execz .LBB25_959
; %bb.958:                              ;   in Loop: Header=BB25_943 Depth=1
	v_mul_f32_e32 v8, v3, v3
	s_delay_alu instid0(VALU_DEP_1) | instskip(NEXT) | instid1(VALU_DEP_1)
	v_fmaak_f32 v9, s3, v8, 0x3ca908c9
	v_fmaak_f32 v9, v8, v9, 0xbd5c1c4e
	s_delay_alu instid0(VALU_DEP_1) | instskip(NEXT) | instid1(VALU_DEP_1)
	v_fmaak_f32 v9, v8, v9, 0x3e088382
	v_fmaak_f32 v9, v8, v9, 0xbeaaaa99
	s_delay_alu instid0(VALU_DEP_1) | instskip(NEXT) | instid1(VALU_DEP_1)
	v_mul_f32_e64 v9, |v3|, v9
	v_fma_f32 v180, v8, v9, |v3|
.LBB25_959:                             ;   in Loop: Header=BB25_943 Depth=1
	s_wait_alu 0xfffe
	s_or_b32 exec_lo, exec_lo, s0
	v_cmp_ngt_f32_e64 s0, 0x3f200000, |v4|
                                        ; implicit-def: $vgpr181
	s_and_saveexec_b32 s1, s0
	s_wait_alu 0xfffe
	s_xor_b32 s0, exec_lo, s1
	s_cbranch_execz .LBB25_961
; %bb.960:                              ;   in Loop: Header=BB25_943 Depth=1
	v_add_f32_e64 v8, |v4|, |v4|
	s_delay_alu instid0(VALU_DEP_1) | instskip(SKIP_1) | instid1(VALU_DEP_2)
	v_mul_f32_e32 v9, 0x3fb8aa3b, v8
	v_cmp_ngt_f32_e32 vcc_lo, 0xc2ce8ed0, v8
	v_rndne_f32_e32 v10, v9
	v_fma_f32 v11, 0x3fb8aa3b, v8, -v9
	s_delay_alu instid0(VALU_DEP_2) | instskip(NEXT) | instid1(VALU_DEP_2)
	v_sub_f32_e32 v9, v9, v10
	v_fmac_f32_e32 v11, 0x32a5705f, v8
	v_cvt_i32_f32_e32 v10, v10
	s_delay_alu instid0(VALU_DEP_2) | instskip(NEXT) | instid1(VALU_DEP_1)
	v_add_f32_e32 v9, v9, v11
	v_exp_f32_e32 v9, v9
	s_delay_alu instid0(TRANS32_DEP_1) | instskip(SKIP_1) | instid1(VALU_DEP_1)
	v_ldexp_f32 v9, v9, v10
	s_wait_alu 0xfffd
	v_cndmask_b32_e32 v9, 0, v9, vcc_lo
	v_cmp_nlt_f32_e32 vcc_lo, 0x42b17218, v8
	s_wait_alu 0xfffd
	s_delay_alu instid0(VALU_DEP_2) | instskip(NEXT) | instid1(VALU_DEP_1)
	v_cndmask_b32_e32 v8, 0x7f800000, v9, vcc_lo
	v_add_f32_e32 v8, 1.0, v8
	s_delay_alu instid0(VALU_DEP_1) | instskip(NEXT) | instid1(TRANS32_DEP_1)
	v_rcp_f32_e32 v8, v8
	v_fma_f32 v181, v8, -2.0, 1.0
.LBB25_961:                             ;   in Loop: Header=BB25_943 Depth=1
	s_wait_alu 0xfffe
	s_and_not1_saveexec_b32 s0, s0
	s_cbranch_execz .LBB25_963
; %bb.962:                              ;   in Loop: Header=BB25_943 Depth=1
	v_mul_f32_e32 v8, v4, v4
	s_delay_alu instid0(VALU_DEP_1) | instskip(NEXT) | instid1(VALU_DEP_1)
	v_fmaak_f32 v9, s3, v8, 0x3ca908c9
	v_fmaak_f32 v9, v8, v9, 0xbd5c1c4e
	s_delay_alu instid0(VALU_DEP_1) | instskip(NEXT) | instid1(VALU_DEP_1)
	v_fmaak_f32 v9, v8, v9, 0x3e088382
	v_fmaak_f32 v9, v8, v9, 0xbeaaaa99
	s_delay_alu instid0(VALU_DEP_1) | instskip(NEXT) | instid1(VALU_DEP_1)
	v_mul_f32_e64 v9, |v4|, v9
	v_fma_f32 v181, v8, v9, |v4|
.LBB25_963:                             ;   in Loop: Header=BB25_943 Depth=1
	s_wait_alu 0xfffe
	s_or_b32 exec_lo, exec_lo, s0
	v_cmp_ngt_f32_e64 s0, 0x3f200000, |v5|
                                        ; implicit-def: $vgpr182
	s_and_saveexec_b32 s1, s0
	s_wait_alu 0xfffe
	s_xor_b32 s0, exec_lo, s1
	s_cbranch_execz .LBB25_965
; %bb.964:                              ;   in Loop: Header=BB25_943 Depth=1
	v_add_f32_e64 v8, |v5|, |v5|
	s_delay_alu instid0(VALU_DEP_1) | instskip(SKIP_1) | instid1(VALU_DEP_2)
	v_mul_f32_e32 v9, 0x3fb8aa3b, v8
	v_cmp_ngt_f32_e32 vcc_lo, 0xc2ce8ed0, v8
	v_rndne_f32_e32 v10, v9
	v_fma_f32 v11, 0x3fb8aa3b, v8, -v9
	s_delay_alu instid0(VALU_DEP_2) | instskip(NEXT) | instid1(VALU_DEP_2)
	v_sub_f32_e32 v9, v9, v10
	v_fmac_f32_e32 v11, 0x32a5705f, v8
	v_cvt_i32_f32_e32 v10, v10
	s_delay_alu instid0(VALU_DEP_2) | instskip(NEXT) | instid1(VALU_DEP_1)
	v_add_f32_e32 v9, v9, v11
	v_exp_f32_e32 v9, v9
	s_delay_alu instid0(TRANS32_DEP_1) | instskip(SKIP_1) | instid1(VALU_DEP_1)
	v_ldexp_f32 v9, v9, v10
	s_wait_alu 0xfffd
	v_cndmask_b32_e32 v9, 0, v9, vcc_lo
	v_cmp_nlt_f32_e32 vcc_lo, 0x42b17218, v8
	s_wait_alu 0xfffd
	s_delay_alu instid0(VALU_DEP_2) | instskip(NEXT) | instid1(VALU_DEP_1)
	v_cndmask_b32_e32 v8, 0x7f800000, v9, vcc_lo
	v_add_f32_e32 v8, 1.0, v8
	s_delay_alu instid0(VALU_DEP_1) | instskip(NEXT) | instid1(TRANS32_DEP_1)
	v_rcp_f32_e32 v8, v8
	v_fma_f32 v182, v8, -2.0, 1.0
.LBB25_965:                             ;   in Loop: Header=BB25_943 Depth=1
	s_wait_alu 0xfffe
	s_and_not1_saveexec_b32 s0, s0
	s_cbranch_execz .LBB25_967
; %bb.966:                              ;   in Loop: Header=BB25_943 Depth=1
	v_mul_f32_e32 v8, v5, v5
	s_delay_alu instid0(VALU_DEP_1) | instskip(NEXT) | instid1(VALU_DEP_1)
	v_fmaak_f32 v9, s3, v8, 0x3ca908c9
	v_fmaak_f32 v9, v8, v9, 0xbd5c1c4e
	s_delay_alu instid0(VALU_DEP_1) | instskip(NEXT) | instid1(VALU_DEP_1)
	v_fmaak_f32 v9, v8, v9, 0x3e088382
	v_fmaak_f32 v9, v8, v9, 0xbeaaaa99
	s_delay_alu instid0(VALU_DEP_1) | instskip(NEXT) | instid1(VALU_DEP_1)
	v_mul_f32_e64 v9, |v5|, v9
	v_fma_f32 v182, v8, v9, |v5|
.LBB25_967:                             ;   in Loop: Header=BB25_943 Depth=1
	s_wait_alu 0xfffe
	s_or_b32 exec_lo, exec_lo, s0
	v_cmp_ngt_f32_e64 s0, 0x3f200000, |v6|
                                        ; implicit-def: $vgpr183
	s_and_saveexec_b32 s1, s0
	s_wait_alu 0xfffe
	s_xor_b32 s0, exec_lo, s1
	s_cbranch_execz .LBB25_969
; %bb.968:                              ;   in Loop: Header=BB25_943 Depth=1
	v_add_f32_e64 v8, |v6|, |v6|
	s_delay_alu instid0(VALU_DEP_1) | instskip(SKIP_1) | instid1(VALU_DEP_2)
	v_mul_f32_e32 v9, 0x3fb8aa3b, v8
	v_cmp_ngt_f32_e32 vcc_lo, 0xc2ce8ed0, v8
	v_rndne_f32_e32 v10, v9
	v_fma_f32 v11, 0x3fb8aa3b, v8, -v9
	s_delay_alu instid0(VALU_DEP_2) | instskip(NEXT) | instid1(VALU_DEP_2)
	v_sub_f32_e32 v9, v9, v10
	v_fmac_f32_e32 v11, 0x32a5705f, v8
	v_cvt_i32_f32_e32 v10, v10
	s_delay_alu instid0(VALU_DEP_2) | instskip(NEXT) | instid1(VALU_DEP_1)
	v_add_f32_e32 v9, v9, v11
	v_exp_f32_e32 v9, v9
	s_delay_alu instid0(TRANS32_DEP_1) | instskip(SKIP_1) | instid1(VALU_DEP_1)
	v_ldexp_f32 v9, v9, v10
	s_wait_alu 0xfffd
	v_cndmask_b32_e32 v9, 0, v9, vcc_lo
	v_cmp_nlt_f32_e32 vcc_lo, 0x42b17218, v8
	s_wait_alu 0xfffd
	s_delay_alu instid0(VALU_DEP_2) | instskip(NEXT) | instid1(VALU_DEP_1)
	v_cndmask_b32_e32 v8, 0x7f800000, v9, vcc_lo
	v_add_f32_e32 v8, 1.0, v8
	s_delay_alu instid0(VALU_DEP_1) | instskip(NEXT) | instid1(TRANS32_DEP_1)
	v_rcp_f32_e32 v8, v8
	v_fma_f32 v183, v8, -2.0, 1.0
.LBB25_969:                             ;   in Loop: Header=BB25_943 Depth=1
	s_wait_alu 0xfffe
	s_and_not1_saveexec_b32 s0, s0
	s_cbranch_execz .LBB25_971
; %bb.970:                              ;   in Loop: Header=BB25_943 Depth=1
	v_mul_f32_e32 v8, v6, v6
	s_delay_alu instid0(VALU_DEP_1) | instskip(NEXT) | instid1(VALU_DEP_1)
	v_fmaak_f32 v9, s3, v8, 0x3ca908c9
	v_fmaak_f32 v9, v8, v9, 0xbd5c1c4e
	s_delay_alu instid0(VALU_DEP_1) | instskip(NEXT) | instid1(VALU_DEP_1)
	v_fmaak_f32 v9, v8, v9, 0x3e088382
	v_fmaak_f32 v9, v8, v9, 0xbeaaaa99
	s_delay_alu instid0(VALU_DEP_1) | instskip(NEXT) | instid1(VALU_DEP_1)
	v_mul_f32_e64 v9, |v6|, v9
	v_fma_f32 v183, v8, v9, |v6|
.LBB25_971:                             ;   in Loop: Header=BB25_943 Depth=1
	s_wait_alu 0xfffe
	s_or_b32 exec_lo, exec_lo, s0
	v_cmp_ngt_f32_e64 s0, 0x3f200000, |v7|
                                        ; implicit-def: $vgpr184
	s_and_saveexec_b32 s1, s0
	s_wait_alu 0xfffe
	s_xor_b32 s0, exec_lo, s1
	s_cbranch_execz .LBB25_973
; %bb.972:                              ;   in Loop: Header=BB25_943 Depth=1
	v_add_f32_e64 v8, |v7|, |v7|
	s_delay_alu instid0(VALU_DEP_1) | instskip(SKIP_1) | instid1(VALU_DEP_2)
	v_mul_f32_e32 v9, 0x3fb8aa3b, v8
	v_cmp_ngt_f32_e32 vcc_lo, 0xc2ce8ed0, v8
	v_rndne_f32_e32 v10, v9
	v_fma_f32 v11, 0x3fb8aa3b, v8, -v9
	s_delay_alu instid0(VALU_DEP_2) | instskip(NEXT) | instid1(VALU_DEP_2)
	v_sub_f32_e32 v9, v9, v10
	v_fmac_f32_e32 v11, 0x32a5705f, v8
	v_cvt_i32_f32_e32 v10, v10
	s_delay_alu instid0(VALU_DEP_2) | instskip(NEXT) | instid1(VALU_DEP_1)
	v_add_f32_e32 v9, v9, v11
	v_exp_f32_e32 v9, v9
	s_delay_alu instid0(TRANS32_DEP_1) | instskip(SKIP_1) | instid1(VALU_DEP_1)
	v_ldexp_f32 v9, v9, v10
	s_wait_alu 0xfffd
	v_cndmask_b32_e32 v9, 0, v9, vcc_lo
	v_cmp_nlt_f32_e32 vcc_lo, 0x42b17218, v8
	s_wait_alu 0xfffd
	s_delay_alu instid0(VALU_DEP_2) | instskip(NEXT) | instid1(VALU_DEP_1)
	v_cndmask_b32_e32 v8, 0x7f800000, v9, vcc_lo
	v_add_f32_e32 v8, 1.0, v8
	s_delay_alu instid0(VALU_DEP_1) | instskip(NEXT) | instid1(TRANS32_DEP_1)
	v_rcp_f32_e32 v8, v8
	v_fma_f32 v184, v8, -2.0, 1.0
.LBB25_973:                             ;   in Loop: Header=BB25_943 Depth=1
	s_wait_alu 0xfffe
	s_and_not1_saveexec_b32 s0, s0
	s_cbranch_execz .LBB25_975
; %bb.974:                              ;   in Loop: Header=BB25_943 Depth=1
	v_mul_f32_e32 v8, v7, v7
	s_delay_alu instid0(VALU_DEP_1) | instskip(NEXT) | instid1(VALU_DEP_1)
	v_fmaak_f32 v9, s3, v8, 0x3ca908c9
	v_fmaak_f32 v9, v8, v9, 0xbd5c1c4e
	s_delay_alu instid0(VALU_DEP_1) | instskip(NEXT) | instid1(VALU_DEP_1)
	v_fmaak_f32 v9, v8, v9, 0x3e088382
	v_fmaak_f32 v9, v8, v9, 0xbeaaaa99
	s_delay_alu instid0(VALU_DEP_1) | instskip(NEXT) | instid1(VALU_DEP_1)
	v_mul_f32_e64 v9, |v7|, v9
	v_fma_f32 v184, v8, v9, |v7|
.LBB25_975:                             ;   in Loop: Header=BB25_943 Depth=1
	s_wait_alu 0xfffe
	s_or_b32 exec_lo, exec_lo, s0
	v_wmma_f32_16x16x16_f16 v[8:15], v[172:175], v[92:95], 0
	s_delay_alu instid0(VALU_DEP_1) | instskip(NEXT) | instid1(VALU_DEP_1)
	v_wmma_f32_16x16x16_f16 v[8:15], v[168:171], v[88:91], v[8:15]
	v_wmma_f32_16x16x16_f16 v[8:15], v[164:167], v[84:87], v[8:15]
	s_delay_alu instid0(VALU_DEP_1) | instskip(NEXT) | instid1(VALU_DEP_1)
	v_wmma_f32_16x16x16_f16 v[8:15], v[160:163], v[80:83], v[8:15]
	;; [unrolled: 3-line block ×3, first 2 shown]
                                        ; implicit-def: $vgpr152
	v_wmma_f32_16x16x16_f16 v[8:15], v[20:23], v[68:71], v[8:15]
	s_delay_alu instid0(VALU_DEP_1) | instskip(NEXT) | instid1(VALU_DEP_1)
	v_wmma_f32_16x16x16_f16 v[8:15], v[16:19], v[64:67], v[8:15]
	v_cmp_ngt_f32_e64 s0, 0x3f200000, |v8|
	s_and_saveexec_b32 s1, s0
	s_wait_alu 0xfffe
	s_xor_b32 s0, exec_lo, s1
	s_cbranch_execz .LBB25_977
; %bb.976:                              ;   in Loop: Header=BB25_943 Depth=1
	v_add_f32_e64 v16, |v8|, |v8|
	s_delay_alu instid0(VALU_DEP_1) | instskip(SKIP_1) | instid1(VALU_DEP_2)
	v_mul_f32_e32 v17, 0x3fb8aa3b, v16
	v_cmp_ngt_f32_e32 vcc_lo, 0xc2ce8ed0, v16
	v_rndne_f32_e32 v18, v17
	v_fma_f32 v19, 0x3fb8aa3b, v16, -v17
	s_delay_alu instid0(VALU_DEP_2) | instskip(NEXT) | instid1(VALU_DEP_2)
	v_sub_f32_e32 v17, v17, v18
	v_fmac_f32_e32 v19, 0x32a5705f, v16
	v_cvt_i32_f32_e32 v18, v18
	s_delay_alu instid0(VALU_DEP_2) | instskip(NEXT) | instid1(VALU_DEP_1)
	v_add_f32_e32 v17, v17, v19
	v_exp_f32_e32 v17, v17
	s_delay_alu instid0(TRANS32_DEP_1) | instskip(SKIP_1) | instid1(VALU_DEP_1)
	v_ldexp_f32 v17, v17, v18
	s_wait_alu 0xfffd
	v_cndmask_b32_e32 v17, 0, v17, vcc_lo
	v_cmp_nlt_f32_e32 vcc_lo, 0x42b17218, v16
	s_wait_alu 0xfffd
	s_delay_alu instid0(VALU_DEP_2) | instskip(NEXT) | instid1(VALU_DEP_1)
	v_cndmask_b32_e32 v16, 0x7f800000, v17, vcc_lo
	v_add_f32_e32 v16, 1.0, v16
	s_delay_alu instid0(VALU_DEP_1) | instskip(NEXT) | instid1(TRANS32_DEP_1)
	v_rcp_f32_e32 v16, v16
	v_fma_f32 v152, v16, -2.0, 1.0
.LBB25_977:                             ;   in Loop: Header=BB25_943 Depth=1
	s_wait_alu 0xfffe
	s_and_not1_saveexec_b32 s0, s0
	s_cbranch_execz .LBB25_979
; %bb.978:                              ;   in Loop: Header=BB25_943 Depth=1
	v_mul_f32_e32 v16, v8, v8
	s_delay_alu instid0(VALU_DEP_1) | instskip(NEXT) | instid1(VALU_DEP_1)
	v_fmaak_f32 v17, s3, v16, 0x3ca908c9
	v_fmaak_f32 v17, v16, v17, 0xbd5c1c4e
	s_delay_alu instid0(VALU_DEP_1) | instskip(NEXT) | instid1(VALU_DEP_1)
	v_fmaak_f32 v17, v16, v17, 0x3e088382
	v_fmaak_f32 v17, v16, v17, 0xbeaaaa99
	s_delay_alu instid0(VALU_DEP_1) | instskip(NEXT) | instid1(VALU_DEP_1)
	v_mul_f32_e64 v17, |v8|, v17
	v_fma_f32 v152, v16, v17, |v8|
.LBB25_979:                             ;   in Loop: Header=BB25_943 Depth=1
	s_wait_alu 0xfffe
	s_or_b32 exec_lo, exec_lo, s0
	v_cmp_ngt_f32_e64 s0, 0x3f200000, |v9|
                                        ; implicit-def: $vgpr153
	s_and_saveexec_b32 s1, s0
	s_wait_alu 0xfffe
	s_xor_b32 s0, exec_lo, s1
	s_cbranch_execz .LBB25_981
; %bb.980:                              ;   in Loop: Header=BB25_943 Depth=1
	v_add_f32_e64 v16, |v9|, |v9|
	s_delay_alu instid0(VALU_DEP_1) | instskip(SKIP_1) | instid1(VALU_DEP_2)
	v_mul_f32_e32 v17, 0x3fb8aa3b, v16
	v_cmp_ngt_f32_e32 vcc_lo, 0xc2ce8ed0, v16
	v_rndne_f32_e32 v18, v17
	v_fma_f32 v19, 0x3fb8aa3b, v16, -v17
	s_delay_alu instid0(VALU_DEP_2) | instskip(NEXT) | instid1(VALU_DEP_2)
	v_sub_f32_e32 v17, v17, v18
	v_fmac_f32_e32 v19, 0x32a5705f, v16
	v_cvt_i32_f32_e32 v18, v18
	s_delay_alu instid0(VALU_DEP_2) | instskip(NEXT) | instid1(VALU_DEP_1)
	v_add_f32_e32 v17, v17, v19
	v_exp_f32_e32 v17, v17
	s_delay_alu instid0(TRANS32_DEP_1) | instskip(SKIP_1) | instid1(VALU_DEP_1)
	v_ldexp_f32 v17, v17, v18
	s_wait_alu 0xfffd
	v_cndmask_b32_e32 v17, 0, v17, vcc_lo
	v_cmp_nlt_f32_e32 vcc_lo, 0x42b17218, v16
	s_wait_alu 0xfffd
	s_delay_alu instid0(VALU_DEP_2) | instskip(NEXT) | instid1(VALU_DEP_1)
	v_cndmask_b32_e32 v16, 0x7f800000, v17, vcc_lo
	v_add_f32_e32 v16, 1.0, v16
	s_delay_alu instid0(VALU_DEP_1) | instskip(NEXT) | instid1(TRANS32_DEP_1)
	v_rcp_f32_e32 v16, v16
	v_fma_f32 v153, v16, -2.0, 1.0
.LBB25_981:                             ;   in Loop: Header=BB25_943 Depth=1
	s_wait_alu 0xfffe
	s_and_not1_saveexec_b32 s0, s0
	s_cbranch_execz .LBB25_983
; %bb.982:                              ;   in Loop: Header=BB25_943 Depth=1
	v_mul_f32_e32 v16, v9, v9
	s_delay_alu instid0(VALU_DEP_1) | instskip(NEXT) | instid1(VALU_DEP_1)
	v_fmaak_f32 v17, s3, v16, 0x3ca908c9
	v_fmaak_f32 v17, v16, v17, 0xbd5c1c4e
	s_delay_alu instid0(VALU_DEP_1) | instskip(NEXT) | instid1(VALU_DEP_1)
	v_fmaak_f32 v17, v16, v17, 0x3e088382
	v_fmaak_f32 v17, v16, v17, 0xbeaaaa99
	s_delay_alu instid0(VALU_DEP_1) | instskip(NEXT) | instid1(VALU_DEP_1)
	v_mul_f32_e64 v17, |v9|, v17
	v_fma_f32 v153, v16, v17, |v9|
.LBB25_983:                             ;   in Loop: Header=BB25_943 Depth=1
	s_wait_alu 0xfffe
	s_or_b32 exec_lo, exec_lo, s0
	v_cmp_ngt_f32_e64 s0, 0x3f200000, |v10|
                                        ; implicit-def: $vgpr154
	s_and_saveexec_b32 s1, s0
	s_wait_alu 0xfffe
	s_xor_b32 s0, exec_lo, s1
	s_cbranch_execz .LBB25_985
; %bb.984:                              ;   in Loop: Header=BB25_943 Depth=1
	v_add_f32_e64 v16, |v10|, |v10|
	s_delay_alu instid0(VALU_DEP_1) | instskip(SKIP_1) | instid1(VALU_DEP_2)
	v_mul_f32_e32 v17, 0x3fb8aa3b, v16
	v_cmp_ngt_f32_e32 vcc_lo, 0xc2ce8ed0, v16
	v_rndne_f32_e32 v18, v17
	v_fma_f32 v19, 0x3fb8aa3b, v16, -v17
	s_delay_alu instid0(VALU_DEP_2) | instskip(NEXT) | instid1(VALU_DEP_2)
	v_sub_f32_e32 v17, v17, v18
	v_fmac_f32_e32 v19, 0x32a5705f, v16
	v_cvt_i32_f32_e32 v18, v18
	s_delay_alu instid0(VALU_DEP_2) | instskip(NEXT) | instid1(VALU_DEP_1)
	v_add_f32_e32 v17, v17, v19
	v_exp_f32_e32 v17, v17
	s_delay_alu instid0(TRANS32_DEP_1) | instskip(SKIP_1) | instid1(VALU_DEP_1)
	v_ldexp_f32 v17, v17, v18
	s_wait_alu 0xfffd
	v_cndmask_b32_e32 v17, 0, v17, vcc_lo
	v_cmp_nlt_f32_e32 vcc_lo, 0x42b17218, v16
	s_wait_alu 0xfffd
	s_delay_alu instid0(VALU_DEP_2) | instskip(NEXT) | instid1(VALU_DEP_1)
	v_cndmask_b32_e32 v16, 0x7f800000, v17, vcc_lo
	v_add_f32_e32 v16, 1.0, v16
	s_delay_alu instid0(VALU_DEP_1) | instskip(NEXT) | instid1(TRANS32_DEP_1)
	v_rcp_f32_e32 v16, v16
	v_fma_f32 v154, v16, -2.0, 1.0
.LBB25_985:                             ;   in Loop: Header=BB25_943 Depth=1
	s_wait_alu 0xfffe
	s_and_not1_saveexec_b32 s0, s0
	s_cbranch_execz .LBB25_987
; %bb.986:                              ;   in Loop: Header=BB25_943 Depth=1
	v_mul_f32_e32 v16, v10, v10
	s_delay_alu instid0(VALU_DEP_1) | instskip(NEXT) | instid1(VALU_DEP_1)
	v_fmaak_f32 v17, s3, v16, 0x3ca908c9
	v_fmaak_f32 v17, v16, v17, 0xbd5c1c4e
	s_delay_alu instid0(VALU_DEP_1) | instskip(NEXT) | instid1(VALU_DEP_1)
	v_fmaak_f32 v17, v16, v17, 0x3e088382
	v_fmaak_f32 v17, v16, v17, 0xbeaaaa99
	s_delay_alu instid0(VALU_DEP_1) | instskip(NEXT) | instid1(VALU_DEP_1)
	v_mul_f32_e64 v17, |v10|, v17
	v_fma_f32 v154, v16, v17, |v10|
.LBB25_987:                             ;   in Loop: Header=BB25_943 Depth=1
	s_wait_alu 0xfffe
	s_or_b32 exec_lo, exec_lo, s0
	v_cmp_ngt_f32_e64 s0, 0x3f200000, |v11|
                                        ; implicit-def: $vgpr155
	s_and_saveexec_b32 s1, s0
	s_wait_alu 0xfffe
	s_xor_b32 s0, exec_lo, s1
	s_cbranch_execz .LBB25_989
; %bb.988:                              ;   in Loop: Header=BB25_943 Depth=1
	v_add_f32_e64 v16, |v11|, |v11|
	s_delay_alu instid0(VALU_DEP_1) | instskip(SKIP_1) | instid1(VALU_DEP_2)
	v_mul_f32_e32 v17, 0x3fb8aa3b, v16
	v_cmp_ngt_f32_e32 vcc_lo, 0xc2ce8ed0, v16
	v_rndne_f32_e32 v18, v17
	v_fma_f32 v19, 0x3fb8aa3b, v16, -v17
	s_delay_alu instid0(VALU_DEP_2) | instskip(NEXT) | instid1(VALU_DEP_2)
	v_sub_f32_e32 v17, v17, v18
	v_fmac_f32_e32 v19, 0x32a5705f, v16
	v_cvt_i32_f32_e32 v18, v18
	s_delay_alu instid0(VALU_DEP_2) | instskip(NEXT) | instid1(VALU_DEP_1)
	v_add_f32_e32 v17, v17, v19
	v_exp_f32_e32 v17, v17
	s_delay_alu instid0(TRANS32_DEP_1) | instskip(SKIP_1) | instid1(VALU_DEP_1)
	v_ldexp_f32 v17, v17, v18
	s_wait_alu 0xfffd
	v_cndmask_b32_e32 v17, 0, v17, vcc_lo
	v_cmp_nlt_f32_e32 vcc_lo, 0x42b17218, v16
	s_wait_alu 0xfffd
	s_delay_alu instid0(VALU_DEP_2) | instskip(NEXT) | instid1(VALU_DEP_1)
	v_cndmask_b32_e32 v16, 0x7f800000, v17, vcc_lo
	v_add_f32_e32 v16, 1.0, v16
	s_delay_alu instid0(VALU_DEP_1) | instskip(NEXT) | instid1(TRANS32_DEP_1)
	v_rcp_f32_e32 v16, v16
	v_fma_f32 v155, v16, -2.0, 1.0
.LBB25_989:                             ;   in Loop: Header=BB25_943 Depth=1
	s_wait_alu 0xfffe
	s_and_not1_saveexec_b32 s0, s0
	s_cbranch_execz .LBB25_991
; %bb.990:                              ;   in Loop: Header=BB25_943 Depth=1
	v_mul_f32_e32 v16, v11, v11
	s_delay_alu instid0(VALU_DEP_1) | instskip(NEXT) | instid1(VALU_DEP_1)
	v_fmaak_f32 v17, s3, v16, 0x3ca908c9
	v_fmaak_f32 v17, v16, v17, 0xbd5c1c4e
	s_delay_alu instid0(VALU_DEP_1) | instskip(NEXT) | instid1(VALU_DEP_1)
	v_fmaak_f32 v17, v16, v17, 0x3e088382
	v_fmaak_f32 v17, v16, v17, 0xbeaaaa99
	s_delay_alu instid0(VALU_DEP_1) | instskip(NEXT) | instid1(VALU_DEP_1)
	v_mul_f32_e64 v17, |v11|, v17
	v_fma_f32 v155, v16, v17, |v11|
.LBB25_991:                             ;   in Loop: Header=BB25_943 Depth=1
	s_wait_alu 0xfffe
	s_or_b32 exec_lo, exec_lo, s0
	v_cmp_ngt_f32_e64 s0, 0x3f200000, |v12|
                                        ; implicit-def: $vgpr156
	s_and_saveexec_b32 s1, s0
	s_wait_alu 0xfffe
	s_xor_b32 s0, exec_lo, s1
	s_cbranch_execz .LBB25_993
; %bb.992:                              ;   in Loop: Header=BB25_943 Depth=1
	v_add_f32_e64 v16, |v12|, |v12|
	s_delay_alu instid0(VALU_DEP_1) | instskip(SKIP_1) | instid1(VALU_DEP_2)
	v_mul_f32_e32 v17, 0x3fb8aa3b, v16
	v_cmp_ngt_f32_e32 vcc_lo, 0xc2ce8ed0, v16
	v_rndne_f32_e32 v18, v17
	v_fma_f32 v19, 0x3fb8aa3b, v16, -v17
	s_delay_alu instid0(VALU_DEP_2) | instskip(NEXT) | instid1(VALU_DEP_2)
	v_sub_f32_e32 v17, v17, v18
	v_fmac_f32_e32 v19, 0x32a5705f, v16
	v_cvt_i32_f32_e32 v18, v18
	s_delay_alu instid0(VALU_DEP_2) | instskip(NEXT) | instid1(VALU_DEP_1)
	v_add_f32_e32 v17, v17, v19
	v_exp_f32_e32 v17, v17
	s_delay_alu instid0(TRANS32_DEP_1) | instskip(SKIP_1) | instid1(VALU_DEP_1)
	v_ldexp_f32 v17, v17, v18
	s_wait_alu 0xfffd
	v_cndmask_b32_e32 v17, 0, v17, vcc_lo
	v_cmp_nlt_f32_e32 vcc_lo, 0x42b17218, v16
	s_wait_alu 0xfffd
	s_delay_alu instid0(VALU_DEP_2) | instskip(NEXT) | instid1(VALU_DEP_1)
	v_cndmask_b32_e32 v16, 0x7f800000, v17, vcc_lo
	v_add_f32_e32 v16, 1.0, v16
	s_delay_alu instid0(VALU_DEP_1) | instskip(NEXT) | instid1(TRANS32_DEP_1)
	v_rcp_f32_e32 v16, v16
	v_fma_f32 v156, v16, -2.0, 1.0
.LBB25_993:                             ;   in Loop: Header=BB25_943 Depth=1
	s_wait_alu 0xfffe
	s_and_not1_saveexec_b32 s0, s0
	s_cbranch_execz .LBB25_995
; %bb.994:                              ;   in Loop: Header=BB25_943 Depth=1
	v_mul_f32_e32 v16, v12, v12
	s_delay_alu instid0(VALU_DEP_1) | instskip(NEXT) | instid1(VALU_DEP_1)
	v_fmaak_f32 v17, s3, v16, 0x3ca908c9
	v_fmaak_f32 v17, v16, v17, 0xbd5c1c4e
	s_delay_alu instid0(VALU_DEP_1) | instskip(NEXT) | instid1(VALU_DEP_1)
	v_fmaak_f32 v17, v16, v17, 0x3e088382
	v_fmaak_f32 v17, v16, v17, 0xbeaaaa99
	s_delay_alu instid0(VALU_DEP_1) | instskip(NEXT) | instid1(VALU_DEP_1)
	v_mul_f32_e64 v17, |v12|, v17
	v_fma_f32 v156, v16, v17, |v12|
.LBB25_995:                             ;   in Loop: Header=BB25_943 Depth=1
	s_wait_alu 0xfffe
	s_or_b32 exec_lo, exec_lo, s0
	v_cmp_ngt_f32_e64 s0, 0x3f200000, |v13|
                                        ; implicit-def: $vgpr157
	s_and_saveexec_b32 s1, s0
	s_wait_alu 0xfffe
	s_xor_b32 s0, exec_lo, s1
	s_cbranch_execz .LBB25_997
; %bb.996:                              ;   in Loop: Header=BB25_943 Depth=1
	v_add_f32_e64 v16, |v13|, |v13|
	s_delay_alu instid0(VALU_DEP_1) | instskip(SKIP_1) | instid1(VALU_DEP_2)
	v_mul_f32_e32 v17, 0x3fb8aa3b, v16
	v_cmp_ngt_f32_e32 vcc_lo, 0xc2ce8ed0, v16
	v_rndne_f32_e32 v18, v17
	v_fma_f32 v19, 0x3fb8aa3b, v16, -v17
	s_delay_alu instid0(VALU_DEP_2) | instskip(NEXT) | instid1(VALU_DEP_2)
	v_sub_f32_e32 v17, v17, v18
	v_fmac_f32_e32 v19, 0x32a5705f, v16
	v_cvt_i32_f32_e32 v18, v18
	s_delay_alu instid0(VALU_DEP_2) | instskip(NEXT) | instid1(VALU_DEP_1)
	v_add_f32_e32 v17, v17, v19
	v_exp_f32_e32 v17, v17
	s_delay_alu instid0(TRANS32_DEP_1) | instskip(SKIP_1) | instid1(VALU_DEP_1)
	v_ldexp_f32 v17, v17, v18
	s_wait_alu 0xfffd
	v_cndmask_b32_e32 v17, 0, v17, vcc_lo
	v_cmp_nlt_f32_e32 vcc_lo, 0x42b17218, v16
	s_wait_alu 0xfffd
	s_delay_alu instid0(VALU_DEP_2) | instskip(NEXT) | instid1(VALU_DEP_1)
	v_cndmask_b32_e32 v16, 0x7f800000, v17, vcc_lo
	v_add_f32_e32 v16, 1.0, v16
	s_delay_alu instid0(VALU_DEP_1) | instskip(NEXT) | instid1(TRANS32_DEP_1)
	v_rcp_f32_e32 v16, v16
	v_fma_f32 v157, v16, -2.0, 1.0
.LBB25_997:                             ;   in Loop: Header=BB25_943 Depth=1
	s_wait_alu 0xfffe
	s_and_not1_saveexec_b32 s0, s0
	s_cbranch_execz .LBB25_999
; %bb.998:                              ;   in Loop: Header=BB25_943 Depth=1
	v_mul_f32_e32 v16, v13, v13
	s_delay_alu instid0(VALU_DEP_1) | instskip(NEXT) | instid1(VALU_DEP_1)
	v_fmaak_f32 v17, s3, v16, 0x3ca908c9
	v_fmaak_f32 v17, v16, v17, 0xbd5c1c4e
	s_delay_alu instid0(VALU_DEP_1) | instskip(NEXT) | instid1(VALU_DEP_1)
	v_fmaak_f32 v17, v16, v17, 0x3e088382
	v_fmaak_f32 v17, v16, v17, 0xbeaaaa99
	s_delay_alu instid0(VALU_DEP_1) | instskip(NEXT) | instid1(VALU_DEP_1)
	v_mul_f32_e64 v17, |v13|, v17
	v_fma_f32 v157, v16, v17, |v13|
.LBB25_999:                             ;   in Loop: Header=BB25_943 Depth=1
	s_wait_alu 0xfffe
	s_or_b32 exec_lo, exec_lo, s0
	v_cmp_ngt_f32_e64 s0, 0x3f200000, |v14|
                                        ; implicit-def: $vgpr159
	s_and_saveexec_b32 s1, s0
	s_wait_alu 0xfffe
	s_xor_b32 s0, exec_lo, s1
	s_cbranch_execz .LBB25_1001
; %bb.1000:                             ;   in Loop: Header=BB25_943 Depth=1
	v_add_f32_e64 v16, |v14|, |v14|
	s_delay_alu instid0(VALU_DEP_1) | instskip(SKIP_1) | instid1(VALU_DEP_2)
	v_mul_f32_e32 v17, 0x3fb8aa3b, v16
	v_cmp_ngt_f32_e32 vcc_lo, 0xc2ce8ed0, v16
	v_rndne_f32_e32 v18, v17
	v_fma_f32 v19, 0x3fb8aa3b, v16, -v17
	s_delay_alu instid0(VALU_DEP_2) | instskip(NEXT) | instid1(VALU_DEP_2)
	v_sub_f32_e32 v17, v17, v18
	v_fmac_f32_e32 v19, 0x32a5705f, v16
	v_cvt_i32_f32_e32 v18, v18
	s_delay_alu instid0(VALU_DEP_2) | instskip(NEXT) | instid1(VALU_DEP_1)
	v_add_f32_e32 v17, v17, v19
	v_exp_f32_e32 v17, v17
	s_delay_alu instid0(TRANS32_DEP_1) | instskip(SKIP_1) | instid1(VALU_DEP_1)
	v_ldexp_f32 v17, v17, v18
	s_wait_alu 0xfffd
	v_cndmask_b32_e32 v17, 0, v17, vcc_lo
	v_cmp_nlt_f32_e32 vcc_lo, 0x42b17218, v16
	s_wait_alu 0xfffd
	s_delay_alu instid0(VALU_DEP_2) | instskip(NEXT) | instid1(VALU_DEP_1)
	v_cndmask_b32_e32 v16, 0x7f800000, v17, vcc_lo
	v_add_f32_e32 v16, 1.0, v16
	s_delay_alu instid0(VALU_DEP_1) | instskip(NEXT) | instid1(TRANS32_DEP_1)
	v_rcp_f32_e32 v16, v16
	v_fma_f32 v159, v16, -2.0, 1.0
.LBB25_1001:                            ;   in Loop: Header=BB25_943 Depth=1
	s_wait_alu 0xfffe
	s_and_not1_saveexec_b32 s0, s0
	s_cbranch_execz .LBB25_1003
; %bb.1002:                             ;   in Loop: Header=BB25_943 Depth=1
	v_mul_f32_e32 v16, v14, v14
	s_delay_alu instid0(VALU_DEP_1) | instskip(NEXT) | instid1(VALU_DEP_1)
	v_fmaak_f32 v17, s3, v16, 0x3ca908c9
	v_fmaak_f32 v17, v16, v17, 0xbd5c1c4e
	s_delay_alu instid0(VALU_DEP_1) | instskip(NEXT) | instid1(VALU_DEP_1)
	v_fmaak_f32 v17, v16, v17, 0x3e088382
	v_fmaak_f32 v17, v16, v17, 0xbeaaaa99
	s_delay_alu instid0(VALU_DEP_1) | instskip(NEXT) | instid1(VALU_DEP_1)
	v_mul_f32_e64 v17, |v14|, v17
	v_fma_f32 v159, v16, v17, |v14|
.LBB25_1003:                            ;   in Loop: Header=BB25_943 Depth=1
	s_wait_alu 0xfffe
	s_or_b32 exec_lo, exec_lo, s0
	v_cmp_ngt_f32_e64 s0, 0x3f200000, |v15|
                                        ; implicit-def: $vgpr158
	s_and_saveexec_b32 s1, s0
	s_wait_alu 0xfffe
	s_xor_b32 s0, exec_lo, s1
	s_cbranch_execz .LBB25_1005
; %bb.1004:                             ;   in Loop: Header=BB25_943 Depth=1
	v_add_f32_e64 v16, |v15|, |v15|
	s_delay_alu instid0(VALU_DEP_1) | instskip(SKIP_1) | instid1(VALU_DEP_2)
	v_mul_f32_e32 v17, 0x3fb8aa3b, v16
	v_cmp_ngt_f32_e32 vcc_lo, 0xc2ce8ed0, v16
	v_rndne_f32_e32 v18, v17
	v_fma_f32 v19, 0x3fb8aa3b, v16, -v17
	s_delay_alu instid0(VALU_DEP_2) | instskip(NEXT) | instid1(VALU_DEP_2)
	v_sub_f32_e32 v17, v17, v18
	v_fmac_f32_e32 v19, 0x32a5705f, v16
	v_cvt_i32_f32_e32 v18, v18
	s_delay_alu instid0(VALU_DEP_2) | instskip(NEXT) | instid1(VALU_DEP_1)
	v_add_f32_e32 v17, v17, v19
	v_exp_f32_e32 v17, v17
	s_delay_alu instid0(TRANS32_DEP_1) | instskip(SKIP_1) | instid1(VALU_DEP_1)
	v_ldexp_f32 v17, v17, v18
	s_wait_alu 0xfffd
	v_cndmask_b32_e32 v17, 0, v17, vcc_lo
	v_cmp_nlt_f32_e32 vcc_lo, 0x42b17218, v16
	s_wait_alu 0xfffd
	s_delay_alu instid0(VALU_DEP_2) | instskip(NEXT) | instid1(VALU_DEP_1)
	v_cndmask_b32_e32 v16, 0x7f800000, v17, vcc_lo
	v_add_f32_e32 v16, 1.0, v16
	s_delay_alu instid0(VALU_DEP_1) | instskip(NEXT) | instid1(TRANS32_DEP_1)
	v_rcp_f32_e32 v16, v16
	v_fma_f32 v158, v16, -2.0, 1.0
.LBB25_1005:                            ;   in Loop: Header=BB25_943 Depth=1
	s_wait_alu 0xfffe
	s_and_not1_saveexec_b32 s0, s0
	s_cbranch_execz .LBB25_1007
; %bb.1006:                             ;   in Loop: Header=BB25_943 Depth=1
	v_mul_f32_e32 v16, v15, v15
	s_delay_alu instid0(VALU_DEP_1) | instskip(NEXT) | instid1(VALU_DEP_1)
	v_fmaak_f32 v17, s3, v16, 0x3ca908c9
	v_fmaak_f32 v17, v16, v17, 0xbd5c1c4e
	s_delay_alu instid0(VALU_DEP_1) | instskip(NEXT) | instid1(VALU_DEP_1)
	v_fmaak_f32 v17, v16, v17, 0x3e088382
	v_fmaak_f32 v17, v16, v17, 0xbeaaaa99
	s_delay_alu instid0(VALU_DEP_1) | instskip(NEXT) | instid1(VALU_DEP_1)
	v_mul_f32_e64 v17, |v15|, v17
	v_fma_f32 v158, v16, v17, |v15|
.LBB25_1007:                            ;   in Loop: Header=BB25_943 Depth=1
	s_wait_alu 0xfffe
	s_or_b32 exec_lo, exec_lo, s0
	v_wmma_f32_16x16x16_f16 v[16:23], v[148:151], v[92:95], 0
	s_delay_alu instid0(VALU_DEP_1) | instskip(NEXT) | instid1(VALU_DEP_1)
	v_wmma_f32_16x16x16_f16 v[16:23], v[144:147], v[88:91], v[16:23]
	v_wmma_f32_16x16x16_f16 v[16:23], v[140:143], v[84:87], v[16:23]
	s_delay_alu instid0(VALU_DEP_1) | instskip(NEXT) | instid1(VALU_DEP_1)
	v_wmma_f32_16x16x16_f16 v[16:23], v[136:139], v[80:83], v[16:23]
	;; [unrolled: 3-line block ×3, first 2 shown]
                                        ; implicit-def: $vgpr128
	v_wmma_f32_16x16x16_f16 v[16:23], v[28:31], v[68:71], v[16:23]
	s_delay_alu instid0(VALU_DEP_1) | instskip(NEXT) | instid1(VALU_DEP_1)
	v_wmma_f32_16x16x16_f16 v[16:23], v[24:27], v[64:67], v[16:23]
	v_cmp_ngt_f32_e64 s0, 0x3f200000, |v16|
	s_and_saveexec_b32 s1, s0
	s_wait_alu 0xfffe
	s_xor_b32 s0, exec_lo, s1
	s_cbranch_execz .LBB25_1009
; %bb.1008:                             ;   in Loop: Header=BB25_943 Depth=1
	v_add_f32_e64 v24, |v16|, |v16|
	s_delay_alu instid0(VALU_DEP_1) | instskip(SKIP_1) | instid1(VALU_DEP_2)
	v_mul_f32_e32 v25, 0x3fb8aa3b, v24
	v_cmp_ngt_f32_e32 vcc_lo, 0xc2ce8ed0, v24
	v_rndne_f32_e32 v26, v25
	v_fma_f32 v27, 0x3fb8aa3b, v24, -v25
	s_delay_alu instid0(VALU_DEP_2) | instskip(NEXT) | instid1(VALU_DEP_2)
	v_sub_f32_e32 v25, v25, v26
	v_fmac_f32_e32 v27, 0x32a5705f, v24
	v_cvt_i32_f32_e32 v26, v26
	s_delay_alu instid0(VALU_DEP_2) | instskip(NEXT) | instid1(VALU_DEP_1)
	v_add_f32_e32 v25, v25, v27
	v_exp_f32_e32 v25, v25
	s_delay_alu instid0(TRANS32_DEP_1) | instskip(SKIP_1) | instid1(VALU_DEP_1)
	v_ldexp_f32 v25, v25, v26
	s_wait_alu 0xfffd
	v_cndmask_b32_e32 v25, 0, v25, vcc_lo
	v_cmp_nlt_f32_e32 vcc_lo, 0x42b17218, v24
	s_wait_alu 0xfffd
	s_delay_alu instid0(VALU_DEP_2) | instskip(NEXT) | instid1(VALU_DEP_1)
	v_cndmask_b32_e32 v24, 0x7f800000, v25, vcc_lo
	v_add_f32_e32 v24, 1.0, v24
	s_delay_alu instid0(VALU_DEP_1) | instskip(NEXT) | instid1(TRANS32_DEP_1)
	v_rcp_f32_e32 v24, v24
	v_fma_f32 v128, v24, -2.0, 1.0
.LBB25_1009:                            ;   in Loop: Header=BB25_943 Depth=1
	s_wait_alu 0xfffe
	s_and_not1_saveexec_b32 s0, s0
	s_cbranch_execz .LBB25_1011
; %bb.1010:                             ;   in Loop: Header=BB25_943 Depth=1
	v_mul_f32_e32 v24, v16, v16
	s_delay_alu instid0(VALU_DEP_1) | instskip(NEXT) | instid1(VALU_DEP_1)
	v_fmaak_f32 v25, s3, v24, 0x3ca908c9
	v_fmaak_f32 v25, v24, v25, 0xbd5c1c4e
	s_delay_alu instid0(VALU_DEP_1) | instskip(NEXT) | instid1(VALU_DEP_1)
	v_fmaak_f32 v25, v24, v25, 0x3e088382
	v_fmaak_f32 v25, v24, v25, 0xbeaaaa99
	s_delay_alu instid0(VALU_DEP_1) | instskip(NEXT) | instid1(VALU_DEP_1)
	v_mul_f32_e64 v25, |v16|, v25
	v_fma_f32 v128, v24, v25, |v16|
.LBB25_1011:                            ;   in Loop: Header=BB25_943 Depth=1
	s_wait_alu 0xfffe
	s_or_b32 exec_lo, exec_lo, s0
	v_cmp_ngt_f32_e64 s0, 0x3f200000, |v17|
                                        ; implicit-def: $vgpr129
	s_and_saveexec_b32 s1, s0
	s_wait_alu 0xfffe
	s_xor_b32 s0, exec_lo, s1
	s_cbranch_execz .LBB25_1013
; %bb.1012:                             ;   in Loop: Header=BB25_943 Depth=1
	v_add_f32_e64 v24, |v17|, |v17|
	s_delay_alu instid0(VALU_DEP_1) | instskip(SKIP_1) | instid1(VALU_DEP_2)
	v_mul_f32_e32 v25, 0x3fb8aa3b, v24
	v_cmp_ngt_f32_e32 vcc_lo, 0xc2ce8ed0, v24
	v_rndne_f32_e32 v26, v25
	v_fma_f32 v27, 0x3fb8aa3b, v24, -v25
	s_delay_alu instid0(VALU_DEP_2) | instskip(NEXT) | instid1(VALU_DEP_2)
	v_sub_f32_e32 v25, v25, v26
	v_fmac_f32_e32 v27, 0x32a5705f, v24
	v_cvt_i32_f32_e32 v26, v26
	s_delay_alu instid0(VALU_DEP_2) | instskip(NEXT) | instid1(VALU_DEP_1)
	v_add_f32_e32 v25, v25, v27
	v_exp_f32_e32 v25, v25
	s_delay_alu instid0(TRANS32_DEP_1) | instskip(SKIP_1) | instid1(VALU_DEP_1)
	v_ldexp_f32 v25, v25, v26
	s_wait_alu 0xfffd
	v_cndmask_b32_e32 v25, 0, v25, vcc_lo
	v_cmp_nlt_f32_e32 vcc_lo, 0x42b17218, v24
	s_wait_alu 0xfffd
	s_delay_alu instid0(VALU_DEP_2) | instskip(NEXT) | instid1(VALU_DEP_1)
	v_cndmask_b32_e32 v24, 0x7f800000, v25, vcc_lo
	v_add_f32_e32 v24, 1.0, v24
	s_delay_alu instid0(VALU_DEP_1) | instskip(NEXT) | instid1(TRANS32_DEP_1)
	v_rcp_f32_e32 v24, v24
	v_fma_f32 v129, v24, -2.0, 1.0
.LBB25_1013:                            ;   in Loop: Header=BB25_943 Depth=1
	s_wait_alu 0xfffe
	s_and_not1_saveexec_b32 s0, s0
	s_cbranch_execz .LBB25_1015
; %bb.1014:                             ;   in Loop: Header=BB25_943 Depth=1
	v_mul_f32_e32 v24, v17, v17
	s_delay_alu instid0(VALU_DEP_1) | instskip(NEXT) | instid1(VALU_DEP_1)
	v_fmaak_f32 v25, s3, v24, 0x3ca908c9
	v_fmaak_f32 v25, v24, v25, 0xbd5c1c4e
	s_delay_alu instid0(VALU_DEP_1) | instskip(NEXT) | instid1(VALU_DEP_1)
	v_fmaak_f32 v25, v24, v25, 0x3e088382
	v_fmaak_f32 v25, v24, v25, 0xbeaaaa99
	s_delay_alu instid0(VALU_DEP_1) | instskip(NEXT) | instid1(VALU_DEP_1)
	v_mul_f32_e64 v25, |v17|, v25
	v_fma_f32 v129, v24, v25, |v17|
.LBB25_1015:                            ;   in Loop: Header=BB25_943 Depth=1
	s_wait_alu 0xfffe
	s_or_b32 exec_lo, exec_lo, s0
	v_cmp_ngt_f32_e64 s0, 0x3f200000, |v18|
                                        ; implicit-def: $vgpr130
	s_and_saveexec_b32 s1, s0
	s_wait_alu 0xfffe
	s_xor_b32 s0, exec_lo, s1
	s_cbranch_execz .LBB25_1017
; %bb.1016:                             ;   in Loop: Header=BB25_943 Depth=1
	v_add_f32_e64 v24, |v18|, |v18|
	s_delay_alu instid0(VALU_DEP_1) | instskip(SKIP_1) | instid1(VALU_DEP_2)
	v_mul_f32_e32 v25, 0x3fb8aa3b, v24
	v_cmp_ngt_f32_e32 vcc_lo, 0xc2ce8ed0, v24
	v_rndne_f32_e32 v26, v25
	v_fma_f32 v27, 0x3fb8aa3b, v24, -v25
	s_delay_alu instid0(VALU_DEP_2) | instskip(NEXT) | instid1(VALU_DEP_2)
	v_sub_f32_e32 v25, v25, v26
	v_fmac_f32_e32 v27, 0x32a5705f, v24
	v_cvt_i32_f32_e32 v26, v26
	s_delay_alu instid0(VALU_DEP_2) | instskip(NEXT) | instid1(VALU_DEP_1)
	v_add_f32_e32 v25, v25, v27
	v_exp_f32_e32 v25, v25
	s_delay_alu instid0(TRANS32_DEP_1) | instskip(SKIP_1) | instid1(VALU_DEP_1)
	v_ldexp_f32 v25, v25, v26
	s_wait_alu 0xfffd
	v_cndmask_b32_e32 v25, 0, v25, vcc_lo
	v_cmp_nlt_f32_e32 vcc_lo, 0x42b17218, v24
	s_wait_alu 0xfffd
	s_delay_alu instid0(VALU_DEP_2) | instskip(NEXT) | instid1(VALU_DEP_1)
	v_cndmask_b32_e32 v24, 0x7f800000, v25, vcc_lo
	v_add_f32_e32 v24, 1.0, v24
	s_delay_alu instid0(VALU_DEP_1) | instskip(NEXT) | instid1(TRANS32_DEP_1)
	v_rcp_f32_e32 v24, v24
	v_fma_f32 v130, v24, -2.0, 1.0
.LBB25_1017:                            ;   in Loop: Header=BB25_943 Depth=1
	s_wait_alu 0xfffe
	s_and_not1_saveexec_b32 s0, s0
	s_cbranch_execz .LBB25_1019
; %bb.1018:                             ;   in Loop: Header=BB25_943 Depth=1
	v_mul_f32_e32 v24, v18, v18
	s_delay_alu instid0(VALU_DEP_1) | instskip(NEXT) | instid1(VALU_DEP_1)
	v_fmaak_f32 v25, s3, v24, 0x3ca908c9
	v_fmaak_f32 v25, v24, v25, 0xbd5c1c4e
	s_delay_alu instid0(VALU_DEP_1) | instskip(NEXT) | instid1(VALU_DEP_1)
	v_fmaak_f32 v25, v24, v25, 0x3e088382
	v_fmaak_f32 v25, v24, v25, 0xbeaaaa99
	s_delay_alu instid0(VALU_DEP_1) | instskip(NEXT) | instid1(VALU_DEP_1)
	v_mul_f32_e64 v25, |v18|, v25
	v_fma_f32 v130, v24, v25, |v18|
.LBB25_1019:                            ;   in Loop: Header=BB25_943 Depth=1
	s_wait_alu 0xfffe
	s_or_b32 exec_lo, exec_lo, s0
	v_cmp_ngt_f32_e64 s0, 0x3f200000, |v19|
                                        ; implicit-def: $vgpr131
	s_and_saveexec_b32 s1, s0
	s_wait_alu 0xfffe
	s_xor_b32 s0, exec_lo, s1
	s_cbranch_execz .LBB25_1021
; %bb.1020:                             ;   in Loop: Header=BB25_943 Depth=1
	v_add_f32_e64 v24, |v19|, |v19|
	s_delay_alu instid0(VALU_DEP_1) | instskip(SKIP_1) | instid1(VALU_DEP_2)
	v_mul_f32_e32 v25, 0x3fb8aa3b, v24
	v_cmp_ngt_f32_e32 vcc_lo, 0xc2ce8ed0, v24
	v_rndne_f32_e32 v26, v25
	v_fma_f32 v27, 0x3fb8aa3b, v24, -v25
	s_delay_alu instid0(VALU_DEP_2) | instskip(NEXT) | instid1(VALU_DEP_2)
	v_sub_f32_e32 v25, v25, v26
	v_fmac_f32_e32 v27, 0x32a5705f, v24
	v_cvt_i32_f32_e32 v26, v26
	s_delay_alu instid0(VALU_DEP_2) | instskip(NEXT) | instid1(VALU_DEP_1)
	v_add_f32_e32 v25, v25, v27
	v_exp_f32_e32 v25, v25
	s_delay_alu instid0(TRANS32_DEP_1) | instskip(SKIP_1) | instid1(VALU_DEP_1)
	v_ldexp_f32 v25, v25, v26
	s_wait_alu 0xfffd
	v_cndmask_b32_e32 v25, 0, v25, vcc_lo
	v_cmp_nlt_f32_e32 vcc_lo, 0x42b17218, v24
	s_wait_alu 0xfffd
	s_delay_alu instid0(VALU_DEP_2) | instskip(NEXT) | instid1(VALU_DEP_1)
	v_cndmask_b32_e32 v24, 0x7f800000, v25, vcc_lo
	v_add_f32_e32 v24, 1.0, v24
	s_delay_alu instid0(VALU_DEP_1) | instskip(NEXT) | instid1(TRANS32_DEP_1)
	v_rcp_f32_e32 v24, v24
	v_fma_f32 v131, v24, -2.0, 1.0
.LBB25_1021:                            ;   in Loop: Header=BB25_943 Depth=1
	s_wait_alu 0xfffe
	s_and_not1_saveexec_b32 s0, s0
	s_cbranch_execz .LBB25_1023
; %bb.1022:                             ;   in Loop: Header=BB25_943 Depth=1
	v_mul_f32_e32 v24, v19, v19
	s_delay_alu instid0(VALU_DEP_1) | instskip(NEXT) | instid1(VALU_DEP_1)
	v_fmaak_f32 v25, s3, v24, 0x3ca908c9
	v_fmaak_f32 v25, v24, v25, 0xbd5c1c4e
	s_delay_alu instid0(VALU_DEP_1) | instskip(NEXT) | instid1(VALU_DEP_1)
	v_fmaak_f32 v25, v24, v25, 0x3e088382
	v_fmaak_f32 v25, v24, v25, 0xbeaaaa99
	s_delay_alu instid0(VALU_DEP_1) | instskip(NEXT) | instid1(VALU_DEP_1)
	v_mul_f32_e64 v25, |v19|, v25
	v_fma_f32 v131, v24, v25, |v19|
.LBB25_1023:                            ;   in Loop: Header=BB25_943 Depth=1
	s_wait_alu 0xfffe
	s_or_b32 exec_lo, exec_lo, s0
	v_cmp_ngt_f32_e64 s0, 0x3f200000, |v20|
                                        ; implicit-def: $vgpr132
	s_and_saveexec_b32 s1, s0
	s_wait_alu 0xfffe
	s_xor_b32 s0, exec_lo, s1
	s_cbranch_execz .LBB25_1025
; %bb.1024:                             ;   in Loop: Header=BB25_943 Depth=1
	v_add_f32_e64 v24, |v20|, |v20|
	s_delay_alu instid0(VALU_DEP_1) | instskip(SKIP_1) | instid1(VALU_DEP_2)
	v_mul_f32_e32 v25, 0x3fb8aa3b, v24
	v_cmp_ngt_f32_e32 vcc_lo, 0xc2ce8ed0, v24
	v_rndne_f32_e32 v26, v25
	v_fma_f32 v27, 0x3fb8aa3b, v24, -v25
	s_delay_alu instid0(VALU_DEP_2) | instskip(NEXT) | instid1(VALU_DEP_2)
	v_sub_f32_e32 v25, v25, v26
	v_fmac_f32_e32 v27, 0x32a5705f, v24
	v_cvt_i32_f32_e32 v26, v26
	s_delay_alu instid0(VALU_DEP_2) | instskip(NEXT) | instid1(VALU_DEP_1)
	v_add_f32_e32 v25, v25, v27
	v_exp_f32_e32 v25, v25
	s_delay_alu instid0(TRANS32_DEP_1) | instskip(SKIP_1) | instid1(VALU_DEP_1)
	v_ldexp_f32 v25, v25, v26
	s_wait_alu 0xfffd
	v_cndmask_b32_e32 v25, 0, v25, vcc_lo
	v_cmp_nlt_f32_e32 vcc_lo, 0x42b17218, v24
	s_wait_alu 0xfffd
	s_delay_alu instid0(VALU_DEP_2) | instskip(NEXT) | instid1(VALU_DEP_1)
	v_cndmask_b32_e32 v24, 0x7f800000, v25, vcc_lo
	v_add_f32_e32 v24, 1.0, v24
	s_delay_alu instid0(VALU_DEP_1) | instskip(NEXT) | instid1(TRANS32_DEP_1)
	v_rcp_f32_e32 v24, v24
	v_fma_f32 v132, v24, -2.0, 1.0
.LBB25_1025:                            ;   in Loop: Header=BB25_943 Depth=1
	s_wait_alu 0xfffe
	s_and_not1_saveexec_b32 s0, s0
	s_cbranch_execz .LBB25_1027
; %bb.1026:                             ;   in Loop: Header=BB25_943 Depth=1
	v_mul_f32_e32 v24, v20, v20
	s_delay_alu instid0(VALU_DEP_1) | instskip(NEXT) | instid1(VALU_DEP_1)
	v_fmaak_f32 v25, s3, v24, 0x3ca908c9
	v_fmaak_f32 v25, v24, v25, 0xbd5c1c4e
	s_delay_alu instid0(VALU_DEP_1) | instskip(NEXT) | instid1(VALU_DEP_1)
	v_fmaak_f32 v25, v24, v25, 0x3e088382
	v_fmaak_f32 v25, v24, v25, 0xbeaaaa99
	s_delay_alu instid0(VALU_DEP_1) | instskip(NEXT) | instid1(VALU_DEP_1)
	v_mul_f32_e64 v25, |v20|, v25
	v_fma_f32 v132, v24, v25, |v20|
.LBB25_1027:                            ;   in Loop: Header=BB25_943 Depth=1
	s_wait_alu 0xfffe
	s_or_b32 exec_lo, exec_lo, s0
	v_cmp_ngt_f32_e64 s0, 0x3f200000, |v21|
                                        ; implicit-def: $vgpr133
	s_and_saveexec_b32 s1, s0
	s_wait_alu 0xfffe
	s_xor_b32 s0, exec_lo, s1
	s_cbranch_execz .LBB25_1029
; %bb.1028:                             ;   in Loop: Header=BB25_943 Depth=1
	v_add_f32_e64 v24, |v21|, |v21|
	s_delay_alu instid0(VALU_DEP_1) | instskip(SKIP_1) | instid1(VALU_DEP_2)
	v_mul_f32_e32 v25, 0x3fb8aa3b, v24
	v_cmp_ngt_f32_e32 vcc_lo, 0xc2ce8ed0, v24
	v_rndne_f32_e32 v26, v25
	v_fma_f32 v27, 0x3fb8aa3b, v24, -v25
	s_delay_alu instid0(VALU_DEP_2) | instskip(NEXT) | instid1(VALU_DEP_2)
	v_sub_f32_e32 v25, v25, v26
	v_fmac_f32_e32 v27, 0x32a5705f, v24
	v_cvt_i32_f32_e32 v26, v26
	s_delay_alu instid0(VALU_DEP_2) | instskip(NEXT) | instid1(VALU_DEP_1)
	v_add_f32_e32 v25, v25, v27
	v_exp_f32_e32 v25, v25
	s_delay_alu instid0(TRANS32_DEP_1) | instskip(SKIP_1) | instid1(VALU_DEP_1)
	v_ldexp_f32 v25, v25, v26
	s_wait_alu 0xfffd
	v_cndmask_b32_e32 v25, 0, v25, vcc_lo
	v_cmp_nlt_f32_e32 vcc_lo, 0x42b17218, v24
	s_wait_alu 0xfffd
	s_delay_alu instid0(VALU_DEP_2) | instskip(NEXT) | instid1(VALU_DEP_1)
	v_cndmask_b32_e32 v24, 0x7f800000, v25, vcc_lo
	v_add_f32_e32 v24, 1.0, v24
	s_delay_alu instid0(VALU_DEP_1) | instskip(NEXT) | instid1(TRANS32_DEP_1)
	v_rcp_f32_e32 v24, v24
	v_fma_f32 v133, v24, -2.0, 1.0
.LBB25_1029:                            ;   in Loop: Header=BB25_943 Depth=1
	s_wait_alu 0xfffe
	s_and_not1_saveexec_b32 s0, s0
	s_cbranch_execz .LBB25_1031
; %bb.1030:                             ;   in Loop: Header=BB25_943 Depth=1
	v_mul_f32_e32 v24, v21, v21
	s_delay_alu instid0(VALU_DEP_1) | instskip(NEXT) | instid1(VALU_DEP_1)
	v_fmaak_f32 v25, s3, v24, 0x3ca908c9
	v_fmaak_f32 v25, v24, v25, 0xbd5c1c4e
	s_delay_alu instid0(VALU_DEP_1) | instskip(NEXT) | instid1(VALU_DEP_1)
	v_fmaak_f32 v25, v24, v25, 0x3e088382
	v_fmaak_f32 v25, v24, v25, 0xbeaaaa99
	s_delay_alu instid0(VALU_DEP_1) | instskip(NEXT) | instid1(VALU_DEP_1)
	v_mul_f32_e64 v25, |v21|, v25
	v_fma_f32 v133, v24, v25, |v21|
.LBB25_1031:                            ;   in Loop: Header=BB25_943 Depth=1
	s_wait_alu 0xfffe
	s_or_b32 exec_lo, exec_lo, s0
	v_cmp_ngt_f32_e64 s0, 0x3f200000, |v22|
                                        ; implicit-def: $vgpr134
	s_and_saveexec_b32 s1, s0
	s_wait_alu 0xfffe
	s_xor_b32 s0, exec_lo, s1
	s_cbranch_execz .LBB25_1033
; %bb.1032:                             ;   in Loop: Header=BB25_943 Depth=1
	v_add_f32_e64 v24, |v22|, |v22|
	s_delay_alu instid0(VALU_DEP_1) | instskip(SKIP_1) | instid1(VALU_DEP_2)
	v_mul_f32_e32 v25, 0x3fb8aa3b, v24
	v_cmp_ngt_f32_e32 vcc_lo, 0xc2ce8ed0, v24
	v_rndne_f32_e32 v26, v25
	v_fma_f32 v27, 0x3fb8aa3b, v24, -v25
	s_delay_alu instid0(VALU_DEP_2) | instskip(NEXT) | instid1(VALU_DEP_2)
	v_sub_f32_e32 v25, v25, v26
	v_fmac_f32_e32 v27, 0x32a5705f, v24
	v_cvt_i32_f32_e32 v26, v26
	s_delay_alu instid0(VALU_DEP_2) | instskip(NEXT) | instid1(VALU_DEP_1)
	v_add_f32_e32 v25, v25, v27
	v_exp_f32_e32 v25, v25
	s_delay_alu instid0(TRANS32_DEP_1) | instskip(SKIP_1) | instid1(VALU_DEP_1)
	v_ldexp_f32 v25, v25, v26
	s_wait_alu 0xfffd
	v_cndmask_b32_e32 v25, 0, v25, vcc_lo
	v_cmp_nlt_f32_e32 vcc_lo, 0x42b17218, v24
	s_wait_alu 0xfffd
	s_delay_alu instid0(VALU_DEP_2) | instskip(NEXT) | instid1(VALU_DEP_1)
	v_cndmask_b32_e32 v24, 0x7f800000, v25, vcc_lo
	v_add_f32_e32 v24, 1.0, v24
	s_delay_alu instid0(VALU_DEP_1) | instskip(NEXT) | instid1(TRANS32_DEP_1)
	v_rcp_f32_e32 v24, v24
	v_fma_f32 v134, v24, -2.0, 1.0
.LBB25_1033:                            ;   in Loop: Header=BB25_943 Depth=1
	s_wait_alu 0xfffe
	s_and_not1_saveexec_b32 s0, s0
	s_cbranch_execz .LBB25_1035
; %bb.1034:                             ;   in Loop: Header=BB25_943 Depth=1
	v_mul_f32_e32 v24, v22, v22
	s_delay_alu instid0(VALU_DEP_1) | instskip(NEXT) | instid1(VALU_DEP_1)
	v_fmaak_f32 v25, s3, v24, 0x3ca908c9
	v_fmaak_f32 v25, v24, v25, 0xbd5c1c4e
	s_delay_alu instid0(VALU_DEP_1) | instskip(NEXT) | instid1(VALU_DEP_1)
	v_fmaak_f32 v25, v24, v25, 0x3e088382
	v_fmaak_f32 v25, v24, v25, 0xbeaaaa99
	s_delay_alu instid0(VALU_DEP_1) | instskip(NEXT) | instid1(VALU_DEP_1)
	v_mul_f32_e64 v25, |v22|, v25
	v_fma_f32 v134, v24, v25, |v22|
.LBB25_1035:                            ;   in Loop: Header=BB25_943 Depth=1
	s_wait_alu 0xfffe
	s_or_b32 exec_lo, exec_lo, s0
	v_cmp_ngt_f32_e64 s0, 0x3f200000, |v23|
                                        ; implicit-def: $vgpr135
	s_and_saveexec_b32 s1, s0
	s_wait_alu 0xfffe
	s_xor_b32 s0, exec_lo, s1
	s_cbranch_execz .LBB25_1037
; %bb.1036:                             ;   in Loop: Header=BB25_943 Depth=1
	v_add_f32_e64 v24, |v23|, |v23|
	s_delay_alu instid0(VALU_DEP_1) | instskip(SKIP_1) | instid1(VALU_DEP_2)
	v_mul_f32_e32 v25, 0x3fb8aa3b, v24
	v_cmp_ngt_f32_e32 vcc_lo, 0xc2ce8ed0, v24
	v_rndne_f32_e32 v26, v25
	v_fma_f32 v27, 0x3fb8aa3b, v24, -v25
	s_delay_alu instid0(VALU_DEP_2) | instskip(NEXT) | instid1(VALU_DEP_2)
	v_sub_f32_e32 v25, v25, v26
	v_fmac_f32_e32 v27, 0x32a5705f, v24
	v_cvt_i32_f32_e32 v26, v26
	s_delay_alu instid0(VALU_DEP_2) | instskip(NEXT) | instid1(VALU_DEP_1)
	v_add_f32_e32 v25, v25, v27
	v_exp_f32_e32 v25, v25
	s_delay_alu instid0(TRANS32_DEP_1) | instskip(SKIP_1) | instid1(VALU_DEP_1)
	v_ldexp_f32 v25, v25, v26
	s_wait_alu 0xfffd
	v_cndmask_b32_e32 v25, 0, v25, vcc_lo
	v_cmp_nlt_f32_e32 vcc_lo, 0x42b17218, v24
	s_wait_alu 0xfffd
	s_delay_alu instid0(VALU_DEP_2) | instskip(NEXT) | instid1(VALU_DEP_1)
	v_cndmask_b32_e32 v24, 0x7f800000, v25, vcc_lo
	v_add_f32_e32 v24, 1.0, v24
	s_delay_alu instid0(VALU_DEP_1) | instskip(NEXT) | instid1(TRANS32_DEP_1)
	v_rcp_f32_e32 v24, v24
	v_fma_f32 v135, v24, -2.0, 1.0
.LBB25_1037:                            ;   in Loop: Header=BB25_943 Depth=1
	s_wait_alu 0xfffe
	s_and_not1_saveexec_b32 s0, s0
	s_cbranch_execz .LBB25_1039
; %bb.1038:                             ;   in Loop: Header=BB25_943 Depth=1
	v_mul_f32_e32 v24, v23, v23
	s_delay_alu instid0(VALU_DEP_1) | instskip(NEXT) | instid1(VALU_DEP_1)
	v_fmaak_f32 v25, s3, v24, 0x3ca908c9
	v_fmaak_f32 v25, v24, v25, 0xbd5c1c4e
	s_delay_alu instid0(VALU_DEP_1) | instskip(NEXT) | instid1(VALU_DEP_1)
	v_fmaak_f32 v25, v24, v25, 0x3e088382
	v_fmaak_f32 v25, v24, v25, 0xbeaaaa99
	s_delay_alu instid0(VALU_DEP_1) | instskip(NEXT) | instid1(VALU_DEP_1)
	v_mul_f32_e64 v25, |v23|, v25
	v_fma_f32 v135, v24, v25, |v23|
.LBB25_1039:                            ;   in Loop: Header=BB25_943 Depth=1
	s_wait_alu 0xfffe
	s_or_b32 exec_lo, exec_lo, s0
	v_wmma_f32_16x16x16_f16 v[24:31], v[124:127], v[92:95], 0
	s_delay_alu instid0(VALU_DEP_1) | instskip(NEXT) | instid1(VALU_DEP_1)
	v_wmma_f32_16x16x16_f16 v[24:31], v[120:123], v[88:91], v[24:31]
	v_wmma_f32_16x16x16_f16 v[24:31], v[116:119], v[84:87], v[24:31]
	s_delay_alu instid0(VALU_DEP_1) | instskip(NEXT) | instid1(VALU_DEP_1)
	v_wmma_f32_16x16x16_f16 v[24:31], v[112:115], v[80:83], v[24:31]
	;; [unrolled: 3-line block ×3, first 2 shown]
	v_wmma_f32_16x16x16_f16 v[24:31], v[100:103], v[68:71], v[24:31]
                                        ; implicit-def: $vgpr100
	s_delay_alu instid0(VALU_DEP_1) | instskip(NEXT) | instid1(VALU_DEP_1)
	v_wmma_f32_16x16x16_f16 v[24:31], v[96:99], v[64:67], v[24:31]
	v_cmp_ngt_f32_e64 s0, 0x3f200000, |v24|
	s_and_saveexec_b32 s1, s0
	s_wait_alu 0xfffe
	s_xor_b32 s0, exec_lo, s1
	s_cbranch_execz .LBB25_1041
; %bb.1040:                             ;   in Loop: Header=BB25_943 Depth=1
	v_add_f32_e64 v96, |v24|, |v24|
	s_delay_alu instid0(VALU_DEP_1) | instskip(SKIP_1) | instid1(VALU_DEP_2)
	v_mul_f32_e32 v97, 0x3fb8aa3b, v96
	v_cmp_ngt_f32_e32 vcc_lo, 0xc2ce8ed0, v96
	v_rndne_f32_e32 v98, v97
	v_fma_f32 v99, 0x3fb8aa3b, v96, -v97
	s_delay_alu instid0(VALU_DEP_2) | instskip(NEXT) | instid1(VALU_DEP_2)
	v_sub_f32_e32 v97, v97, v98
	v_fmac_f32_e32 v99, 0x32a5705f, v96
	v_cvt_i32_f32_e32 v98, v98
	s_delay_alu instid0(VALU_DEP_2) | instskip(NEXT) | instid1(VALU_DEP_1)
	v_add_f32_e32 v97, v97, v99
	v_exp_f32_e32 v97, v97
	s_delay_alu instid0(TRANS32_DEP_1) | instskip(SKIP_1) | instid1(VALU_DEP_1)
	v_ldexp_f32 v97, v97, v98
	s_wait_alu 0xfffd
	v_cndmask_b32_e32 v97, 0, v97, vcc_lo
	v_cmp_nlt_f32_e32 vcc_lo, 0x42b17218, v96
	s_wait_alu 0xfffd
	s_delay_alu instid0(VALU_DEP_2) | instskip(NEXT) | instid1(VALU_DEP_1)
	v_cndmask_b32_e32 v96, 0x7f800000, v97, vcc_lo
	v_add_f32_e32 v96, 1.0, v96
	s_delay_alu instid0(VALU_DEP_1) | instskip(NEXT) | instid1(TRANS32_DEP_1)
	v_rcp_f32_e32 v96, v96
	v_fma_f32 v100, v96, -2.0, 1.0
.LBB25_1041:                            ;   in Loop: Header=BB25_943 Depth=1
	s_wait_alu 0xfffe
	s_and_not1_saveexec_b32 s0, s0
	s_cbranch_execz .LBB25_1043
; %bb.1042:                             ;   in Loop: Header=BB25_943 Depth=1
	v_mul_f32_e32 v96, v24, v24
	s_delay_alu instid0(VALU_DEP_1) | instskip(NEXT) | instid1(VALU_DEP_1)
	v_fmaak_f32 v97, s3, v96, 0x3ca908c9
	v_fmaak_f32 v97, v96, v97, 0xbd5c1c4e
	s_delay_alu instid0(VALU_DEP_1) | instskip(NEXT) | instid1(VALU_DEP_1)
	v_fmaak_f32 v97, v96, v97, 0x3e088382
	v_fmaak_f32 v97, v96, v97, 0xbeaaaa99
	s_delay_alu instid0(VALU_DEP_1) | instskip(NEXT) | instid1(VALU_DEP_1)
	v_mul_f32_e64 v97, |v24|, v97
	v_fma_f32 v100, v96, v97, |v24|
.LBB25_1043:                            ;   in Loop: Header=BB25_943 Depth=1
	s_wait_alu 0xfffe
	s_or_b32 exec_lo, exec_lo, s0
	v_cmp_ngt_f32_e64 s0, 0x3f200000, |v25|
                                        ; implicit-def: $vgpr101
	s_and_saveexec_b32 s1, s0
	s_wait_alu 0xfffe
	s_xor_b32 s0, exec_lo, s1
	s_cbranch_execz .LBB25_1045
; %bb.1044:                             ;   in Loop: Header=BB25_943 Depth=1
	v_add_f32_e64 v96, |v25|, |v25|
	s_delay_alu instid0(VALU_DEP_1) | instskip(SKIP_1) | instid1(VALU_DEP_2)
	v_mul_f32_e32 v97, 0x3fb8aa3b, v96
	v_cmp_ngt_f32_e32 vcc_lo, 0xc2ce8ed0, v96
	v_rndne_f32_e32 v98, v97
	v_fma_f32 v99, 0x3fb8aa3b, v96, -v97
	s_delay_alu instid0(VALU_DEP_2) | instskip(NEXT) | instid1(VALU_DEP_2)
	v_sub_f32_e32 v97, v97, v98
	v_fmac_f32_e32 v99, 0x32a5705f, v96
	v_cvt_i32_f32_e32 v98, v98
	s_delay_alu instid0(VALU_DEP_2) | instskip(NEXT) | instid1(VALU_DEP_1)
	v_add_f32_e32 v97, v97, v99
	v_exp_f32_e32 v97, v97
	s_delay_alu instid0(TRANS32_DEP_1) | instskip(SKIP_1) | instid1(VALU_DEP_1)
	v_ldexp_f32 v97, v97, v98
	s_wait_alu 0xfffd
	v_cndmask_b32_e32 v97, 0, v97, vcc_lo
	v_cmp_nlt_f32_e32 vcc_lo, 0x42b17218, v96
	s_wait_alu 0xfffd
	s_delay_alu instid0(VALU_DEP_2) | instskip(NEXT) | instid1(VALU_DEP_1)
	v_cndmask_b32_e32 v96, 0x7f800000, v97, vcc_lo
	v_add_f32_e32 v96, 1.0, v96
	s_delay_alu instid0(VALU_DEP_1) | instskip(NEXT) | instid1(TRANS32_DEP_1)
	v_rcp_f32_e32 v96, v96
	v_fma_f32 v101, v96, -2.0, 1.0
.LBB25_1045:                            ;   in Loop: Header=BB25_943 Depth=1
	s_wait_alu 0xfffe
	s_and_not1_saveexec_b32 s0, s0
	s_cbranch_execz .LBB25_1047
; %bb.1046:                             ;   in Loop: Header=BB25_943 Depth=1
	v_mul_f32_e32 v96, v25, v25
	s_delay_alu instid0(VALU_DEP_1) | instskip(NEXT) | instid1(VALU_DEP_1)
	v_fmaak_f32 v97, s3, v96, 0x3ca908c9
	v_fmaak_f32 v97, v96, v97, 0xbd5c1c4e
	s_delay_alu instid0(VALU_DEP_1) | instskip(NEXT) | instid1(VALU_DEP_1)
	v_fmaak_f32 v97, v96, v97, 0x3e088382
	v_fmaak_f32 v97, v96, v97, 0xbeaaaa99
	s_delay_alu instid0(VALU_DEP_1) | instskip(NEXT) | instid1(VALU_DEP_1)
	v_mul_f32_e64 v97, |v25|, v97
	v_fma_f32 v101, v96, v97, |v25|
.LBB25_1047:                            ;   in Loop: Header=BB25_943 Depth=1
	s_wait_alu 0xfffe
	s_or_b32 exec_lo, exec_lo, s0
	v_cmp_ngt_f32_e64 s0, 0x3f200000, |v26|
                                        ; implicit-def: $vgpr102
	s_and_saveexec_b32 s1, s0
	s_wait_alu 0xfffe
	s_xor_b32 s0, exec_lo, s1
	s_cbranch_execz .LBB25_1049
; %bb.1048:                             ;   in Loop: Header=BB25_943 Depth=1
	v_add_f32_e64 v96, |v26|, |v26|
	s_delay_alu instid0(VALU_DEP_1) | instskip(SKIP_1) | instid1(VALU_DEP_2)
	v_mul_f32_e32 v97, 0x3fb8aa3b, v96
	v_cmp_ngt_f32_e32 vcc_lo, 0xc2ce8ed0, v96
	v_rndne_f32_e32 v98, v97
	v_fma_f32 v99, 0x3fb8aa3b, v96, -v97
	s_delay_alu instid0(VALU_DEP_2) | instskip(NEXT) | instid1(VALU_DEP_2)
	v_sub_f32_e32 v97, v97, v98
	v_fmac_f32_e32 v99, 0x32a5705f, v96
	v_cvt_i32_f32_e32 v98, v98
	s_delay_alu instid0(VALU_DEP_2) | instskip(NEXT) | instid1(VALU_DEP_1)
	v_add_f32_e32 v97, v97, v99
	v_exp_f32_e32 v97, v97
	s_delay_alu instid0(TRANS32_DEP_1) | instskip(SKIP_1) | instid1(VALU_DEP_1)
	v_ldexp_f32 v97, v97, v98
	s_wait_alu 0xfffd
	v_cndmask_b32_e32 v97, 0, v97, vcc_lo
	v_cmp_nlt_f32_e32 vcc_lo, 0x42b17218, v96
	s_wait_alu 0xfffd
	s_delay_alu instid0(VALU_DEP_2) | instskip(NEXT) | instid1(VALU_DEP_1)
	v_cndmask_b32_e32 v96, 0x7f800000, v97, vcc_lo
	v_add_f32_e32 v96, 1.0, v96
	s_delay_alu instid0(VALU_DEP_1) | instskip(NEXT) | instid1(TRANS32_DEP_1)
	v_rcp_f32_e32 v96, v96
	v_fma_f32 v102, v96, -2.0, 1.0
.LBB25_1049:                            ;   in Loop: Header=BB25_943 Depth=1
	s_wait_alu 0xfffe
	s_and_not1_saveexec_b32 s0, s0
	s_cbranch_execz .LBB25_1051
; %bb.1050:                             ;   in Loop: Header=BB25_943 Depth=1
	v_mul_f32_e32 v96, v26, v26
	s_delay_alu instid0(VALU_DEP_1) | instskip(NEXT) | instid1(VALU_DEP_1)
	v_fmaak_f32 v97, s3, v96, 0x3ca908c9
	v_fmaak_f32 v97, v96, v97, 0xbd5c1c4e
	s_delay_alu instid0(VALU_DEP_1) | instskip(NEXT) | instid1(VALU_DEP_1)
	v_fmaak_f32 v97, v96, v97, 0x3e088382
	v_fmaak_f32 v97, v96, v97, 0xbeaaaa99
	s_delay_alu instid0(VALU_DEP_1) | instskip(NEXT) | instid1(VALU_DEP_1)
	v_mul_f32_e64 v97, |v26|, v97
	v_fma_f32 v102, v96, v97, |v26|
.LBB25_1051:                            ;   in Loop: Header=BB25_943 Depth=1
	s_wait_alu 0xfffe
	s_or_b32 exec_lo, exec_lo, s0
	v_cmp_ngt_f32_e64 s0, 0x3f200000, |v27|
                                        ; implicit-def: $vgpr103
	s_and_saveexec_b32 s1, s0
	s_wait_alu 0xfffe
	s_xor_b32 s0, exec_lo, s1
	s_cbranch_execz .LBB25_1053
; %bb.1052:                             ;   in Loop: Header=BB25_943 Depth=1
	v_add_f32_e64 v96, |v27|, |v27|
	s_delay_alu instid0(VALU_DEP_1) | instskip(SKIP_1) | instid1(VALU_DEP_2)
	v_mul_f32_e32 v97, 0x3fb8aa3b, v96
	v_cmp_ngt_f32_e32 vcc_lo, 0xc2ce8ed0, v96
	v_rndne_f32_e32 v98, v97
	v_fma_f32 v99, 0x3fb8aa3b, v96, -v97
	s_delay_alu instid0(VALU_DEP_2) | instskip(NEXT) | instid1(VALU_DEP_2)
	v_sub_f32_e32 v97, v97, v98
	v_fmac_f32_e32 v99, 0x32a5705f, v96
	v_cvt_i32_f32_e32 v98, v98
	s_delay_alu instid0(VALU_DEP_2) | instskip(NEXT) | instid1(VALU_DEP_1)
	v_add_f32_e32 v97, v97, v99
	v_exp_f32_e32 v97, v97
	s_delay_alu instid0(TRANS32_DEP_1) | instskip(SKIP_1) | instid1(VALU_DEP_1)
	v_ldexp_f32 v97, v97, v98
	s_wait_alu 0xfffd
	v_cndmask_b32_e32 v97, 0, v97, vcc_lo
	v_cmp_nlt_f32_e32 vcc_lo, 0x42b17218, v96
	s_wait_alu 0xfffd
	s_delay_alu instid0(VALU_DEP_2) | instskip(NEXT) | instid1(VALU_DEP_1)
	v_cndmask_b32_e32 v96, 0x7f800000, v97, vcc_lo
	v_add_f32_e32 v96, 1.0, v96
	s_delay_alu instid0(VALU_DEP_1) | instskip(NEXT) | instid1(TRANS32_DEP_1)
	v_rcp_f32_e32 v96, v96
	v_fma_f32 v103, v96, -2.0, 1.0
.LBB25_1053:                            ;   in Loop: Header=BB25_943 Depth=1
	s_wait_alu 0xfffe
	s_and_not1_saveexec_b32 s0, s0
	s_cbranch_execz .LBB25_1055
; %bb.1054:                             ;   in Loop: Header=BB25_943 Depth=1
	v_mul_f32_e32 v96, v27, v27
	s_delay_alu instid0(VALU_DEP_1) | instskip(NEXT) | instid1(VALU_DEP_1)
	v_fmaak_f32 v97, s3, v96, 0x3ca908c9
	v_fmaak_f32 v97, v96, v97, 0xbd5c1c4e
	s_delay_alu instid0(VALU_DEP_1) | instskip(NEXT) | instid1(VALU_DEP_1)
	v_fmaak_f32 v97, v96, v97, 0x3e088382
	v_fmaak_f32 v97, v96, v97, 0xbeaaaa99
	s_delay_alu instid0(VALU_DEP_1) | instskip(NEXT) | instid1(VALU_DEP_1)
	v_mul_f32_e64 v97, |v27|, v97
	v_fma_f32 v103, v96, v97, |v27|
.LBB25_1055:                            ;   in Loop: Header=BB25_943 Depth=1
	s_wait_alu 0xfffe
	s_or_b32 exec_lo, exec_lo, s0
	v_cmp_ngt_f32_e64 s0, 0x3f200000, |v28|
                                        ; implicit-def: $vgpr104
	s_and_saveexec_b32 s1, s0
	s_wait_alu 0xfffe
	s_xor_b32 s0, exec_lo, s1
	s_cbranch_execz .LBB25_1057
; %bb.1056:                             ;   in Loop: Header=BB25_943 Depth=1
	v_add_f32_e64 v96, |v28|, |v28|
	s_delay_alu instid0(VALU_DEP_1) | instskip(SKIP_1) | instid1(VALU_DEP_2)
	v_mul_f32_e32 v97, 0x3fb8aa3b, v96
	v_cmp_ngt_f32_e32 vcc_lo, 0xc2ce8ed0, v96
	v_rndne_f32_e32 v98, v97
	v_fma_f32 v99, 0x3fb8aa3b, v96, -v97
	s_delay_alu instid0(VALU_DEP_2) | instskip(NEXT) | instid1(VALU_DEP_2)
	v_sub_f32_e32 v97, v97, v98
	v_fmac_f32_e32 v99, 0x32a5705f, v96
	v_cvt_i32_f32_e32 v98, v98
	s_delay_alu instid0(VALU_DEP_2) | instskip(NEXT) | instid1(VALU_DEP_1)
	v_add_f32_e32 v97, v97, v99
	v_exp_f32_e32 v97, v97
	s_delay_alu instid0(TRANS32_DEP_1) | instskip(SKIP_1) | instid1(VALU_DEP_1)
	v_ldexp_f32 v97, v97, v98
	s_wait_alu 0xfffd
	v_cndmask_b32_e32 v97, 0, v97, vcc_lo
	v_cmp_nlt_f32_e32 vcc_lo, 0x42b17218, v96
	s_wait_alu 0xfffd
	s_delay_alu instid0(VALU_DEP_2) | instskip(NEXT) | instid1(VALU_DEP_1)
	v_cndmask_b32_e32 v96, 0x7f800000, v97, vcc_lo
	v_add_f32_e32 v96, 1.0, v96
	s_delay_alu instid0(VALU_DEP_1) | instskip(NEXT) | instid1(TRANS32_DEP_1)
	v_rcp_f32_e32 v96, v96
	v_fma_f32 v104, v96, -2.0, 1.0
.LBB25_1057:                            ;   in Loop: Header=BB25_943 Depth=1
	s_wait_alu 0xfffe
	s_and_not1_saveexec_b32 s0, s0
	s_cbranch_execz .LBB25_1059
; %bb.1058:                             ;   in Loop: Header=BB25_943 Depth=1
	v_mul_f32_e32 v96, v28, v28
	s_delay_alu instid0(VALU_DEP_1) | instskip(NEXT) | instid1(VALU_DEP_1)
	v_fmaak_f32 v97, s3, v96, 0x3ca908c9
	v_fmaak_f32 v97, v96, v97, 0xbd5c1c4e
	s_delay_alu instid0(VALU_DEP_1) | instskip(NEXT) | instid1(VALU_DEP_1)
	v_fmaak_f32 v97, v96, v97, 0x3e088382
	v_fmaak_f32 v97, v96, v97, 0xbeaaaa99
	s_delay_alu instid0(VALU_DEP_1) | instskip(NEXT) | instid1(VALU_DEP_1)
	v_mul_f32_e64 v97, |v28|, v97
	v_fma_f32 v104, v96, v97, |v28|
.LBB25_1059:                            ;   in Loop: Header=BB25_943 Depth=1
	s_wait_alu 0xfffe
	s_or_b32 exec_lo, exec_lo, s0
	v_cmp_ngt_f32_e64 s0, 0x3f200000, |v29|
                                        ; implicit-def: $vgpr105
	s_and_saveexec_b32 s1, s0
	s_wait_alu 0xfffe
	s_xor_b32 s0, exec_lo, s1
	s_cbranch_execz .LBB25_1061
; %bb.1060:                             ;   in Loop: Header=BB25_943 Depth=1
	v_add_f32_e64 v96, |v29|, |v29|
	s_delay_alu instid0(VALU_DEP_1) | instskip(SKIP_1) | instid1(VALU_DEP_2)
	v_mul_f32_e32 v97, 0x3fb8aa3b, v96
	v_cmp_ngt_f32_e32 vcc_lo, 0xc2ce8ed0, v96
	v_rndne_f32_e32 v98, v97
	v_fma_f32 v99, 0x3fb8aa3b, v96, -v97
	s_delay_alu instid0(VALU_DEP_2) | instskip(NEXT) | instid1(VALU_DEP_2)
	v_sub_f32_e32 v97, v97, v98
	v_fmac_f32_e32 v99, 0x32a5705f, v96
	v_cvt_i32_f32_e32 v98, v98
	s_delay_alu instid0(VALU_DEP_2) | instskip(NEXT) | instid1(VALU_DEP_1)
	v_add_f32_e32 v97, v97, v99
	v_exp_f32_e32 v97, v97
	s_delay_alu instid0(TRANS32_DEP_1) | instskip(SKIP_1) | instid1(VALU_DEP_1)
	v_ldexp_f32 v97, v97, v98
	s_wait_alu 0xfffd
	v_cndmask_b32_e32 v97, 0, v97, vcc_lo
	v_cmp_nlt_f32_e32 vcc_lo, 0x42b17218, v96
	s_wait_alu 0xfffd
	s_delay_alu instid0(VALU_DEP_2) | instskip(NEXT) | instid1(VALU_DEP_1)
	v_cndmask_b32_e32 v96, 0x7f800000, v97, vcc_lo
	v_add_f32_e32 v96, 1.0, v96
	s_delay_alu instid0(VALU_DEP_1) | instskip(NEXT) | instid1(TRANS32_DEP_1)
	v_rcp_f32_e32 v96, v96
	v_fma_f32 v105, v96, -2.0, 1.0
.LBB25_1061:                            ;   in Loop: Header=BB25_943 Depth=1
	s_wait_alu 0xfffe
	s_and_not1_saveexec_b32 s0, s0
	s_cbranch_execz .LBB25_1063
; %bb.1062:                             ;   in Loop: Header=BB25_943 Depth=1
	v_mul_f32_e32 v96, v29, v29
	s_delay_alu instid0(VALU_DEP_1) | instskip(NEXT) | instid1(VALU_DEP_1)
	v_fmaak_f32 v97, s3, v96, 0x3ca908c9
	v_fmaak_f32 v97, v96, v97, 0xbd5c1c4e
	s_delay_alu instid0(VALU_DEP_1) | instskip(NEXT) | instid1(VALU_DEP_1)
	v_fmaak_f32 v97, v96, v97, 0x3e088382
	v_fmaak_f32 v97, v96, v97, 0xbeaaaa99
	s_delay_alu instid0(VALU_DEP_1) | instskip(NEXT) | instid1(VALU_DEP_1)
	v_mul_f32_e64 v97, |v29|, v97
	v_fma_f32 v105, v96, v97, |v29|
.LBB25_1063:                            ;   in Loop: Header=BB25_943 Depth=1
	s_wait_alu 0xfffe
	s_or_b32 exec_lo, exec_lo, s0
	v_cmp_ngt_f32_e64 s0, 0x3f200000, |v30|
                                        ; implicit-def: $vgpr106
	s_and_saveexec_b32 s1, s0
	s_wait_alu 0xfffe
	s_xor_b32 s0, exec_lo, s1
	s_cbranch_execz .LBB25_1065
; %bb.1064:                             ;   in Loop: Header=BB25_943 Depth=1
	v_add_f32_e64 v96, |v30|, |v30|
	s_delay_alu instid0(VALU_DEP_1) | instskip(SKIP_1) | instid1(VALU_DEP_2)
	v_mul_f32_e32 v97, 0x3fb8aa3b, v96
	v_cmp_ngt_f32_e32 vcc_lo, 0xc2ce8ed0, v96
	v_rndne_f32_e32 v98, v97
	v_fma_f32 v99, 0x3fb8aa3b, v96, -v97
	s_delay_alu instid0(VALU_DEP_2) | instskip(NEXT) | instid1(VALU_DEP_2)
	v_sub_f32_e32 v97, v97, v98
	v_fmac_f32_e32 v99, 0x32a5705f, v96
	v_cvt_i32_f32_e32 v98, v98
	s_delay_alu instid0(VALU_DEP_2) | instskip(NEXT) | instid1(VALU_DEP_1)
	v_add_f32_e32 v97, v97, v99
	v_exp_f32_e32 v97, v97
	s_delay_alu instid0(TRANS32_DEP_1) | instskip(SKIP_1) | instid1(VALU_DEP_1)
	v_ldexp_f32 v97, v97, v98
	s_wait_alu 0xfffd
	v_cndmask_b32_e32 v97, 0, v97, vcc_lo
	v_cmp_nlt_f32_e32 vcc_lo, 0x42b17218, v96
	s_wait_alu 0xfffd
	s_delay_alu instid0(VALU_DEP_2) | instskip(NEXT) | instid1(VALU_DEP_1)
	v_cndmask_b32_e32 v96, 0x7f800000, v97, vcc_lo
	v_add_f32_e32 v96, 1.0, v96
	s_delay_alu instid0(VALU_DEP_1) | instskip(NEXT) | instid1(TRANS32_DEP_1)
	v_rcp_f32_e32 v96, v96
	v_fma_f32 v106, v96, -2.0, 1.0
.LBB25_1065:                            ;   in Loop: Header=BB25_943 Depth=1
	s_wait_alu 0xfffe
	s_and_not1_saveexec_b32 s0, s0
	s_cbranch_execz .LBB25_1067
; %bb.1066:                             ;   in Loop: Header=BB25_943 Depth=1
	v_mul_f32_e32 v96, v30, v30
	s_delay_alu instid0(VALU_DEP_1) | instskip(NEXT) | instid1(VALU_DEP_1)
	v_fmaak_f32 v97, s3, v96, 0x3ca908c9
	v_fmaak_f32 v97, v96, v97, 0xbd5c1c4e
	s_delay_alu instid0(VALU_DEP_1) | instskip(NEXT) | instid1(VALU_DEP_1)
	v_fmaak_f32 v97, v96, v97, 0x3e088382
	v_fmaak_f32 v97, v96, v97, 0xbeaaaa99
	s_delay_alu instid0(VALU_DEP_1) | instskip(NEXT) | instid1(VALU_DEP_1)
	v_mul_f32_e64 v97, |v30|, v97
	v_fma_f32 v106, v96, v97, |v30|
.LBB25_1067:                            ;   in Loop: Header=BB25_943 Depth=1
	s_wait_alu 0xfffe
	s_or_b32 exec_lo, exec_lo, s0
	v_cmp_ngt_f32_e64 s0, 0x3f200000, |v31|
                                        ; implicit-def: $vgpr107
	s_and_saveexec_b32 s1, s0
	s_wait_alu 0xfffe
	s_xor_b32 s0, exec_lo, s1
	s_cbranch_execz .LBB25_1069
; %bb.1068:                             ;   in Loop: Header=BB25_943 Depth=1
	v_add_f32_e64 v96, |v31|, |v31|
	s_delay_alu instid0(VALU_DEP_1) | instskip(SKIP_1) | instid1(VALU_DEP_2)
	v_mul_f32_e32 v97, 0x3fb8aa3b, v96
	v_cmp_ngt_f32_e32 vcc_lo, 0xc2ce8ed0, v96
	v_rndne_f32_e32 v98, v97
	v_fma_f32 v99, 0x3fb8aa3b, v96, -v97
	s_delay_alu instid0(VALU_DEP_2) | instskip(NEXT) | instid1(VALU_DEP_2)
	v_sub_f32_e32 v97, v97, v98
	v_fmac_f32_e32 v99, 0x32a5705f, v96
	v_cvt_i32_f32_e32 v98, v98
	s_delay_alu instid0(VALU_DEP_2) | instskip(NEXT) | instid1(VALU_DEP_1)
	v_add_f32_e32 v97, v97, v99
	v_exp_f32_e32 v97, v97
	s_delay_alu instid0(TRANS32_DEP_1) | instskip(SKIP_1) | instid1(VALU_DEP_1)
	v_ldexp_f32 v97, v97, v98
	s_wait_alu 0xfffd
	v_cndmask_b32_e32 v97, 0, v97, vcc_lo
	v_cmp_nlt_f32_e32 vcc_lo, 0x42b17218, v96
	s_wait_alu 0xfffd
	s_delay_alu instid0(VALU_DEP_2) | instskip(NEXT) | instid1(VALU_DEP_1)
	v_cndmask_b32_e32 v96, 0x7f800000, v97, vcc_lo
	v_add_f32_e32 v96, 1.0, v96
	s_delay_alu instid0(VALU_DEP_1) | instskip(NEXT) | instid1(TRANS32_DEP_1)
	v_rcp_f32_e32 v96, v96
	v_fma_f32 v107, v96, -2.0, 1.0
.LBB25_1069:                            ;   in Loop: Header=BB25_943 Depth=1
	s_wait_alu 0xfffe
	s_and_not1_saveexec_b32 s0, s0
	s_cbranch_execz .LBB25_1071
; %bb.1070:                             ;   in Loop: Header=BB25_943 Depth=1
	v_mul_f32_e32 v96, v31, v31
	s_delay_alu instid0(VALU_DEP_1) | instskip(NEXT) | instid1(VALU_DEP_1)
	v_fmaak_f32 v97, s3, v96, 0x3ca908c9
	v_fmaak_f32 v97, v96, v97, 0xbd5c1c4e
	s_delay_alu instid0(VALU_DEP_1) | instskip(NEXT) | instid1(VALU_DEP_1)
	v_fmaak_f32 v97, v96, v97, 0x3e088382
	v_fmaak_f32 v97, v96, v97, 0xbeaaaa99
	s_delay_alu instid0(VALU_DEP_1) | instskip(NEXT) | instid1(VALU_DEP_1)
	v_mul_f32_e64 v97, |v31|, v97
	v_fma_f32 v107, v96, v97, |v31|
.LBB25_1071:                            ;   in Loop: Header=BB25_943 Depth=1
	s_wait_alu 0xfffe
	s_or_b32 exec_lo, exec_lo, s0
	s_mul_u64 s[0:1], s[14:15], s[26:27]
	v_bfi_b32 v99, 0x7fffffff, v155, v11
	s_wait_alu 0xfffe
	s_lshl_b64 s[0:1], s[0:1], 2
	v_bfi_b32 v11, 0x7fffffff, v128, v16
	s_wait_alu 0xfffe
	s_add_nc_u64 s[0:1], s[8:9], s[0:1]
	v_bfi_b32 v16, 0x7fffffff, v132, v20
	v_bfi_b32 v20, 0x7fffffff, v100, v24
	;; [unrolled: 1-line block ×3, first 2 shown]
	s_wait_alu 0xfffe
	v_add_co_u32 v28, vcc_lo, s0, v211
	v_bfi_b32 v96, 0x7fffffff, v247, v0
	v_bfi_b32 v0, 0x7fffffff, v183, v6
	;; [unrolled: 1-line block ×8, first 2 shown]
	s_wait_alu 0xfffd
	v_add_co_ci_u32_e64 v29, null, s1, v212, vcc_lo
	v_add_co_u32 v28, vcc_lo, v28, v233
	v_bfi_b32 v98, 0x7fffffff, v154, v10
	v_bfi_b32 v10, 0x7fffffff, v159, v14
	v_bfi_b32 v14, 0x7fffffff, v130, v18
	v_bfi_b32 v18, 0x7fffffff, v134, v22
	v_bfi_b32 v22, 0x7fffffff, v102, v26
	v_bfi_b32 v26, 0x7fffffff, v106, v30
	s_wait_alu 0xfffd
	v_add_co_ci_u32_e64 v29, null, 0, v29, vcc_lo
	v_add_co_u32 v30, vcc_lo, s0, v213
	v_bfi_b32 v97, 0x7fffffff, v180, v3
	v_bfi_b32 v3, 0x7fffffff, v181, v4
	;; [unrolled: 1-line block ×10, first 2 shown]
	s_wait_alu 0xfffd
	v_add_co_ci_u32_e64 v31, null, s1, v214, vcc_lo
	v_add_co_u32 v100, vcc_lo, v30, v233
	v_add_nc_u32_e32 v30, 0x4400, v248
	s_wait_alu 0xfffd
	s_delay_alu instid0(VALU_DEP_3)
	v_add_co_ci_u32_e64 v101, null, 0, v31, vcc_lo
	ds_load_2addr_b32 v[108:109], v30 offset1:1
	ds_load_b32 v122, v248 offset:17416
	ds_load_2addr_b32 v[110:111], v234 offset1:1
	ds_load_b32 v123, v251 offset:17408
	s_clause 0x1
	global_load_b128 v[28:31], v[28:29], off
	global_load_b128 v[100:103], v[100:101], off
	ds_load_2addr_b32 v[112:113], v249 offset1:1
	ds_load_2addr_b32 v[114:115], v241 offset1:1
	;; [unrolled: 1-line block ×5, first 2 shown]
	v_bfi_b32 v1, 0x7fffffff, v235, v1
	v_bfi_b32 v2, 0x7fffffff, v179, v2
	;; [unrolled: 1-line block ×3, first 2 shown]
	v_add_nc_u32_e32 v127, 0x1000, v232
	s_add_co_i32 s51, s51, 1
	s_add_co_i32 s14, s14, 64
	s_wait_loadcnt 0x1
	ds_store_b128 v238, v[28:31]
	s_wait_loadcnt 0x0
	ds_store_b128 v240, v[100:103]
	v_add_co_u32 v28, vcc_lo, s0, v215
	s_wait_alu 0xfffd
	v_add_co_ci_u32_e64 v29, null, s1, v216, vcc_lo
	s_wait_dscnt 0x6
	v_fma_mix_f32 v106, s7, v9, v112 op_sel:[0,0,1] op_sel_hi:[0,0,1]
	v_add_co_u32 v28, vcc_lo, v28, v233
	s_wait_alu 0xfffd
	v_add_co_ci_u32_e64 v29, null, 0, v29, vcc_lo
	v_add_co_u32 v30, vcc_lo, s0, v217
	s_wait_alu 0xfffd
	v_add_co_ci_u32_e64 v31, null, s1, v218, vcc_lo
	s_wait_dscnt 0x3
	v_fma_mix_f32 v9, s7, v21, v118 op_sel:[0,0,1] op_sel_hi:[0,0,1]
	v_add_co_u32 v100, vcc_lo, v30, v233
	s_wait_alu 0xfffd
	v_add_co_ci_u32_e64 v101, null, 0, v31, vcc_lo
	s_clause 0x1
	global_load_b128 v[28:31], v[28:29], off
	global_load_b128 v[100:103], v[100:101], off
	v_fma_mix_f32 v21, s7, v5, v110 op_sel_hi:[0,0,1]
	v_fma_mix_f32 v105, s7, v10, v113 op_sel_hi:[0,0,1]
	;; [unrolled: 1-line block ×3, first 2 shown]
	v_fma_mix_f32 v22, s7, v6, v110 op_sel:[0,0,1] op_sel_hi:[0,0,1]
	v_fma_mix_f32 v3, s7, v3, v122 op_sel_hi:[0,0,1]
	v_fma_mix_f32 v4, s7, v4, v122 op_sel:[0,0,1] op_sel_hi:[0,0,1]
	v_fma_mix_f32 v0, s7, v0, v123 op_sel_hi:[0,0,1]
	v_fma_mix_f32 v107, s7, v8, v112 op_sel_hi:[0,0,1]
	v_fma_mix_f32 v104, s7, v12, v113 op_sel:[0,0,1] op_sel_hi:[0,0,1]
	v_fma_mix_f32 v8, s7, v20, v118 op_sel_hi:[0,0,1]
	s_wait_dscnt 0x2
	v_fma_mix_f32 v12, s7, v27, v121 op_sel:[0,0,1] op_sel_hi:[0,0,1]
	s_wait_loadcnt 0x1
	ds_store_b128 v228, v[28:31]
	s_wait_loadcnt 0x0
	ds_store_b128 v243, v[100:103]
	v_add_co_u32 v28, vcc_lo, s0, v219
	s_wait_alu 0xfffd
	v_add_co_ci_u32_e64 v29, null, s1, v220, vcc_lo
	v_add_nc_u32_e32 v128, 0x1000, v254
	s_delay_alu instid0(VALU_DEP_3) | instskip(SKIP_1) | instid1(VALU_DEP_3)
	v_add_co_u32 v28, vcc_lo, v28, v233
	s_wait_alu 0xfffd
	v_add_co_ci_u32_e64 v29, null, 0, v29, vcc_lo
	v_add_co_u32 v30, vcc_lo, s0, v221
	s_wait_alu 0xfffd
	v_add_co_ci_u32_e64 v31, null, s1, v222, vcc_lo
	s_delay_alu instid0(VALU_DEP_2) | instskip(SKIP_1) | instid1(VALU_DEP_2)
	v_add_co_u32 v100, vcc_lo, v30, v233
	s_wait_alu 0xfffd
	v_add_co_ci_u32_e64 v101, null, 0, v31, vcc_lo
	s_clause 0x1
	global_load_b128 v[28:31], v[28:29], off
	global_load_b128 v[100:103], v[100:101], off
	s_wait_loadcnt 0x1
	ds_store_b128 v244, v[28:31]
	s_wait_loadcnt 0x0
	ds_store_b128 v245, v[100:103]
	v_add_co_u32 v28, vcc_lo, s0, v223
	s_wait_alu 0xfffd
	v_add_co_ci_u32_e64 v29, null, s1, v224, vcc_lo
	s_delay_alu instid0(VALU_DEP_2) | instskip(SKIP_1) | instid1(VALU_DEP_2)
	v_add_co_u32 v28, vcc_lo, v28, v233
	s_wait_alu 0xfffd
	v_add_co_ci_u32_e64 v29, null, 0, v29, vcc_lo
	v_add_co_u32 v30, vcc_lo, s0, v225
	s_wait_alu 0xfffd
	v_add_co_ci_u32_e64 v31, null, s1, v226, vcc_lo
	s_delay_alu instid0(VALU_DEP_2) | instskip(SKIP_1) | instid1(VALU_DEP_2)
	v_add_co_u32 v100, vcc_lo, v30, v233
	s_wait_alu 0xfffd
	v_add_co_ci_u32_e64 v101, null, 0, v31, vcc_lo
	s_clause 0x1
	global_load_b128 v[28:31], v[28:29], off
	global_load_b128 v[100:103], v[100:101], off
	s_wait_loadcnt 0x1
	ds_store_b128 v239, v[28:31]
	s_wait_loadcnt 0x0
	ds_store_b128 v246, v[100:103]
	v_fma_mix_f32 v101, s7, v18, v117 op_sel_hi:[0,0,1]
	v_fma_mix_f32 v100, s7, v19, v117 op_sel:[0,0,1] op_sel_hi:[0,0,1]
	v_fma_mix_f32 v18, s7, v96, v108 op_sel_hi:[0,0,1]
	v_fma_mix_f32 v19, s7, v1, v108 op_sel:[0,0,1] op_sel_hi:[0,0,1]
	v_fma_mix_f32 v30, s7, v14, v115 op_sel_hi:[0,0,1]
	v_fma_mix_f32 v1, s7, v2, v109 op_sel_hi:[0,0,1]
	v_fma_mix_f32 v14, s7, v97, v109 op_sel:[0,0,1] op_sel_hi:[0,0,1]
	s_delay_alu instid0(VALU_DEP_4) | instskip(SKIP_2) | instid1(VALU_DEP_4)
	v_dual_add_f32 v2, 0x40051340, v18 :: v_dual_add_f32 v5, 0x40051340, v19
	v_fma_mix_f32 v28, s7, v11, v114 op_sel_hi:[0,0,1]
	v_fma_mix_f32 v102, s7, v17, v116 op_sel:[0,0,1] op_sel_hi:[0,0,1]
	v_add_f32_e32 v6, 0x40051340, v14
	v_fma_mix_f32 v11, s7, v23, v119 op_sel:[0,0,1] op_sel_hi:[0,0,1]
	v_max3_num_f32 v2, v242, v2, v5
	v_add_f32_e32 v5, 0x40051340, v1
	v_fma_mix_f32 v17, s7, v24, v120 op_sel_hi:[0,0,1]
	v_fma_mix_f32 v23, s7, v98, v111 op_sel_hi:[0,0,1]
	v_fma_mix_f32 v24, s7, v99, v111 op_sel:[0,0,1] op_sel_hi:[0,0,1]
	v_fma_mix_f32 v29, s7, v13, v114 op_sel:[0,0,1] op_sel_hi:[0,0,1]
	v_max3_num_f32 v2, v2, v5, v6
	v_dual_add_f32 v5, 0x40051340, v3 :: v_dual_add_f32 v6, 0x40051340, v4
	v_fma_mix_f32 v31, s7, v15, v115 op_sel:[0,0,1] op_sel_hi:[0,0,1]
	v_fma_mix_f32 v103, s7, v16, v116 op_sel_hi:[0,0,1]
	v_fma_mix_f32 v16, s7, v25, v120 op_sel:[0,0,1] op_sel_hi:[0,0,1]
	v_fma_mix_f32 v13, s7, v26, v121 op_sel_hi:[0,0,1]
	v_max3_num_f32 v2, v2, v5, v6
	v_fma_mix_f32 v5, s7, v7, v123 op_sel:[0,0,1] op_sel_hi:[0,0,1]
	v_add_f32_e32 v6, 0x40051340, v0
	v_add_nc_u32_e32 v99, 0x400, v254
	s_wait_dscnt 0x0
	s_barrier_signal -1
	v_add_f32_e32 v7, 0x40051340, v5
	s_barrier_wait -1
	global_inv scope:SCOPE_SE
	v_max3_num_f32 v2, v2, v6, v7
	v_dual_add_f32 v6, 0x40051340, v21 :: v_dual_add_f32 v7, 0x40051340, v22
	s_delay_alu instid0(VALU_DEP_1) | instskip(SKIP_1) | instid1(VALU_DEP_1)
	v_max3_num_f32 v2, v2, v6, v7
	v_dual_add_f32 v6, 0x40051340, v23 :: v_dual_add_f32 v7, 0x40051340, v24
	v_max3_num_f32 v2, v2, v6, v7
	v_dual_add_f32 v6, 0x40051340, v107 :: v_dual_add_f32 v7, 0x40051340, v106
	s_delay_alu instid0(VALU_DEP_1) | instskip(SKIP_1) | instid1(VALU_DEP_1)
	v_max3_num_f32 v2, v2, v6, v7
	v_dual_add_f32 v6, 0x40051340, v105 :: v_dual_add_f32 v7, 0x40051340, v104
	;; [unrolled: 5-line block ×6, first 2 shown]
	v_max3_num_f32 v2, v2, v6, v7
	ds_bpermute_b32 v6, v252, v2
	s_wait_dscnt 0x0
	v_max_num_f32_e32 v6, v6, v6
	s_delay_alu instid0(VALU_DEP_1) | instskip(NEXT) | instid1(VALU_DEP_1)
	v_max_num_f32_e32 v96, v2, v6
	v_sub_f32_e32 v2, v3, v96
	v_sub_f32_e32 v4, v4, v96
	s_delay_alu instid0(VALU_DEP_2) | instskip(NEXT) | instid1(VALU_DEP_2)
	v_dual_sub_f32 v0, v0, v96 :: v_dual_mul_f32 v3, 0x3fb8aa3b, v2
	v_cmp_ngt_f32_e32 vcc_lo, 0xc2ce8ed0, v4
	s_delay_alu instid0(VALU_DEP_2) | instskip(SKIP_1) | instid1(VALU_DEP_1)
	v_fma_f32 v6, 0x3fb8aa3b, v2, -v3
	v_rndne_f32_e32 v7, v3
	v_dual_fmac_f32 v6, 0x32a5705f, v2 :: v_dual_sub_f32 v3, v3, v7
	v_cvt_i32_f32_e32 v7, v7
	s_delay_alu instid0(VALU_DEP_2) | instskip(NEXT) | instid1(VALU_DEP_1)
	v_dual_add_f32 v3, v3, v6 :: v_dual_mul_f32 v6, 0x3fb8aa3b, v4
	v_exp_f32_e32 v3, v3
	s_delay_alu instid0(VALU_DEP_1) | instskip(SKIP_1) | instid1(VALU_DEP_2)
	v_fma_f32 v15, 0x3fb8aa3b, v4, -v6
	v_rndne_f32_e32 v20, v6
	v_fmac_f32_e32 v15, 0x32a5705f, v4
	s_delay_alu instid0(VALU_DEP_2) | instskip(NEXT) | instid1(TRANS32_DEP_1)
	v_sub_f32_e32 v6, v6, v20
	v_ldexp_f32 v3, v3, v7
	v_cvt_i32_f32_e32 v7, v20
	s_delay_alu instid0(VALU_DEP_3)
	v_dual_add_f32 v6, v6, v15 :: v_dual_mul_f32 v15, 0x3fb8aa3b, v0
	v_sub_f32_e32 v18, v18, v96
	v_sub_f32_e32 v1, v1, v96
	;; [unrolled: 1-line block ×4, first 2 shown]
	v_fma_f32 v25, 0x3fb8aa3b, v0, -v15
	v_rndne_f32_e32 v26, v15
	v_sub_f32_e32 v22, v22, v96
	v_sub_f32_e32 v21, v21, v96
	;; [unrolled: 1-line block ×3, first 2 shown]
	v_fmac_f32_e32 v25, 0x32a5705f, v0
	v_dual_sub_f32 v15, v15, v26 :: v_dual_sub_f32 v10, v10, v96
	v_sub_f32_e32 v8, v8, v96
	v_sub_f32_e32 v17, v17, v96
	s_delay_alu instid0(VALU_DEP_3) | instskip(SKIP_4) | instid1(TRANS32_DEP_1)
	v_dual_sub_f32 v16, v16, v96 :: v_dual_add_f32 v15, v15, v25
	v_exp_f32_e32 v6, v6
	v_sub_f32_e32 v12, v12, v96
	v_sub_f32_e32 v11, v11, v96
	;; [unrolled: 1-line block ×3, first 2 shown]
	v_ldexp_f32 v6, v6, v7
	v_sub_f32_e32 v5, v5, v96
	v_exp_f32_e32 v7, v15
	v_cvt_i32_f32_e32 v15, v26
	s_delay_alu instid0(VALU_DEP_2) | instskip(SKIP_1) | instid1(VALU_DEP_2)
	v_mul_f32_e32 v25, 0x3fb8aa3b, v5
	v_cmp_ngt_f32_e64 s2, 0xc2ce8ed0, v2
	v_fma_f32 v27, 0x3fb8aa3b, v5, -v25
	v_rndne_f32_e32 v97, v25
	s_delay_alu instid0(TRANS32_DEP_1)
	v_ldexp_f32 v7, v7, v15
	s_wait_alu 0xf1ff
	v_cndmask_b32_e64 v3, 0, v3, s2
	v_cmp_nlt_f32_e64 s2, 0x42b17218, v2
	v_fmac_f32_e32 v27, 0x32a5705f, v5
	v_sub_f32_e32 v25, v25, v97
	v_cvt_i32_f32_e32 v20, v97
	v_cmp_ngt_f32_e64 s0, 0xc2ce8ed0, v0
	s_delay_alu instid0(VALU_DEP_3) | instskip(NEXT) | instid1(VALU_DEP_1)
	v_add_f32_e32 v25, v25, v27
	v_exp_f32_e32 v15, v25
	s_delay_alu instid0(TRANS32_DEP_1)
	v_ldexp_f32 v15, v15, v20
	s_wait_alu 0xfffd
	v_cndmask_b32_e32 v20, 0, v6, vcc_lo
	v_cmp_ngt_f32_e64 s1, 0xc2ce8ed0, v5
	v_cmp_nlt_f32_e32 vcc_lo, 0x42b17218, v4
	s_wait_alu 0xf1ff
	v_cndmask_b32_e64 v4, 0, v7, s0
	v_cmp_nlt_f32_e64 s0, 0x42b17218, v0
	v_cndmask_b32_e64 v6, 0x7f800000, v3, s2
	v_cndmask_b32_e64 v0, 0, v15, s1
	v_cmp_nlt_f32_e64 s1, 0x42b17218, v5
	s_wait_alu 0xfffd
	v_cndmask_b32_e32 v7, 0x7f800000, v20, vcc_lo
	s_wait_alu 0xf1ff
	v_cndmask_b32_e64 v4, 0x7f800000, v4, s0
	v_cmp_ngt_f32_e64 s0, 0xc2ce8ed0, v1
	v_cndmask_b32_e64 v5, 0x7f800000, v0, s1
	v_cvt_f16_f32_e32 v0, v6
	s_delay_alu instid0(VALU_DEP_4) | instskip(SKIP_1) | instid1(VALU_DEP_4)
	v_cvt_f16_f32_e32 v2, v4
	v_cvt_f16_f32_e32 v15, v7
	;; [unrolled: 1-line block ×3, first 2 shown]
	s_delay_alu instid0(VALU_DEP_1) | instskip(NEXT) | instid1(VALU_DEP_3)
	v_pack_b32_f16 v3, v2, v3
	v_pack_b32_f16 v2, v0, v15
	v_sub_f32_e32 v0, v14, v96
	s_delay_alu instid0(VALU_DEP_1) | instskip(SKIP_1) | instid1(VALU_DEP_2)
	v_mul_f32_e32 v14, 0x3fb8aa3b, v0
	v_cmp_ngt_f32_e32 vcc_lo, 0xc2ce8ed0, v0
	v_fma_f32 v15, 0x3fb8aa3b, v0, -v14
	v_rndne_f32_e32 v20, v14
	s_delay_alu instid0(VALU_DEP_2) | instskip(NEXT) | instid1(VALU_DEP_2)
	v_fmac_f32_e32 v15, 0x32a5705f, v0
	v_sub_f32_e32 v14, v14, v20
	v_cvt_i32_f32_e32 v20, v20
	s_delay_alu instid0(VALU_DEP_2) | instskip(NEXT) | instid1(VALU_DEP_1)
	v_dual_add_f32 v14, v14, v15 :: v_dual_mul_f32 v15, 0x3fb8aa3b, v1
	v_exp_f32_e32 v14, v14
	s_delay_alu instid0(VALU_DEP_1) | instskip(SKIP_1) | instid1(VALU_DEP_2)
	v_fma_f32 v25, 0x3fb8aa3b, v1, -v15
	v_rndne_f32_e32 v26, v15
	v_fmac_f32_e32 v25, 0x32a5705f, v1
	s_delay_alu instid0(VALU_DEP_2) | instskip(NEXT) | instid1(TRANS32_DEP_1)
	v_sub_f32_e32 v15, v15, v26
	v_ldexp_f32 v14, v14, v20
	v_cvt_i32_f32_e32 v20, v26
	s_delay_alu instid0(VALU_DEP_3) | instskip(NEXT) | instid1(VALU_DEP_1)
	v_add_f32_e32 v15, v15, v25
	v_exp_f32_e32 v15, v15
	s_delay_alu instid0(TRANS32_DEP_1)
	v_ldexp_f32 v15, v15, v20
	s_wait_alu 0xfffd
	v_cndmask_b32_e32 v20, 0, v14, vcc_lo
	v_cmp_nlt_f32_e32 vcc_lo, 0x42b17218, v0
	s_wait_alu 0xf1ff
	v_cndmask_b32_e64 v0, 0, v15, s0
	v_cmp_nlt_f32_e64 s0, 0x42b17218, v1
	s_wait_alu 0xfffd
	v_cndmask_b32_e32 v15, 0x7f800000, v20, vcc_lo
	s_wait_alu 0xf1ff
	s_delay_alu instid0(VALU_DEP_2) | instskip(NEXT) | instid1(VALU_DEP_2)
	v_cndmask_b32_e64 v14, 0x7f800000, v0, s0
	v_cvt_f16_f32_e32 v1, v15
	s_delay_alu instid0(VALU_DEP_2) | instskip(NEXT) | instid1(VALU_DEP_1)
	v_cvt_f16_f32_e32 v0, v14
	v_pack_b32_f16 v1, v0, v1
	v_sub_f32_e32 v0, v19, v96
	s_delay_alu instid0(VALU_DEP_1) | instskip(SKIP_1) | instid1(VALU_DEP_2)
	v_mul_f32_e32 v19, 0x3fb8aa3b, v0
	v_cmp_ngt_f32_e32 vcc_lo, 0xc2ce8ed0, v0
	v_fma_f32 v20, 0x3fb8aa3b, v0, -v19
	v_rndne_f32_e32 v25, v19
	s_delay_alu instid0(VALU_DEP_1) | instskip(SKIP_1) | instid1(VALU_DEP_2)
	v_dual_fmac_f32 v20, 0x32a5705f, v0 :: v_dual_sub_f32 v19, v19, v25
	v_cvt_i32_f32_e32 v25, v25
	v_dual_add_f32 v19, v19, v20 :: v_dual_mul_f32 v20, 0x3fb8aa3b, v18
	s_delay_alu instid0(VALU_DEP_1) | instskip(NEXT) | instid1(VALU_DEP_1)
	v_exp_f32_e32 v19, v19
	v_fma_f32 v26, 0x3fb8aa3b, v18, -v20
	v_rndne_f32_e32 v27, v20
	s_delay_alu instid0(VALU_DEP_2) | instskip(NEXT) | instid1(VALU_DEP_2)
	v_fmac_f32_e32 v26, 0x32a5705f, v18
	v_sub_f32_e32 v20, v20, v27
	s_delay_alu instid0(TRANS32_DEP_1) | instskip(SKIP_1) | instid1(VALU_DEP_3)
	v_ldexp_f32 v19, v19, v25
	v_cvt_i32_f32_e32 v25, v27
	v_add_f32_e32 v20, v20, v26
	s_delay_alu instid0(VALU_DEP_1) | instskip(NEXT) | instid1(TRANS32_DEP_1)
	v_exp_f32_e32 v20, v20
	v_ldexp_f32 v20, v20, v25
	s_wait_alu 0xfffd
	v_cndmask_b32_e32 v25, 0, v19, vcc_lo
	v_cmp_ngt_f32_e64 s0, 0xc2ce8ed0, v18
	v_cmp_nlt_f32_e32 vcc_lo, 0x42b17218, v0
	s_wait_alu 0xf1ff
	s_delay_alu instid0(VALU_DEP_2) | instskip(SKIP_4) | instid1(VALU_DEP_2)
	v_cndmask_b32_e64 v0, 0, v20, s0
	v_cmp_nlt_f32_e64 s0, 0x42b17218, v18
	s_wait_alu 0xfffd
	v_cndmask_b32_e32 v20, 0x7f800000, v25, vcc_lo
	s_wait_alu 0xf1ff
	v_cndmask_b32_e64 v19, 0x7f800000, v0, s0
	s_delay_alu instid0(VALU_DEP_2) | instskip(NEXT) | instid1(VALU_DEP_2)
	v_cvt_f16_f32_e32 v18, v20
	v_cvt_f16_f32_e32 v0, v19
	s_delay_alu instid0(VALU_DEP_1) | instskip(SKIP_1) | instid1(VALU_DEP_1)
	v_pack_b32_f16 v0, v0, v18
	v_sub_f32_e32 v18, v242, v96
	v_mul_f32_e32 v25, 0x3fb8aa3b, v18
	v_cmp_ngt_f32_e32 vcc_lo, 0xc2ce8ed0, v18
	s_delay_alu instid0(VALU_DEP_2) | instskip(SKIP_1) | instid1(VALU_DEP_1)
	v_fma_f32 v26, 0x3fb8aa3b, v18, -v25
	v_rndne_f32_e32 v27, v25
	v_dual_fmac_f32 v26, 0x32a5705f, v18 :: v_dual_sub_f32 v25, v25, v27
	s_delay_alu instid0(VALU_DEP_1) | instskip(SKIP_1) | instid1(VALU_DEP_2)
	v_add_f32_e32 v25, v25, v26
	v_cvt_i32_f32_e32 v26, v27
	v_exp_f32_e32 v25, v25
	s_delay_alu instid0(TRANS32_DEP_1) | instskip(SKIP_1) | instid1(VALU_DEP_1)
	v_ldexp_f32 v25, v25, v26
	s_wait_alu 0xfffd
	v_cndmask_b32_e32 v25, 0, v25, vcc_lo
	v_cmp_nlt_f32_e32 vcc_lo, 0x42b17218, v18
	s_wait_alu 0xfffd
	s_delay_alu instid0(VALU_DEP_2) | instskip(SKIP_2) | instid1(VALU_DEP_2)
	v_cndmask_b32_e32 v25, 0x7f800000, v25, vcc_lo
	v_cmp_le_f32_e32 vcc_lo, 0xc1a00000, v18
	s_wait_alu 0xfffd
	v_cndmask_b32_e32 v18, 0, v25, vcc_lo
	s_delay_alu instid0(VALU_DEP_1) | instskip(NEXT) | instid1(VALU_DEP_1)
	v_cvt_f16_f32_e32 v25, v18
	v_and_b32_e32 v25, 0xffff, v25
	s_delay_alu instid0(VALU_DEP_1)
	v_mul_u32_u24_e32 v27, 0x10001, v25
	ds_load_2addr_b32 v[25:26], v99 offset0:16 offset1:32
	ds_load_2addr_b32 v[97:98], v227 offset1:16
	ds_load_2addr_b32 v[115:116], v232 offset1:16
	ds_load_2addr_b32 v[112:113], v99 offset0:84 offset1:100
	ds_load_2addr_b32 v[117:118], v254 offset0:136 offset1:152
	;; [unrolled: 1-line block ×3, first 2 shown]
	ds_load_2addr_b32 v[121:122], v254 offset1:16
	ds_load_2addr_b32 v[123:124], v254 offset0:68 offset1:84
	v_pk_mul_f16 v60, v60, v27
	v_pk_mul_f16 v61, v61, v27
	;; [unrolled: 1-line block ×15, first 2 shown]
	s_wait_dscnt 0x5
	v_perm_b32 v111, v115, v97, 0x5040100
	s_wait_dscnt 0x4
	v_perm_b32 v110, v112, v25, 0x5040100
	s_wait_dscnt 0x2
	v_perm_b32 v109, v119, v117, 0x5040100
	s_wait_dscnt 0x0
	v_perm_b32 v108, v123, v121, 0x5040100
	v_perm_b32 v114, v113, v26, 0x5040100
	v_pk_mul_f16 v51, v51, v27
	v_pk_mul_f16 v44, v44, v27
	;; [unrolled: 1-line block ×3, first 2 shown]
	v_wmma_f16_16x16x16_f16 v[60:63], v[108:111], v[0:3], v[60:63]
	v_perm_b32 v108, v123, v121, 0x7060302
	v_perm_b32 v109, v119, v117, 0x7060302
	;; [unrolled: 1-line block ×6, first 2 shown]
	v_pk_mul_f16 v46, v46, v27
	v_pk_mul_f16 v47, v47, v27
	v_wmma_f16_16x16x16_f16 v[52:55], v[108:111], v[0:3], v[52:55]
	v_perm_b32 v110, v113, v26, 0x7060302
	v_perm_b32 v113, v120, v118, 0x5040100
	;; [unrolled: 1-line block ×5, first 2 shown]
	v_pk_mul_f16 v40, v40, v27
	v_wmma_f16_16x16x16_f16 v[56:59], v[112:115], v[0:3], v[56:59]
	ds_load_2addr_b32 v[25:26], v99 offset0:48 offset1:64
	ds_load_2addr_b32 v[97:98], v99 offset0:116 offset1:132
	ds_load_2addr_b32 v[115:116], v227 offset0:32 offset1:48
	ds_load_2addr_b32 v[117:118], v232 offset0:32 offset1:48
	ds_load_2addr_b32 v[112:113], v254 offset0:168 offset1:184
	ds_load_2addr_b32 v[119:120], v254 offset0:236 offset1:252
	ds_load_2addr_b32 v[121:122], v254 offset0:32 offset1:48
	ds_load_2addr_b32 v[123:124], v254 offset0:100 offset1:116
	v_wmma_f16_16x16x16_f16 v[48:51], v[108:111], v[0:3], v[48:51]
	v_pk_mul_f16 v41, v41, v27
	v_pk_mul_f16 v42, v42, v27
	;; [unrolled: 1-line block ×11, first 2 shown]
	s_wait_dscnt 0x6
	v_perm_b32 v110, v97, v25, 0x5040100
	v_perm_b32 v114, v98, v26, 0x5040100
	s_wait_dscnt 0x4
	v_perm_b32 v111, v117, v115, 0x5040100
	s_wait_dscnt 0x2
	;; [unrolled: 2-line block ×3, first 2 shown]
	v_perm_b32 v108, v123, v121, 0x5040100
	s_delay_alu instid0(VALU_DEP_1)
	v_wmma_f16_16x16x16_f16 v[44:47], v[108:111], v[0:3], v[44:47]
	v_perm_b32 v108, v123, v121, 0x7060302
	v_perm_b32 v109, v119, v112, 0x7060302
	;; [unrolled: 1-line block ×6, first 2 shown]
	s_delay_alu instid0(VALU_DEP_3)
	v_wmma_f16_16x16x16_f16 v[40:43], v[108:111], v[0:3], v[40:43]
	v_perm_b32 v109, v120, v113, 0x7060302
	v_perm_b32 v110, v98, v26, 0x7060302
	;; [unrolled: 1-line block ×5, first 2 shown]
	s_delay_alu instid0(VALU_DEP_3) | instskip(NEXT) | instid1(VALU_DEP_2)
	v_wmma_f16_16x16x16_f16 v[36:39], v[112:115], v[0:3], v[36:39]
	v_wmma_f16_16x16x16_f16 v[32:35], v[108:111], v[0:3], v[32:35]
	v_sub_f32_e32 v0, v107, v96
	s_delay_alu instid0(VALU_DEP_1) | instskip(SKIP_1) | instid1(VALU_DEP_2)
	v_mul_f32_e32 v1, 0x3fb8aa3b, v0
	v_cmp_ngt_f32_e64 s2, 0xc2ce8ed0, v0
	v_fma_f32 v2, 0x3fb8aa3b, v0, -v1
	v_rndne_f32_e32 v3, v1
	s_delay_alu instid0(VALU_DEP_1) | instskip(SKIP_1) | instid1(VALU_DEP_2)
	v_dual_fmac_f32 v2, 0x32a5705f, v0 :: v_dual_sub_f32 v1, v1, v3
	v_cvt_i32_f32_e32 v3, v3
	v_dual_add_f32 v1, v1, v2 :: v_dual_sub_f32 v2, v106, v96
	s_delay_alu instid0(VALU_DEP_1) | instskip(NEXT) | instid1(VALU_DEP_1)
	v_exp_f32_e32 v1, v1
	v_mul_f32_e32 v25, 0x3fb8aa3b, v2
	v_cmp_ngt_f32_e32 vcc_lo, 0xc2ce8ed0, v2
	s_delay_alu instid0(VALU_DEP_2) | instskip(SKIP_1) | instid1(TRANS32_DEP_1)
	v_fma_f32 v26, 0x3fb8aa3b, v2, -v25
	v_rndne_f32_e32 v27, v25
	v_ldexp_f32 v1, v1, v3
	s_delay_alu instid0(VALU_DEP_2) | instskip(SKIP_1) | instid1(VALU_DEP_2)
	v_dual_fmac_f32 v26, 0x32a5705f, v2 :: v_dual_sub_f32 v25, v25, v27
	s_wait_alu 0xf1ff
	v_cndmask_b32_e64 v1, 0, v1, s2
	v_cmp_nlt_f32_e64 s2, 0x42b17218, v0
	s_delay_alu instid0(VALU_DEP_3) | instskip(NEXT) | instid1(VALU_DEP_1)
	v_add_f32_e32 v25, v25, v26
	v_exp_f32_e32 v3, v25
	v_cvt_i32_f32_e32 v25, v27
	s_delay_alu instid0(TRANS32_DEP_1) | instid1(VALU_DEP_1)
	v_ldexp_f32 v3, v3, v25
	v_sub_f32_e32 v25, v105, v96
	s_wait_alu 0xfffd
	s_delay_alu instid0(VALU_DEP_1) | instskip(SKIP_3) | instid1(VALU_DEP_4)
	v_dual_cndmask_b32 v3, 0, v3 :: v_dual_mul_f32 v26, 0x3fb8aa3b, v25
	v_cmp_nlt_f32_e32 vcc_lo, 0x42b17218, v2
	v_sub_f32_e32 v2, v104, v96
	v_cmp_ngt_f32_e64 s0, 0xc2ce8ed0, v25
	v_fma_f32 v27, 0x3fb8aa3b, v25, -v26
	v_rndne_f32_e32 v97, v26
	s_delay_alu instid0(VALU_DEP_4)
	v_cmp_ngt_f32_e64 s1, 0xc2ce8ed0, v2
	s_wait_alu 0xfffd
	v_cndmask_b32_e32 v3, 0x7f800000, v3, vcc_lo
	v_cmp_ngt_f32_e32 vcc_lo, 0xc2ce8ed0, v24
	v_fmac_f32_e32 v27, 0x32a5705f, v25
	v_sub_f32_e32 v26, v26, v97
	v_cvt_i32_f32_e32 v97, v97
	s_delay_alu instid0(VALU_DEP_2) | instskip(NEXT) | instid1(VALU_DEP_1)
	v_dual_add_f32 v26, v26, v27 :: v_dual_mul_f32 v27, 0x3fb8aa3b, v2
	v_exp_f32_e32 v26, v26
	s_delay_alu instid0(VALU_DEP_1) | instskip(SKIP_1) | instid1(VALU_DEP_1)
	v_fma_f32 v98, 0x3fb8aa3b, v2, -v27
	v_rndne_f32_e32 v99, v27
	v_dual_fmac_f32 v98, 0x32a5705f, v2 :: v_dual_sub_f32 v27, v27, v99
	s_delay_alu instid0(TRANS32_DEP_1) | instskip(SKIP_1) | instid1(VALU_DEP_3)
	v_ldexp_f32 v26, v26, v97
	v_cvt_i32_f32_e32 v97, v99
	v_add_f32_e32 v27, v27, v98
	v_add_nc_u32_e32 v99, 0x1000, v227
	s_wait_alu 0xf1ff
	v_cndmask_b32_e64 v26, 0, v26, s0
	v_cmp_nlt_f32_e64 s0, 0x42b17218, v25
	v_exp_f32_e32 v27, v27
	s_wait_alu 0xf1ff
	s_delay_alu instid0(VALU_DEP_1) | instskip(SKIP_1) | instid1(VALU_DEP_2)
	v_cndmask_b32_e64 v0, 0x7f800000, v26, s0
	v_cmp_ngt_f32_e64 s0, 0xc2ce8ed0, v23
	v_cvt_f16_f32_e32 v26, v0
	s_delay_alu instid0(TRANS32_DEP_1) | instskip(SKIP_1) | instid1(VALU_DEP_2)
	v_ldexp_f32 v27, v27, v97
	v_cvt_f16_f32_e32 v97, v3
	v_cndmask_b32_e64 v25, 0, v27, s1
	v_cmp_nlt_f32_e64 s1, 0x42b17218, v2
	v_cndmask_b32_e64 v2, 0x7f800000, v1, s2
	s_wait_alu 0xf1ff
	s_delay_alu instid0(VALU_DEP_2) | instskip(NEXT) | instid1(VALU_DEP_2)
	v_cndmask_b32_e64 v1, 0x7f800000, v25, s1
	v_cvt_f16_f32_e32 v25, v2
	s_delay_alu instid0(VALU_DEP_2) | instskip(NEXT) | instid1(VALU_DEP_2)
	v_cvt_f16_f32_e32 v27, v1
	v_pack_b32_f16 v106, v25, v97
	v_mul_f32_e32 v25, 0x3fb8aa3b, v24
	s_delay_alu instid0(VALU_DEP_3) | instskip(NEXT) | instid1(VALU_DEP_2)
	v_pack_b32_f16 v107, v26, v27
	v_fma_f32 v26, 0x3fb8aa3b, v24, -v25
	v_rndne_f32_e32 v27, v25
	s_delay_alu instid0(VALU_DEP_1) | instskip(SKIP_1) | instid1(VALU_DEP_2)
	v_dual_fmac_f32 v26, 0x32a5705f, v24 :: v_dual_sub_f32 v25, v25, v27
	v_cvt_i32_f32_e32 v27, v27
	v_dual_add_f32 v25, v25, v26 :: v_dual_mul_f32 v26, 0x3fb8aa3b, v23
	s_delay_alu instid0(VALU_DEP_1) | instskip(NEXT) | instid1(VALU_DEP_1)
	v_exp_f32_e32 v25, v25
	v_fma_f32 v97, 0x3fb8aa3b, v23, -v26
	v_rndne_f32_e32 v98, v26
	s_delay_alu instid0(VALU_DEP_1) | instskip(NEXT) | instid1(TRANS32_DEP_1)
	v_dual_fmac_f32 v97, 0x32a5705f, v23 :: v_dual_sub_f32 v26, v26, v98
	v_ldexp_f32 v25, v25, v27
	v_cvt_i32_f32_e32 v27, v98
	s_delay_alu instid0(VALU_DEP_3) | instskip(SKIP_1) | instid1(VALU_DEP_3)
	v_add_f32_e32 v26, v26, v97
	s_wait_alu 0xfffd
	v_cndmask_b32_e32 v25, 0, v25, vcc_lo
	v_cmp_nlt_f32_e32 vcc_lo, 0x42b17218, v24
	s_delay_alu instid0(VALU_DEP_3) | instskip(NEXT) | instid1(TRANS32_DEP_1)
	v_exp_f32_e32 v26, v26
	v_ldexp_f32 v26, v26, v27
	s_delay_alu instid0(VALU_DEP_1) | instskip(SKIP_2) | instid1(VALU_DEP_1)
	v_cndmask_b32_e64 v24, 0, v26, s0
	v_cmp_nlt_f32_e64 s0, 0x42b17218, v23
	s_wait_alu 0xf1ff
	v_cndmask_b32_e64 v23, 0x7f800000, v24, s0
	s_wait_alu 0xfffd
	v_cndmask_b32_e32 v24, 0x7f800000, v25, vcc_lo
	v_cmp_ngt_f32_e32 vcc_lo, 0xc2ce8ed0, v22
	v_cmp_ngt_f32_e64 s0, 0xc2ce8ed0, v21
	v_cvt_f16_f32_e32 v25, v23
	s_delay_alu instid0(VALU_DEP_4) | instskip(NEXT) | instid1(VALU_DEP_1)
	v_cvt_f16_f32_e32 v26, v24
	v_pack_b32_f16 v105, v25, v26
	v_mul_f32_e32 v25, 0x3fb8aa3b, v22
	s_delay_alu instid0(VALU_DEP_1) | instskip(SKIP_1) | instid1(VALU_DEP_1)
	v_fma_f32 v26, 0x3fb8aa3b, v22, -v25
	v_rndne_f32_e32 v27, v25
	v_dual_fmac_f32 v26, 0x32a5705f, v22 :: v_dual_sub_f32 v25, v25, v27
	v_cvt_i32_f32_e32 v27, v27
	s_delay_alu instid0(VALU_DEP_2) | instskip(NEXT) | instid1(VALU_DEP_1)
	v_dual_add_f32 v25, v25, v26 :: v_dual_mul_f32 v26, 0x3fb8aa3b, v21
	v_exp_f32_e32 v25, v25
	s_delay_alu instid0(VALU_DEP_1) | instskip(SKIP_1) | instid1(VALU_DEP_1)
	v_fma_f32 v97, 0x3fb8aa3b, v21, -v26
	v_rndne_f32_e32 v98, v26
	v_dual_fmac_f32 v97, 0x32a5705f, v21 :: v_dual_sub_f32 v26, v26, v98
	s_delay_alu instid0(TRANS32_DEP_1) | instskip(SKIP_1) | instid1(VALU_DEP_3)
	v_ldexp_f32 v25, v25, v27
	v_cvt_i32_f32_e32 v27, v98
	v_add_f32_e32 v26, v26, v97
	s_wait_alu 0xfffd
	s_delay_alu instid0(VALU_DEP_3) | instskip(SKIP_1) | instid1(VALU_DEP_3)
	v_cndmask_b32_e32 v25, 0, v25, vcc_lo
	v_cmp_nlt_f32_e32 vcc_lo, 0x42b17218, v22
	v_exp_f32_e32 v26, v26
	s_delay_alu instid0(TRANS32_DEP_1) | instskip(SKIP_2) | instid1(VALU_DEP_2)
	v_ldexp_f32 v26, v26, v27
	v_add_nc_u32_e32 v27, 0x1400, v254
	s_wait_alu 0xf1ff
	v_cndmask_b32_e64 v22, 0, v26, s0
	v_cmp_nlt_f32_e64 s0, 0x42b17218, v21
	s_wait_alu 0xf1ff
	s_delay_alu instid0(VALU_DEP_1) | instskip(SKIP_2) | instid1(VALU_DEP_2)
	v_cndmask_b32_e64 v21, 0x7f800000, v22, s0
	s_wait_alu 0xfffd
	v_cndmask_b32_e32 v22, 0x7f800000, v25, vcc_lo
	v_cvt_f16_f32_e32 v25, v21
	s_delay_alu instid0(VALU_DEP_2) | instskip(NEXT) | instid1(VALU_DEP_1)
	v_cvt_f16_f32_e32 v26, v22
	v_pack_b32_f16 v104, v25, v26
	ds_load_2addr_b32 v[25:26], v27 offset0:80 offset1:96
	ds_load_2addr_b32 v[97:98], v99 offset0:64 offset1:80
	;; [unrolled: 1-line block ×8, first 2 shown]
	s_wait_dscnt 0x5
	v_perm_b32 v111, v115, v97, 0x5040100
	s_wait_dscnt 0x4
	v_perm_b32 v110, v112, v25, 0x5040100
	;; [unrolled: 2-line block ×4, first 2 shown]
	v_perm_b32 v114, v113, v26, 0x5040100
	s_delay_alu instid0(VALU_DEP_2)
	v_wmma_f16_16x16x16_f16 v[60:63], v[108:111], v[104:107], v[60:63]
	v_perm_b32 v108, v123, v121, 0x7060302
	v_perm_b32 v109, v119, v117, 0x7060302
	;; [unrolled: 1-line block ×6, first 2 shown]
	s_delay_alu instid0(VALU_DEP_3)
	v_wmma_f16_16x16x16_f16 v[52:55], v[108:111], v[104:107], v[52:55]
	v_perm_b32 v110, v113, v26, 0x7060302
	v_perm_b32 v113, v120, v118, 0x5040100
	;; [unrolled: 1-line block ×5, first 2 shown]
	s_delay_alu instid0(VALU_DEP_4)
	v_wmma_f16_16x16x16_f16 v[56:59], v[112:115], v[104:107], v[56:59]
	ds_load_2addr_b32 v[25:26], v27 offset0:44 offset1:60
	ds_load_2addr_b32 v[97:98], v27 offset0:112 offset1:128
	;; [unrolled: 1-line block ×4, first 2 shown]
	v_wmma_f16_16x16x16_f16 v[48:51], v[108:111], v[104:107], v[48:51]
	s_wait_dscnt 0x1
	v_perm_b32 v114, v115, v97, 0x7060302
	s_wait_dscnt 0x0
	v_perm_b32 v113, v25, v119, 0x7060302
	v_perm_b32 v118, v115, v97, 0x5040100
	;; [unrolled: 1-line block ×7, first 2 shown]
	ds_load_2addr_b32 v[25:26], v128 offset0:96 offset1:112
	ds_load_2addr_b32 v[97:98], v128 offset0:164 offset1:180
	s_wait_dscnt 0x0
	v_perm_b32 v112, v97, v25, 0x7060302
	v_perm_b32 v116, v97, v25, 0x5040100
	v_perm_b32 v120, v98, v26, 0x7060302
	v_perm_b32 v124, v98, v26, 0x5040100
	ds_load_2addr_b32 v[25:26], v99 offset0:96 offset1:112
	ds_load_2addr_b32 v[97:98], v127 offset0:96 offset1:112
	s_wait_dscnt 0x0
	v_perm_b32 v119, v97, v25, 0x5040100
	v_perm_b32 v115, v97, v25, 0x7060302
	v_sub_f32_e32 v25, v103, v96
	v_perm_b32 v127, v98, v26, 0x5040100
	v_perm_b32 v123, v98, v26, 0x7060302
	v_wmma_f16_16x16x16_f16 v[44:47], v[116:119], v[104:107], v[44:47]
	v_add_nc_u32_e32 v116, 0x2400, v254
	v_mul_f32_e32 v26, 0x3fb8aa3b, v25
	v_wmma_f16_16x16x16_f16 v[36:39], v[124:127], v[104:107], v[36:39]
	v_wmma_f16_16x16x16_f16 v[32:35], v[120:123], v[104:107], v[32:35]
	v_add_nc_u32_e32 v126, 0x2000, v254
	v_add_nc_u32_e32 v117, 0x2000, v227
	v_fma_f32 v27, 0x3fb8aa3b, v25, -v26
	v_rndne_f32_e32 v97, v26
	v_add_nc_u32_e32 v125, 0x2000, v232
	v_wmma_f16_16x16x16_f16 v[40:43], v[112:115], v[104:107], v[40:43]
	s_delay_alu instid0(VALU_DEP_4) | instskip(NEXT) | instid1(VALU_DEP_4)
	v_fmac_f32_e32 v27, 0x32a5705f, v25
	v_sub_f32_e32 v26, v26, v97
	v_cvt_i32_f32_e32 v97, v97
	s_delay_alu instid0(VALU_DEP_2) | instskip(SKIP_1) | instid1(VALU_DEP_2)
	v_add_f32_e32 v26, v26, v27
	v_sub_f32_e32 v27, v102, v96
	v_exp_f32_e32 v26, v26
	s_delay_alu instid0(VALU_DEP_1) | instskip(SKIP_1) | instid1(VALU_DEP_2)
	v_mul_f32_e32 v98, 0x3fb8aa3b, v27
	v_cmp_ngt_f32_e32 vcc_lo, 0xc2ce8ed0, v27
	v_fma_f32 v99, 0x3fb8aa3b, v27, -v98
	v_rndne_f32_e32 v102, v98
	s_delay_alu instid0(TRANS32_DEP_1) | instskip(NEXT) | instid1(VALU_DEP_2)
	v_ldexp_f32 v26, v26, v97
	v_dual_fmac_f32 v99, 0x32a5705f, v27 :: v_dual_sub_f32 v98, v98, v102
	s_delay_alu instid0(VALU_DEP_1) | instskip(NEXT) | instid1(VALU_DEP_1)
	v_add_f32_e32 v98, v98, v99
	v_exp_f32_e32 v97, v98
	v_cvt_i32_f32_e32 v98, v102
	s_delay_alu instid0(TRANS32_DEP_1) | instid1(VALU_DEP_1)
	v_ldexp_f32 v97, v97, v98
	s_wait_alu 0xfffd
	s_delay_alu instid0(VALU_DEP_1) | instskip(NEXT) | instid1(VALU_DEP_1)
	v_dual_sub_f32 v98, v101, v96 :: v_dual_cndmask_b32 v97, 0, v97
	v_mul_f32_e32 v99, 0x3fb8aa3b, v98
	v_cmp_nlt_f32_e32 vcc_lo, 0x42b17218, v27
	v_sub_f32_e32 v27, v100, v96
	v_cmp_ngt_f32_e64 s0, 0xc2ce8ed0, v98
	s_delay_alu instid0(VALU_DEP_4) | instskip(SKIP_1) | instid1(VALU_DEP_4)
	v_fma_f32 v101, 0x3fb8aa3b, v98, -v99
	v_rndne_f32_e32 v102, v99
	v_mul_f32_e32 v100, 0x3fb8aa3b, v27
	v_cmp_ngt_f32_e64 s2, 0xc2ce8ed0, v25
	v_cmp_ngt_f32_e64 s1, 0xc2ce8ed0, v27
	v_fmac_f32_e32 v101, 0x32a5705f, v98
	v_sub_f32_e32 v99, v99, v102
	v_rndne_f32_e32 v103, v100
	s_wait_alu 0xf1ff
	v_cndmask_b32_e64 v26, 0, v26, s2
	v_cmp_nlt_f32_e64 s2, 0x42b17218, v25
	s_wait_alu 0xfffd
	v_cndmask_b32_e32 v121, 0x7f800000, v97, vcc_lo
	v_add_f32_e32 v99, v99, v101
	v_fma_f32 v101, 0x3fb8aa3b, v27, -v100
	v_sub_f32_e32 v100, v100, v103
	s_wait_alu 0xf1ff
	v_cndmask_b32_e64 v118, 0x7f800000, v26, s2
	v_cvt_f16_f32_e32 v97, v121
	v_exp_f32_e32 v99, v99
	v_fmac_f32_e32 v101, 0x32a5705f, v27
	v_cmp_ngt_f32_e64 s2, 0xc2ce8ed0, v17
	v_cvt_f16_f32_e32 v25, v118
	s_delay_alu instid0(VALU_DEP_3) | instskip(SKIP_1) | instid1(VALU_DEP_2)
	v_add_f32_e32 v100, v100, v101
	v_cvt_i32_f32_e32 v101, v102
	v_exp_f32_e32 v100, v100
	s_delay_alu instid0(TRANS32_DEP_2) | instid1(VALU_DEP_1)
	v_ldexp_f32 v99, v99, v101
	v_cvt_i32_f32_e32 v101, v103
	s_delay_alu instid0(VALU_DEP_2)
	v_cndmask_b32_e64 v99, 0, v99, s0
	v_cmp_nlt_f32_e64 s0, 0x42b17218, v98
	s_delay_alu instid0(TRANS32_DEP_1) | instid1(VALU_DEP_3)
	v_ldexp_f32 v100, v100, v101
	s_wait_alu 0xf1ff
	s_delay_alu instid0(VALU_DEP_2)
	v_cndmask_b32_e64 v119, 0x7f800000, v99, s0
	v_pack_b32_f16 v99, v25, v97
	v_sub_f32_e32 v25, v31, v96
	v_cndmask_b32_e64 v98, 0, v100, s1
	v_cmp_nlt_f32_e64 s1, 0x42b17218, v27
	v_cvt_f16_f32_e32 v26, v119
	s_delay_alu instid0(VALU_DEP_4) | instskip(SKIP_1) | instid1(VALU_DEP_3)
	v_cmp_ngt_f32_e32 vcc_lo, 0xc2ce8ed0, v25
	s_wait_alu 0xf1ff
	v_cndmask_b32_e64 v120, 0x7f800000, v98, s1
	v_cmp_ngt_f32_e64 s1, 0xc2ce8ed0, v12
	s_delay_alu instid0(VALU_DEP_2) | instskip(NEXT) | instid1(VALU_DEP_1)
	v_cvt_f16_f32_e32 v27, v120
	v_pack_b32_f16 v100, v26, v27
	v_mul_f32_e32 v26, 0x3fb8aa3b, v25
	s_delay_alu instid0(VALU_DEP_1) | instskip(SKIP_1) | instid1(VALU_DEP_1)
	v_fma_f32 v27, 0x3fb8aa3b, v25, -v26
	v_rndne_f32_e32 v31, v26
	v_dual_fmac_f32 v27, 0x32a5705f, v25 :: v_dual_sub_f32 v26, v26, v31
	v_cvt_i32_f32_e32 v31, v31
	s_delay_alu instid0(VALU_DEP_2) | instskip(SKIP_1) | instid1(VALU_DEP_2)
	v_add_f32_e32 v26, v26, v27
	v_sub_f32_e32 v27, v30, v96
	v_exp_f32_e32 v26, v26
	s_delay_alu instid0(VALU_DEP_1) | instskip(SKIP_1) | instid1(VALU_DEP_2)
	v_mul_f32_e32 v30, 0x3fb8aa3b, v27
	v_cmp_ngt_f32_e64 s0, 0xc2ce8ed0, v27
	v_fma_f32 v97, 0x3fb8aa3b, v27, -v30
	v_rndne_f32_e32 v98, v30
	s_delay_alu instid0(TRANS32_DEP_1) | instskip(NEXT) | instid1(VALU_DEP_2)
	v_ldexp_f32 v26, v26, v31
	v_dual_fmac_f32 v97, 0x32a5705f, v27 :: v_dual_sub_f32 v30, v30, v98
	v_cvt_i32_f32_e32 v31, v98
	s_wait_alu 0xfffd
	s_delay_alu instid0(VALU_DEP_3) | instskip(SKIP_3) | instid1(VALU_DEP_3)
	v_cndmask_b32_e32 v26, 0, v26, vcc_lo
	v_cmp_nlt_f32_e32 vcc_lo, 0x42b17218, v25
	v_add_f32_e32 v30, v30, v97
	s_wait_alu 0xfffd
	v_cndmask_b32_e32 v122, 0x7f800000, v26, vcc_lo
	s_delay_alu instid0(VALU_DEP_2) | instskip(NEXT) | instid1(VALU_DEP_1)
	v_exp_f32_e32 v30, v30
	v_cvt_f16_f32_e32 v26, v122
	s_delay_alu instid0(TRANS32_DEP_1) | instskip(SKIP_1) | instid1(VALU_DEP_1)
	v_ldexp_f32 v30, v30, v31
	s_wait_alu 0xf1ff
	v_cndmask_b32_e64 v25, 0, v30, s0
	v_cmp_nlt_f32_e64 s0, 0x42b17218, v27
	s_wait_alu 0xf1ff
	s_delay_alu instid0(VALU_DEP_1) | instskip(NEXT) | instid1(VALU_DEP_1)
	v_cndmask_b32_e64 v31, 0x7f800000, v25, s0
	v_cvt_f16_f32_e32 v25, v31
	s_delay_alu instid0(VALU_DEP_1) | instskip(SKIP_1) | instid1(VALU_DEP_1)
	v_pack_b32_f16 v98, v25, v26
	v_sub_f32_e32 v25, v29, v96
	v_mul_f32_e32 v26, 0x3fb8aa3b, v25
	s_delay_alu instid0(VALU_DEP_1) | instskip(SKIP_1) | instid1(VALU_DEP_2)
	v_fma_f32 v27, 0x3fb8aa3b, v25, -v26
	v_rndne_f32_e32 v29, v26
	v_fmac_f32_e32 v27, 0x32a5705f, v25
	s_delay_alu instid0(VALU_DEP_2) | instskip(SKIP_1) | instid1(VALU_DEP_2)
	v_sub_f32_e32 v26, v26, v29
	v_cvt_i32_f32_e32 v29, v29
	v_dual_add_f32 v26, v26, v27 :: v_dual_sub_f32 v27, v28, v96
	s_delay_alu instid0(VALU_DEP_1) | instskip(NEXT) | instid1(VALU_DEP_1)
	v_exp_f32_e32 v26, v26
	v_mul_f32_e32 v28, 0x3fb8aa3b, v27
	v_cmp_ngt_f32_e64 s0, 0xc2ce8ed0, v27
	s_delay_alu instid0(VALU_DEP_2) | instskip(SKIP_1) | instid1(TRANS32_DEP_1)
	v_fma_f32 v30, 0x3fb8aa3b, v27, -v28
	v_rndne_f32_e32 v97, v28
	v_ldexp_f32 v26, v26, v29
	s_delay_alu instid0(VALU_DEP_3) | instskip(NEXT) | instid1(VALU_DEP_3)
	v_fmac_f32_e32 v30, 0x32a5705f, v27
	v_sub_f32_e32 v28, v28, v97
	v_cvt_i32_f32_e32 v29, v97
	v_cmp_ngt_f32_e32 vcc_lo, 0xc2ce8ed0, v25
	s_delay_alu instid0(VALU_DEP_3) | instskip(SKIP_3) | instid1(VALU_DEP_3)
	v_add_f32_e32 v28, v28, v30
	s_wait_alu 0xfffd
	v_cndmask_b32_e32 v26, 0, v26, vcc_lo
	v_cmp_nlt_f32_e32 vcc_lo, 0x42b17218, v25
	v_exp_f32_e32 v28, v28
	s_wait_alu 0xfffd
	s_delay_alu instid0(VALU_DEP_2) | instskip(SKIP_1) | instid1(VALU_DEP_2)
	v_cndmask_b32_e32 v124, 0x7f800000, v26, vcc_lo
	v_cmp_ngt_f32_e32 vcc_lo, 0xc2ce8ed0, v16
	v_cvt_f16_f32_e32 v26, v124
	s_delay_alu instid0(TRANS32_DEP_1)
	v_ldexp_f32 v28, v28, v29
	ds_load_2addr_b32 v[29:30], v116 offset0:144 offset1:160
	ds_load_2addr_b32 v[104:105], v117 offset0:128 offset1:144
	;; [unrolled: 1-line block ×8, first 2 shown]
	s_wait_alu 0xf1ff
	v_cndmask_b32_e64 v25, 0, v28, s0
	v_cmp_nlt_f32_e64 s0, 0x42b17218, v27
	s_wait_alu 0xf1ff
	s_delay_alu instid0(VALU_DEP_1) | instskip(NEXT) | instid1(VALU_DEP_1)
	v_cndmask_b32_e64 v123, 0x7f800000, v25, s0
	v_cvt_f16_f32_e32 v25, v123
	s_wait_dscnt 0x5
	v_perm_b32 v28, v106, v104, 0x5040100
	s_delay_alu instid0(VALU_DEP_2)
	v_pack_b32_f16 v97, v25, v26
	s_wait_dscnt 0x4
	v_perm_b32 v27, v101, v29, 0x5040100
	s_wait_dscnt 0x2
	v_perm_b32 v26, v110, v108, 0x5040100
	;; [unrolled: 2-line block ×3, first 2 shown]
	v_perm_b32 v103, v102, v30, 0x5040100
	s_delay_alu instid0(VALU_DEP_2)
	v_wmma_f16_16x16x16_f16 v[60:63], v[25:28], v[97:100], v[60:63]
	v_perm_b32 v25, v114, v112, 0x7060302
	v_perm_b32 v26, v110, v108, 0x7060302
	v_perm_b32 v27, v101, v29, 0x7060302
	v_perm_b32 v28, v106, v104, 0x7060302
	v_perm_b32 v101, v115, v113, 0x5040100
	v_perm_b32 v104, v107, v105, 0x5040100
	s_delay_alu instid0(VALU_DEP_3)
	v_wmma_f16_16x16x16_f16 v[52:55], v[25:28], v[97:100], v[52:55]
	v_perm_b32 v26, v111, v109, 0x7060302
	v_perm_b32 v27, v102, v30, 0x7060302
	;; [unrolled: 1-line block ×5, first 2 shown]
	s_delay_alu instid0(VALU_DEP_2) | instskip(SKIP_1) | instid1(VALU_DEP_3)
	v_wmma_f16_16x16x16_f16 v[48:51], v[25:28], v[97:100], v[48:51]
	v_mul_f32_e32 v25, 0x3fb8aa3b, v17
	v_wmma_f16_16x16x16_f16 v[56:59], v[101:104], v[97:100], v[56:59]
	s_delay_alu instid0(VALU_DEP_2) | instskip(SKIP_1) | instid1(VALU_DEP_1)
	v_fma_f32 v26, 0x3fb8aa3b, v17, -v25
	v_rndne_f32_e32 v27, v25
	v_dual_fmac_f32 v26, 0x32a5705f, v17 :: v_dual_sub_f32 v25, v25, v27
	v_cvt_i32_f32_e32 v27, v27
	s_delay_alu instid0(VALU_DEP_2) | instskip(NEXT) | instid1(VALU_DEP_1)
	v_dual_add_f32 v25, v25, v26 :: v_dual_mul_f32 v26, 0x3fb8aa3b, v16
	v_exp_f32_e32 v25, v25
	s_delay_alu instid0(VALU_DEP_1) | instskip(NEXT) | instid1(VALU_DEP_1)
	v_fma_f32 v28, 0x3fb8aa3b, v16, -v26
	v_fmac_f32_e32 v28, 0x32a5705f, v16
	v_add_nc_u32_e32 v101, 0x2600, v254
	ds_load_2addr_b32 v[29:30], v116 offset0:40 offset1:56
	ds_load_2addr_b32 v[104:105], v116 offset0:108 offset1:124
	ds_load_2addr_b32 v[107:108], v116 offset0:176 offset1:192
	ds_load_2addr_b32 v[111:112], v101 offset0:116 offset1:132
	v_ldexp_f32 v25, v25, v27
	s_wait_dscnt 0x2
	v_perm_b32 v102, v104, v29, 0x7060302
	v_perm_b32 v106, v104, v29, 0x5040100
	s_wait_dscnt 0x0
	v_perm_b32 v103, v111, v107, 0x7060302
	v_perm_b32 v107, v111, v107, 0x5040100
	;; [unrolled: 1-line block ×6, first 2 shown]
	ds_load_2addr_b32 v[29:30], v126 offset0:160 offset1:176
	ds_load_2addr_b32 v[112:113], v126 offset0:228 offset1:244
	s_wait_dscnt 0x0
	v_perm_b32 v101, v112, v29, 0x7060302
	v_perm_b32 v105, v112, v29, 0x5040100
	;; [unrolled: 1-line block ×4, first 2 shown]
	ds_load_2addr_b32 v[29:30], v117 offset0:160 offset1:176
	ds_load_2addr_b32 v[116:117], v125 offset0:160 offset1:176
	s_wait_dscnt 0x0
	v_perm_b32 v108, v116, v29, 0x5040100
	v_perm_b32 v104, v116, v29, 0x7060302
	v_rndne_f32_e32 v29, v26
	v_perm_b32 v116, v117, v30, 0x5040100
	v_perm_b32 v112, v117, v30, 0x7060302
	v_wmma_f16_16x16x16_f16 v[44:47], v[105:108], v[97:100], v[44:47]
	v_wmma_f16_16x16x16_f16 v[40:43], v[101:104], v[97:100], v[40:43]
	v_sub_f32_e32 v26, v26, v29
	v_cvt_i32_f32_e32 v27, v29
	v_wmma_f16_16x16x16_f16 v[36:39], v[113:116], v[97:100], v[36:39]
	v_wmma_f16_16x16x16_f16 v[32:35], v[109:112], v[97:100], v[32:35]
	s_delay_alu instid0(VALU_DEP_4)
	v_dual_add_f32 v26, v26, v28 :: v_dual_add_nc_u32 v107, 0x3400, v254
	v_add_nc_u32_e32 v111, 0x3800, v254
	v_add_nc_u32_e32 v109, 0x3000, v254
	;; [unrolled: 1-line block ×4, first 2 shown]
	v_exp_f32_e32 v26, v26
	s_delay_alu instid0(TRANS32_DEP_1) | instskip(SKIP_1) | instid1(VALU_DEP_1)
	v_ldexp_f32 v26, v26, v27
	s_wait_alu 0xfffd
	v_dual_mul_f32 v27, 0x3fb8aa3b, v13 :: v_dual_cndmask_b32 v26, 0, v26
	s_delay_alu instid0(VALU_DEP_1) | instskip(SKIP_2) | instid1(VALU_DEP_3)
	v_fma_f32 v28, 0x3fb8aa3b, v13, -v27
	v_rndne_f32_e32 v29, v27
	v_cmp_nlt_f32_e32 vcc_lo, 0x42b17218, v16
	v_fmac_f32_e32 v28, 0x32a5705f, v13
	s_wait_alu 0xfffd
	s_delay_alu instid0(VALU_DEP_3) | instskip(SKIP_1) | instid1(VALU_DEP_2)
	v_dual_sub_f32 v27, v27, v29 :: v_dual_cndmask_b32 v116, 0x7f800000, v26
	v_cmp_ngt_f32_e32 vcc_lo, 0xc2ce8ed0, v11
	v_add_f32_e32 v27, v27, v28
	v_mul_f32_e32 v28, 0x3fb8aa3b, v12
	s_delay_alu instid0(VALU_DEP_2) | instskip(NEXT) | instid1(VALU_DEP_1)
	v_exp_f32_e32 v16, v27
	v_fma_f32 v30, 0x3fb8aa3b, v12, -v28
	v_rndne_f32_e32 v97, v28
	v_cvt_i32_f32_e32 v27, v29
	s_delay_alu instid0(VALU_DEP_3) | instskip(NEXT) | instid1(VALU_DEP_3)
	v_fmac_f32_e32 v30, 0x32a5705f, v12
	v_sub_f32_e32 v28, v28, v97
	s_delay_alu instid0(TRANS32_DEP_1) | instid1(VALU_DEP_3)
	v_ldexp_f32 v16, v16, v27
	s_delay_alu instid0(VALU_DEP_2) | instskip(SKIP_1) | instid1(VALU_DEP_2)
	v_add_f32_e32 v28, v28, v30
	v_cmp_ngt_f32_e64 s0, 0xc2ce8ed0, v13
	v_exp_f32_e32 v27, v28
	v_cvt_i32_f32_e32 v28, v97
	s_wait_alu 0xf1ff
	s_delay_alu instid0(VALU_DEP_2) | instskip(SKIP_2) | instid1(VALU_DEP_1)
	v_cndmask_b32_e64 v16, 0, v16, s0
	v_cmp_nlt_f32_e64 s0, 0x42b17218, v13
	s_wait_alu 0xf1ff
	v_cndmask_b32_e64 v114, 0x7f800000, v16, s0
	v_cmp_ngt_f32_e64 s0, 0xc2ce8ed0, v10
	s_delay_alu instid0(TRANS32_DEP_1) | instskip(NEXT) | instid1(VALU_DEP_1)
	v_ldexp_f32 v27, v27, v28
	v_cndmask_b32_e64 v13, 0, v27, s1
	v_cmp_nlt_f32_e64 s1, 0x42b17218, v12
	v_cndmask_b32_e64 v12, 0, v25, s2
	v_cmp_nlt_f32_e64 s2, 0x42b17218, v17
	v_cvt_f16_f32_e32 v17, v116
	s_wait_alu 0xf1ff
	v_cndmask_b32_e64 v115, 0x7f800000, v13, s1
	v_cvt_f16_f32_e32 v13, v114
	v_cndmask_b32_e64 v113, 0x7f800000, v12, s2
	s_delay_alu instid0(VALU_DEP_3) | instskip(NEXT) | instid1(VALU_DEP_2)
	v_cvt_f16_f32_e32 v16, v115
	v_cvt_f16_f32_e32 v12, v113
	s_delay_alu instid0(VALU_DEP_2) | instskip(SKIP_1) | instid1(VALU_DEP_3)
	v_pack_b32_f16 v13, v13, v16
	v_mul_f32_e32 v16, 0x3fb8aa3b, v11
	v_pack_b32_f16 v12, v12, v17
	s_delay_alu instid0(VALU_DEP_2) | instskip(SKIP_1) | instid1(VALU_DEP_1)
	v_fma_f32 v17, 0x3fb8aa3b, v11, -v16
	v_rndne_f32_e32 v25, v16
	v_dual_fmac_f32 v17, 0x32a5705f, v11 :: v_dual_sub_f32 v16, v16, v25
	v_cvt_i32_f32_e32 v25, v25
	s_delay_alu instid0(VALU_DEP_2) | instskip(NEXT) | instid1(VALU_DEP_1)
	v_dual_add_f32 v16, v16, v17 :: v_dual_mul_f32 v17, 0x3fb8aa3b, v10
	v_fma_f32 v26, 0x3fb8aa3b, v10, -v17
	v_rndne_f32_e32 v27, v17
	s_delay_alu instid0(VALU_DEP_1) | instskip(NEXT) | instid1(VALU_DEP_1)
	v_dual_fmac_f32 v26, 0x32a5705f, v10 :: v_dual_sub_f32 v17, v17, v27
	v_add_f32_e32 v17, v17, v26
	v_exp_f32_e32 v16, v16
	s_delay_alu instid0(VALU_DEP_1) | instskip(NEXT) | instid1(TRANS32_DEP_2)
	v_exp_f32_e32 v17, v17
	v_ldexp_f32 v16, v16, v25
	v_cvt_i32_f32_e32 v25, v27
	s_wait_alu 0xfffd
	s_delay_alu instid0(VALU_DEP_2)
	v_cndmask_b32_e32 v16, 0, v16, vcc_lo
	s_delay_alu instid0(TRANS32_DEP_1) | instid1(VALU_DEP_2)
	v_ldexp_f32 v17, v17, v25
	v_cmp_nlt_f32_e32 vcc_lo, 0x42b17218, v11
	s_delay_alu instid0(VALU_DEP_2)
	v_cndmask_b32_e64 v11, 0, v17, s0
	v_cmp_nlt_f32_e64 s0, 0x42b17218, v10
	s_wait_alu 0xfffd
	v_cndmask_b32_e32 v125, 0x7f800000, v16, vcc_lo
	v_cmp_ngt_f32_e32 vcc_lo, 0xc2ce8ed0, v9
	s_wait_alu 0xf1ff
	v_cndmask_b32_e64 v117, 0x7f800000, v11, s0
	s_delay_alu instid0(VALU_DEP_3) | instskip(NEXT) | instid1(VALU_DEP_2)
	v_cvt_f16_f32_e32 v11, v125
	v_cvt_f16_f32_e32 v10, v117
	s_delay_alu instid0(VALU_DEP_1) | instskip(SKIP_1) | instid1(VALU_DEP_1)
	v_pack_b32_f16 v11, v10, v11
	v_mul_f32_e32 v10, 0x3fb8aa3b, v9
	v_fma_f32 v16, 0x3fb8aa3b, v9, -v10
	v_rndne_f32_e32 v17, v10
	s_delay_alu instid0(VALU_DEP_2) | instskip(NEXT) | instid1(VALU_DEP_2)
	v_fmac_f32_e32 v16, 0x32a5705f, v9
	v_sub_f32_e32 v10, v10, v17
	v_cvt_i32_f32_e32 v17, v17
	s_delay_alu instid0(VALU_DEP_2) | instskip(NEXT) | instid1(VALU_DEP_1)
	v_add_f32_e32 v10, v10, v16
	v_exp_f32_e32 v10, v10
	s_delay_alu instid0(TRANS32_DEP_1) | instskip(SKIP_1) | instid1(VALU_DEP_1)
	v_ldexp_f32 v10, v10, v17
	s_wait_alu 0xfffd
	v_cndmask_b32_e32 v10, 0, v10, vcc_lo
	v_cmp_nlt_f32_e32 vcc_lo, 0x42b17218, v9
	s_wait_alu 0xfffd
	s_delay_alu instid0(VALU_DEP_2) | instskip(SKIP_4) | instid1(VALU_DEP_3)
	v_cndmask_b32_e32 v127, 0x7f800000, v10, vcc_lo
	v_mul_f32_e32 v16, 0x3fb8aa3b, v8
	v_cmp_ngt_f32_e64 s0, 0xc2ce8ed0, v8
	s_wait_alu 0xfffe
	v_cmp_lt_i32_e32 vcc_lo, s51, v231
	v_fma_f32 v25, 0x3fb8aa3b, v8, -v16
	v_rndne_f32_e32 v26, v16
	s_and_b32 vcc_lo, exec_lo, vcc_lo
	s_delay_alu instid0(VALU_DEP_1) | instskip(SKIP_1) | instid1(VALU_DEP_2)
	v_dual_fmac_f32 v25, 0x32a5705f, v8 :: v_dual_sub_f32 v16, v16, v26
	v_cvt_i32_f32_e32 v17, v26
	v_add_f32_e32 v16, v16, v25
	s_delay_alu instid0(VALU_DEP_1) | instskip(NEXT) | instid1(TRANS32_DEP_1)
	v_exp_f32_e32 v16, v16
	v_ldexp_f32 v16, v16, v17
	s_wait_alu 0xf1ff
	s_delay_alu instid0(VALU_DEP_1) | instskip(SKIP_2) | instid1(VALU_DEP_1)
	v_cndmask_b32_e64 v9, 0, v16, s0
	v_cmp_nlt_f32_e64 s0, 0x42b17218, v8
	s_wait_alu 0xf1ff
	v_cndmask_b32_e64 v126, 0x7f800000, v9, s0
	v_cvt_f16_f32_e32 v9, v127
	s_delay_alu instid0(VALU_DEP_2) | instskip(NEXT) | instid1(VALU_DEP_1)
	v_cvt_f16_f32_e32 v8, v126
	v_pack_b32_f16 v10, v8, v9
	ds_load_2addr_b32 v[8:9], v107 offset0:208 offset1:224
	ds_load_2addr_b32 v[16:17], v108 offset0:192 offset1:208
	;; [unrolled: 1-line block ×8, first 2 shown]
	s_wait_dscnt 0x5
	v_perm_b32 v28, v29, v16, 0x5040100
	s_wait_dscnt 0x4
	v_perm_b32 v27, v97, v8, 0x5040100
	;; [unrolled: 2-line block ×4, first 2 shown]
	s_delay_alu instid0(VALU_DEP_1)
	v_wmma_f16_16x16x16_f16 v[60:63], v[25:28], v[10:13], v[60:63]
	v_perm_b32 v25, v105, v103, 0x7060302
	v_perm_b32 v26, v101, v99, 0x7060302
	;; [unrolled: 1-line block ×6, first 2 shown]
	s_delay_alu instid0(VALU_DEP_3)
	v_wmma_f16_16x16x16_f16 v[52:55], v[25:28], v[10:13], v[52:55]
	v_perm_b32 v26, v102, v100, 0x7060302
	v_perm_b32 v27, v98, v9, 0x7060302
	;; [unrolled: 1-line block ×6, first 2 shown]
	s_delay_alu instid0(VALU_DEP_3)
	v_wmma_f16_16x16x16_f16 v[56:59], v[97:100], v[10:13], v[56:59]
	ds_load_2addr_b32 v[8:9], v109 offset0:224 offset1:240
	ds_load_2addr_b32 v[16:17], v107 offset0:36 offset1:52
	;; [unrolled: 1-line block ×4, first 2 shown]
	v_wmma_f16_16x16x16_f16 v[48:51], v[25:28], v[10:13], v[48:51]
	s_wait_dscnt 0x2
	v_perm_b32 v97, v16, v8, 0x7060302
	v_perm_b32 v101, v16, v8, 0x5040100
	v_add_nc_u32_e32 v8, 0x3600, v254
	v_perm_b32 v105, v17, v9, 0x7060302
	v_perm_b32 v109, v17, v9, 0x5040100
	ds_load_2addr_b32 v[8:9], v8 offset0:112 offset1:128
	ds_load_2addr_b32 v[16:17], v111 offset0:52 offset1:68
	s_wait_dscnt 0x2
	v_perm_b32 v98, v99, v29, 0x7060302
	v_perm_b32 v102, v99, v29, 0x5040100
	;; [unrolled: 1-line block ×4, first 2 shown]
	s_wait_dscnt 0x0
	v_perm_b32 v103, v16, v8, 0x5040100
	v_perm_b32 v99, v16, v8, 0x7060302
	;; [unrolled: 1-line block ×4, first 2 shown]
	ds_load_2addr_b32 v[8:9], v108 offset0:224 offset1:240
	ds_load_2addr_b32 v[16:17], v112 offset0:224 offset1:240
	s_wait_loadcnt_dscnt 0x0
	s_barrier_signal -1
	s_barrier_wait -1
	global_inv scope:SCOPE_SE
	v_perm_b32 v104, v16, v8, 0x5040100
	v_perm_b32 v100, v16, v8, 0x7060302
	v_add_f32_e32 v8, v19, v20
	v_perm_b32 v112, v17, v9, 0x5040100
	v_perm_b32 v108, v17, v9, 0x7060302
	v_wmma_f16_16x16x16_f16 v[44:47], v[101:104], v[10:13], v[44:47]
	v_wmma_f16_16x16x16_f16 v[40:43], v[97:100], v[10:13], v[40:43]
	v_add_f32_e32 v8, v14, v8
	v_wmma_f16_16x16x16_f16 v[36:39], v[109:112], v[10:13], v[36:39]
	v_wmma_f16_16x16x16_f16 v[32:35], v[105:108], v[10:13], v[32:35]
	s_delay_alu instid0(VALU_DEP_3) | instskip(NEXT) | instid1(VALU_DEP_1)
	v_add_f32_e32 v8, v15, v8
	v_add_f32_e32 v6, v6, v8
	s_delay_alu instid0(VALU_DEP_1) | instskip(NEXT) | instid1(VALU_DEP_1)
	v_add_f32_e32 v6, v7, v6
	v_add_f32_e32 v4, v4, v6
	s_delay_alu instid0(VALU_DEP_1) | instskip(NEXT) | instid1(VALU_DEP_1)
	;; [unrolled: 3-line block ×14, first 2 shown]
	v_add_f32_e32 v97, v115, v0
	v_fmac_f32_e32 v97, v230, v18
	s_wait_alu 0xfffe
	s_cbranch_vccz .LBB25_1074
; %bb.1072:                             ;   in Loop: Header=BB25_943 Depth=1
	s_delay_alu instid0(VALU_DEP_1)
	v_mov_b32_e32 v230, v97
	v_mov_b32_e32 v242, v96
	s_branch .LBB25_943
.LBB25_1073:
	v_dual_mov_b32 v63, 0 :: v_dual_mov_b32 v96, 0xfeffffff
	s_delay_alu instid0(VALU_DEP_1) | instskip(SKIP_1) | instid1(VALU_DEP_2)
	v_dual_mov_b32 v55, 0 :: v_dual_mov_b32 v62, v63
	v_dual_mov_b32 v61, v63 :: v_dual_mov_b32 v60, v63
	;; [unrolled: 1-line block ×15, first 2 shown]
	v_mov_b32_e32 v32, v55
	s_branch .LBB25_1075
.LBB25_1074:
	v_dual_mov_b32 v0, s34 :: v_dual_mov_b32 v1, s35
.LBB25_1075:
	s_clause 0x4
	scratch_load_b64 v[2:3], off, off offset:20 th:TH_LOAD_LU
	scratch_load_b64 v[6:7], off, off offset:28 th:TH_LOAD_LU
	;; [unrolled: 1-line block ×4, first 2 shown]
	scratch_load_b32 v98, off, off offset:176 th:TH_LOAD_LU
	s_lshl_b32 s0, s51, 6
	v_lshlrev_b64_e32 v[10:11], 1, v[187:188]
	s_wait_alu 0xfffe
	s_ashr_i32 s1, s0, 31
	v_mul_lo_u32 v1, s0, v1
	s_wait_alu 0xfffe
	s_lshl_b64 s[2:3], s[0:1], 1
	v_mul_lo_u32 v20, s1, v0
	s_wait_alu 0xfffe
	s_add_nc_u64 s[2:3], s[12:13], s[2:3]
	v_mul_hi_u32 v21, s0, v0
	v_mul_lo_u32 v0, s0, v0
	v_lshlrev_b64_e32 v[12:13], 1, v[193:194]
	v_lshlrev_b64_e32 v[14:15], 1, v[189:190]
	;; [unrolled: 1-line block ×4, first 2 shown]
	v_add_nc_u32_e32 v1, v1, v20
	v_lshlrev_b32_e32 v108, 2, v177
	s_delay_alu instid0(VALU_DEP_2) | instskip(NEXT) | instid1(VALU_DEP_1)
	v_add_nc_u32_e32 v1, v1, v21
	v_lshlrev_b64_e32 v[0:1], 2, v[0:1]
	s_wait_loadcnt 0x4
	v_lshlrev_b64_e32 v[2:3], 1, v[2:3]
	s_wait_loadcnt 0x3
	v_lshlrev_b64_e32 v[6:7], 1, v[6:7]
	s_wait_loadcnt 0x2
	v_lshlrev_b64_e32 v[8:9], 1, v[8:9]
	s_wait_loadcnt 0x1
	v_lshlrev_b64_e32 v[4:5], 1, v[4:5]
	s_wait_loadcnt 0x0
	s_wait_alu 0xfffe
	v_add_co_u32 v18, s2, s2, v98
	s_wait_alu 0xf1ff
	v_add_co_ci_u32_e64 v19, null, s3, 0, s2
	v_add_nc_u32_e32 v98, 0, v98
	s_delay_alu instid0(VALU_DEP_3) | instskip(SKIP_1) | instid1(VALU_DEP_3)
	v_add_co_u32 v2, vcc_lo, v18, v2
	s_wait_alu 0xfffd
	v_add_co_ci_u32_e64 v3, null, v19, v3, vcc_lo
	v_add_co_u32 v4, vcc_lo, v18, v4
	s_wait_alu 0xfffd
	v_add_co_ci_u32_e64 v5, null, v19, v5, vcc_lo
	;; [unrolled: 3-line block ×8, first 2 shown]
	s_clause 0x7
	global_load_b32 v100, v[2:3], off
	global_load_b32 v101, v[4:5], off
	;; [unrolled: 1-line block ×8, first 2 shown]
	v_lshlrev_b64_e32 v[2:3], 2, v[191:192]
	v_add_co_u32 v10, vcc_lo, s10, v0
	s_wait_alu 0xfffd
	v_add_co_ci_u32_e64 v11, null, s11, v1, vcc_lo
	v_lshlrev_b64_e32 v[0:1], 2, v[195:196]
	s_delay_alu instid0(VALU_DEP_3) | instskip(SKIP_1) | instid1(VALU_DEP_3)
	v_add_co_u32 v2, vcc_lo, v10, v2
	s_wait_alu 0xfffd
	v_add_co_ci_u32_e64 v3, null, v11, v3, vcc_lo
	s_delay_alu instid0(VALU_DEP_2) | instskip(SKIP_1) | instid1(VALU_DEP_2)
	v_add_co_u32 v2, vcc_lo, v2, v178
	s_wait_alu 0xfffd
	v_add_co_ci_u32_e64 v3, null, v3, v179, vcc_lo
	v_add_co_u32 v4, vcc_lo, v10, v0
	s_wait_alu 0xfffd
	v_add_co_ci_u32_e64 v5, null, v11, v1, vcc_lo
	v_lshlrev_b64_e32 v[0:1], 2, v[199:200]
	s_delay_alu instid0(VALU_DEP_3) | instskip(SKIP_1) | instid1(VALU_DEP_3)
	v_add_co_u32 v4, vcc_lo, v4, v178
	s_wait_alu 0xfffd
	v_add_co_ci_u32_e64 v5, null, v5, v179, vcc_lo
	s_delay_alu instid0(VALU_DEP_3) | instskip(SKIP_3) | instid1(VALU_DEP_3)
	v_add_co_u32 v6, vcc_lo, v10, v0
	s_wait_alu 0xfffd
	v_add_co_ci_u32_e64 v7, null, v11, v1, vcc_lo
	v_lshlrev_b64_e32 v[0:1], 2, v[201:202]
	v_add_co_u32 v8, vcc_lo, v6, v178
	s_wait_alu 0xfffd
	s_delay_alu instid0(VALU_DEP_3) | instskip(NEXT) | instid1(VALU_DEP_3)
	v_add_co_ci_u32_e64 v9, null, v7, v179, vcc_lo
	v_add_co_u32 v6, vcc_lo, v10, v0
	s_wait_alu 0xfffd
	v_add_co_ci_u32_e64 v7, null, v11, v1, vcc_lo
	v_lshlrev_b64_e32 v[0:1], 2, v[203:204]
	s_delay_alu instid0(VALU_DEP_3) | instskip(SKIP_1) | instid1(VALU_DEP_3)
	v_add_co_u32 v12, vcc_lo, v6, v178
	s_wait_alu 0xfffd
	v_add_co_ci_u32_e64 v13, null, v7, v179, vcc_lo
	s_delay_alu instid0(VALU_DEP_3) | instskip(SKIP_3) | instid1(VALU_DEP_3)
	v_add_co_u32 v6, vcc_lo, v10, v0
	s_wait_alu 0xfffd
	v_add_co_ci_u32_e64 v7, null, v11, v1, vcc_lo
	v_lshlrev_b64_e32 v[0:1], 2, v[205:206]
	v_add_co_u32 v16, vcc_lo, v6, v178
	s_wait_alu 0xfffd
	s_delay_alu instid0(VALU_DEP_3) | instskip(NEXT) | instid1(VALU_DEP_3)
	v_add_co_ci_u32_e64 v17, null, v7, v179, vcc_lo
	v_add_co_u32 v6, vcc_lo, v10, v0
	s_wait_alu 0xfffd
	v_add_co_ci_u32_e64 v7, null, v11, v1, vcc_lo
	v_lshlrev_b64_e32 v[0:1], 2, v[207:208]
	s_delay_alu instid0(VALU_DEP_3) | instskip(SKIP_1) | instid1(VALU_DEP_3)
	v_add_co_u32 v20, vcc_lo, v6, v178
	s_wait_alu 0xfffd
	v_add_co_ci_u32_e64 v21, null, v7, v179, vcc_lo
	v_lshlrev_b64_e32 v[6:7], 2, v[209:210]
	s_delay_alu instid0(VALU_DEP_4) | instskip(SKIP_2) | instid1(VALU_DEP_3)
	v_add_co_u32 v0, vcc_lo, v10, v0
	s_wait_alu 0xfffd
	v_add_co_ci_u32_e64 v1, null, v11, v1, vcc_lo
	v_add_co_u32 v6, vcc_lo, v10, v6
	s_wait_alu 0xfffd
	v_add_co_ci_u32_e64 v7, null, v11, v7, vcc_lo
	;; [unrolled: 3-line block ×4, first 2 shown]
	s_clause 0x7
	global_load_b128 v[0:3], v[2:3], off
	global_load_b128 v[4:7], v[4:5], off
	;; [unrolled: 1-line block ×8, first 2 shown]
	s_clause 0x2
	scratch_load_b32 v99, off, off offset:132 th:TH_LOAD_LU
	scratch_load_b32 v109, off, off offset:136 th:TH_LOAD_LU
	;; [unrolled: 1-line block ×3, first 2 shown]
	s_wait_loadcnt 0x1
	v_add3_u32 v196, 0, v99, v109
	scratch_load_b32 v99, off, off th:TH_LOAD_LU ; 4-byte Folded Reload
	s_wait_loadcnt 0x1
	v_add3_u32 v176, 0, v117, v108
	scratch_load_b32 v117, off, off offset:180 th:TH_LOAD_LU ; 4-byte Folded Reload
	s_wait_loadcnt 0x1
	v_add_nc_u32_e32 v109, v98, v99
	scratch_load_b32 v99, off, off offset:140 th:TH_LOAD_LU ; 4-byte Folded Reload
	s_wait_loadcnt 0x1
	v_add3_u32 v177, 0, v117, v108
	scratch_load_b32 v117, off, off offset:184 th:TH_LOAD_LU ; 4-byte Folded Reload
	s_wait_loadcnt 0x1
	v_add_nc_u32_e32 v110, v98, v99
	scratch_load_b32 v99, off, off offset:144 th:TH_LOAD_LU ; 4-byte Folded Reload
	;; [unrolled: 6-line block ×5, first 2 shown]
	s_wait_loadcnt 0x1
	v_add3_u32 v187, 0, v117, v108
	s_wait_loadcnt 0x0
	v_add_nc_u32_e32 v114, v98, v99
	scratch_load_b32 v99, off, off offset:156 th:TH_LOAD_LU ; 4-byte Folded Reload
	s_wait_loadcnt 0x0
	v_add_nc_u32_e32 v115, v98, v99
	scratch_load_b32 v99, off, off offset:164 th:TH_LOAD_LU ; 4-byte Folded Reload
	s_wait_loadcnt 0x0
	v_add_nc_u32_e32 v116, v98, v99
	s_clause 0x1
	scratch_load_b32 v98, off, off offset:160 th:TH_LOAD_LU
	scratch_load_b32 v99, off, off offset:168 th:TH_LOAD_LU
	s_wait_loadcnt 0x1
	v_add3_u32 v98, 0, v98, v108
	s_wait_loadcnt 0x0
	v_add3_u32 v99, 0, v99, v108
	ds_store_b32 v109, v100 offset:17408
	ds_store_b32 v110, v101 offset:17408
	;; [unrolled: 1-line block ×8, first 2 shown]
	ds_store_b128 v98, v[0:3]
	ds_store_b128 v99, v[4:7]
	;; [unrolled: 1-line block ×8, first 2 shown]
	s_wait_storecnt_dscnt 0x0
	s_barrier_signal -1
	s_barrier_wait -1
	global_inv scope:SCOPE_SE
	ds_load_b128 v[8:11], v196
	ds_load_b128 v[12:15], v196 offset:32
	ds_load_b128 v[24:27], v196 offset:64
	;; [unrolled: 1-line block ×21, first 2 shown]
	s_wait_dscnt 0x15
	v_wmma_f32_16x16x16_f16 v[0:7], v[8:11], v[92:95], 0
	s_wait_dscnt 0x14
	s_delay_alu instid0(VALU_DEP_1) | instskip(SKIP_1) | instid1(VALU_DEP_1)
	v_wmma_f32_16x16x16_f16 v[0:7], v[12:15], v[88:91], v[0:7]
	s_wait_dscnt 0x13
	v_wmma_f32_16x16x16_f16 v[0:7], v[24:27], v[84:87], v[0:7]
	s_wait_dscnt 0x12
	s_delay_alu instid0(VALU_DEP_1)
	v_wmma_f32_16x16x16_f16 v[0:7], v[28:31], v[80:83], v[0:7]
	ds_load_b128 v[28:31], v196 offset:8896
	ds_load_b128 v[24:27], v196 offset:8928
	;; [unrolled: 1-line block ×8, first 2 shown]
	s_wait_dscnt 0x19
	v_wmma_f32_16x16x16_f16 v[0:7], v[100:103], v[76:79], v[0:7]
	s_wait_dscnt 0x18
	s_delay_alu instid0(VALU_DEP_1)
	v_wmma_f32_16x16x16_f16 v[0:7], v[180:183], v[72:75], v[0:7]
	ds_load_b128 v[100:103], v196 offset:13248
	ds_load_b128 v[180:183], v196 offset:13280
	s_wait_loadcnt_dscnt 0x0
	s_barrier_signal -1
	s_barrier_wait -1
	global_inv scope:SCOPE_SE
	v_wmma_f32_16x16x16_f16 v[0:7], v[188:191], v[68:71], v[0:7]
                                        ; implicit-def: $vgpr188
	s_delay_alu instid0(VALU_DEP_1) | instskip(NEXT) | instid1(VALU_DEP_1)
	v_wmma_f32_16x16x16_f16 v[0:7], v[192:195], v[64:67], v[0:7]
	v_cmp_ngt_f32_e64 s2, 0x3f200000, |v0|
	s_and_saveexec_b32 s3, s2
	s_wait_alu 0xfffe
	s_xor_b32 s2, exec_lo, s3
	s_cbranch_execz .LBB25_1077
; %bb.1076:
	v_add_f32_e64 v8, |v0|, |v0|
	s_delay_alu instid0(VALU_DEP_1) | instskip(SKIP_1) | instid1(VALU_DEP_2)
	v_mul_f32_e32 v9, 0x3fb8aa3b, v8
	v_cmp_ngt_f32_e32 vcc_lo, 0xc2ce8ed0, v8
	v_rndne_f32_e32 v10, v9
	v_fma_f32 v11, 0x3fb8aa3b, v8, -v9
	s_delay_alu instid0(VALU_DEP_2) | instskip(NEXT) | instid1(VALU_DEP_2)
	v_sub_f32_e32 v9, v9, v10
	v_fmamk_f32 v11, v8, 0x32a5705f, v11
	v_cvt_i32_f32_e32 v10, v10
	s_delay_alu instid0(VALU_DEP_2) | instskip(NEXT) | instid1(VALU_DEP_1)
	v_add_f32_e32 v9, v9, v11
	v_exp_f32_e32 v9, v9
	s_delay_alu instid0(TRANS32_DEP_1) | instskip(SKIP_1) | instid1(VALU_DEP_1)
	v_ldexp_f32 v9, v9, v10
	s_wait_alu 0xfffd
	v_cndmask_b32_e32 v9, 0, v9, vcc_lo
	v_cmp_nlt_f32_e32 vcc_lo, 0x42b17218, v8
	s_wait_alu 0xfffd
	s_delay_alu instid0(VALU_DEP_2) | instskip(NEXT) | instid1(VALU_DEP_1)
	v_cndmask_b32_e32 v8, 0x7f800000, v9, vcc_lo
	v_add_f32_e32 v8, 1.0, v8
	s_delay_alu instid0(VALU_DEP_1) | instskip(NEXT) | instid1(TRANS32_DEP_1)
	v_rcp_f32_e32 v8, v8
	v_fma_f32 v188, v8, -2.0, 1.0
.LBB25_1077:
	s_wait_alu 0xfffe
	s_or_saveexec_b32 s2, s2
	s_clause 0x1
	scratch_load_b32 v8, off, off offset:80
	scratch_load_b32 v200, off, off offset:632
	s_wait_loadcnt 0x1
	v_add_nc_u32_e32 v192, 60, v8
	v_add_nc_u32_e32 v193, 56, v8
	;; [unrolled: 1-line block ×8, first 2 shown]
	s_wait_alu 0xfffe
	s_xor_b32 exec_lo, exec_lo, s2
	s_cbranch_execz .LBB25_1079
; %bb.1078:
	v_mul_f32_e32 v8, v0, v0
	s_mov_b32 s3, 0xbbbac73d
	s_wait_alu 0xfffe
	s_delay_alu instid0(VALU_DEP_1) | instskip(NEXT) | instid1(VALU_DEP_1)
	v_fmaak_f32 v9, s3, v8, 0x3ca908c9
	v_fmaak_f32 v9, v8, v9, 0xbd5c1c4e
	s_delay_alu instid0(VALU_DEP_1) | instskip(NEXT) | instid1(VALU_DEP_1)
	v_fmaak_f32 v9, v8, v9, 0x3e088382
	v_fmaak_f32 v9, v8, v9, 0xbeaaaa99
	s_delay_alu instid0(VALU_DEP_1) | instskip(NEXT) | instid1(VALU_DEP_1)
	v_mul_f32_e64 v9, |v0|, v9
	v_fma_f32 v188, v8, v9, |v0|
.LBB25_1079:
	s_or_b32 exec_lo, exec_lo, s2
	v_cmp_ngt_f32_e64 s2, 0x3f200000, |v1|
                                        ; implicit-def: $vgpr189
	s_and_saveexec_b32 s3, s2
	s_wait_alu 0xfffe
	s_xor_b32 s2, exec_lo, s3
	s_cbranch_execz .LBB25_1081
; %bb.1080:
	v_add_f32_e64 v8, |v1|, |v1|
	s_delay_alu instid0(VALU_DEP_1) | instskip(SKIP_1) | instid1(VALU_DEP_2)
	v_mul_f32_e32 v9, 0x3fb8aa3b, v8
	v_cmp_ngt_f32_e32 vcc_lo, 0xc2ce8ed0, v8
	v_rndne_f32_e32 v10, v9
	v_fma_f32 v11, 0x3fb8aa3b, v8, -v9
	s_delay_alu instid0(VALU_DEP_2) | instskip(NEXT) | instid1(VALU_DEP_2)
	v_sub_f32_e32 v9, v9, v10
	v_fmamk_f32 v11, v8, 0x32a5705f, v11
	v_cvt_i32_f32_e32 v10, v10
	s_delay_alu instid0(VALU_DEP_2) | instskip(NEXT) | instid1(VALU_DEP_1)
	v_add_f32_e32 v9, v9, v11
	v_exp_f32_e32 v9, v9
	s_delay_alu instid0(TRANS32_DEP_1) | instskip(SKIP_1) | instid1(VALU_DEP_1)
	v_ldexp_f32 v9, v9, v10
	s_wait_alu 0xfffd
	v_cndmask_b32_e32 v9, 0, v9, vcc_lo
	v_cmp_nlt_f32_e32 vcc_lo, 0x42b17218, v8
	s_wait_alu 0xfffd
	s_delay_alu instid0(VALU_DEP_2) | instskip(NEXT) | instid1(VALU_DEP_1)
	v_cndmask_b32_e32 v8, 0x7f800000, v9, vcc_lo
	v_add_f32_e32 v8, 1.0, v8
	s_delay_alu instid0(VALU_DEP_1) | instskip(NEXT) | instid1(TRANS32_DEP_1)
	v_rcp_f32_e32 v8, v8
	v_fma_f32 v189, v8, -2.0, 1.0
.LBB25_1081:
	s_wait_alu 0xfffe
	s_and_not1_saveexec_b32 s2, s2
	s_cbranch_execz .LBB25_1083
; %bb.1082:
	v_mul_f32_e32 v8, v1, v1
	s_mov_b32 s3, 0xbbbac73d
	s_wait_alu 0xfffe
	s_delay_alu instid0(VALU_DEP_1) | instskip(NEXT) | instid1(VALU_DEP_1)
	v_fmaak_f32 v9, s3, v8, 0x3ca908c9
	v_fmaak_f32 v9, v8, v9, 0xbd5c1c4e
	s_delay_alu instid0(VALU_DEP_1) | instskip(NEXT) | instid1(VALU_DEP_1)
	v_fmaak_f32 v9, v8, v9, 0x3e088382
	v_fmaak_f32 v9, v8, v9, 0xbeaaaa99
	s_delay_alu instid0(VALU_DEP_1) | instskip(NEXT) | instid1(VALU_DEP_1)
	v_mul_f32_e64 v9, |v1|, v9
	v_fma_f32 v189, v8, v9, |v1|
.LBB25_1083:
	s_wait_alu 0xfffe
	s_or_b32 exec_lo, exec_lo, s2
	v_cmp_ngt_f32_e64 s2, 0x3f200000, |v2|
                                        ; implicit-def: $vgpr190
	s_and_saveexec_b32 s3, s2
	s_wait_alu 0xfffe
	s_xor_b32 s2, exec_lo, s3
	s_cbranch_execz .LBB25_1085
; %bb.1084:
	v_add_f32_e64 v8, |v2|, |v2|
	s_delay_alu instid0(VALU_DEP_1) | instskip(SKIP_1) | instid1(VALU_DEP_2)
	v_mul_f32_e32 v9, 0x3fb8aa3b, v8
	v_cmp_ngt_f32_e32 vcc_lo, 0xc2ce8ed0, v8
	v_rndne_f32_e32 v10, v9
	v_fma_f32 v11, 0x3fb8aa3b, v8, -v9
	s_delay_alu instid0(VALU_DEP_2) | instskip(NEXT) | instid1(VALU_DEP_2)
	v_sub_f32_e32 v9, v9, v10
	v_fmamk_f32 v11, v8, 0x32a5705f, v11
	v_cvt_i32_f32_e32 v10, v10
	s_delay_alu instid0(VALU_DEP_2) | instskip(NEXT) | instid1(VALU_DEP_1)
	v_add_f32_e32 v9, v9, v11
	v_exp_f32_e32 v9, v9
	s_delay_alu instid0(TRANS32_DEP_1) | instskip(SKIP_1) | instid1(VALU_DEP_1)
	v_ldexp_f32 v9, v9, v10
	s_wait_alu 0xfffd
	v_cndmask_b32_e32 v9, 0, v9, vcc_lo
	v_cmp_nlt_f32_e32 vcc_lo, 0x42b17218, v8
	s_wait_alu 0xfffd
	s_delay_alu instid0(VALU_DEP_2) | instskip(NEXT) | instid1(VALU_DEP_1)
	v_cndmask_b32_e32 v8, 0x7f800000, v9, vcc_lo
	v_add_f32_e32 v8, 1.0, v8
	s_delay_alu instid0(VALU_DEP_1) | instskip(NEXT) | instid1(TRANS32_DEP_1)
	v_rcp_f32_e32 v8, v8
	v_fma_f32 v190, v8, -2.0, 1.0
.LBB25_1085:
	s_wait_alu 0xfffe
	s_and_not1_saveexec_b32 s2, s2
	s_cbranch_execz .LBB25_1087
; %bb.1086:
	v_mul_f32_e32 v8, v2, v2
	s_mov_b32 s3, 0xbbbac73d
	s_wait_alu 0xfffe
	s_delay_alu instid0(VALU_DEP_1) | instskip(NEXT) | instid1(VALU_DEP_1)
	v_fmaak_f32 v9, s3, v8, 0x3ca908c9
	v_fmaak_f32 v9, v8, v9, 0xbd5c1c4e
	s_delay_alu instid0(VALU_DEP_1) | instskip(NEXT) | instid1(VALU_DEP_1)
	v_fmaak_f32 v9, v8, v9, 0x3e088382
	v_fmaak_f32 v9, v8, v9, 0xbeaaaa99
	s_delay_alu instid0(VALU_DEP_1) | instskip(NEXT) | instid1(VALU_DEP_1)
	v_mul_f32_e64 v9, |v2|, v9
	v_fma_f32 v190, v8, v9, |v2|
.LBB25_1087:
	s_wait_alu 0xfffe
	s_or_b32 exec_lo, exec_lo, s2
	v_cmp_ngt_f32_e64 s2, 0x3f200000, |v3|
                                        ; implicit-def: $vgpr191
	s_and_saveexec_b32 s3, s2
	s_wait_alu 0xfffe
	s_xor_b32 s2, exec_lo, s3
	s_cbranch_execz .LBB25_1089
; %bb.1088:
	v_add_f32_e64 v8, |v3|, |v3|
	s_delay_alu instid0(VALU_DEP_1) | instskip(SKIP_1) | instid1(VALU_DEP_2)
	v_mul_f32_e32 v9, 0x3fb8aa3b, v8
	v_cmp_ngt_f32_e32 vcc_lo, 0xc2ce8ed0, v8
	v_rndne_f32_e32 v10, v9
	v_fma_f32 v11, 0x3fb8aa3b, v8, -v9
	s_delay_alu instid0(VALU_DEP_2) | instskip(NEXT) | instid1(VALU_DEP_2)
	v_sub_f32_e32 v9, v9, v10
	v_fmamk_f32 v11, v8, 0x32a5705f, v11
	v_cvt_i32_f32_e32 v10, v10
	s_delay_alu instid0(VALU_DEP_2) | instskip(NEXT) | instid1(VALU_DEP_1)
	v_add_f32_e32 v9, v9, v11
	v_exp_f32_e32 v9, v9
	s_delay_alu instid0(TRANS32_DEP_1) | instskip(SKIP_1) | instid1(VALU_DEP_1)
	v_ldexp_f32 v9, v9, v10
	s_wait_alu 0xfffd
	v_cndmask_b32_e32 v9, 0, v9, vcc_lo
	v_cmp_nlt_f32_e32 vcc_lo, 0x42b17218, v8
	s_wait_alu 0xfffd
	s_delay_alu instid0(VALU_DEP_2) | instskip(NEXT) | instid1(VALU_DEP_1)
	v_cndmask_b32_e32 v8, 0x7f800000, v9, vcc_lo
	v_add_f32_e32 v8, 1.0, v8
	s_delay_alu instid0(VALU_DEP_1) | instskip(NEXT) | instid1(TRANS32_DEP_1)
	v_rcp_f32_e32 v8, v8
	v_fma_f32 v191, v8, -2.0, 1.0
.LBB25_1089:
	s_wait_alu 0xfffe
	s_and_not1_saveexec_b32 s2, s2
	s_cbranch_execz .LBB25_1091
; %bb.1090:
	v_mul_f32_e32 v8, v3, v3
	s_mov_b32 s3, 0xbbbac73d
	s_wait_alu 0xfffe
	s_delay_alu instid0(VALU_DEP_1) | instskip(NEXT) | instid1(VALU_DEP_1)
	v_fmaak_f32 v9, s3, v8, 0x3ca908c9
	v_fmaak_f32 v9, v8, v9, 0xbd5c1c4e
	s_delay_alu instid0(VALU_DEP_1) | instskip(NEXT) | instid1(VALU_DEP_1)
	v_fmaak_f32 v9, v8, v9, 0x3e088382
	v_fmaak_f32 v9, v8, v9, 0xbeaaaa99
	s_delay_alu instid0(VALU_DEP_1) | instskip(NEXT) | instid1(VALU_DEP_1)
	v_mul_f32_e64 v9, |v3|, v9
	v_fma_f32 v191, v8, v9, |v3|
.LBB25_1091:
	s_wait_alu 0xfffe
	s_or_b32 exec_lo, exec_lo, s2
	v_wmma_f32_16x16x16_f16 v[8:15], v[172:175], v[92:95], 0
	v_cmp_ngt_f32_e64 s2, 0x3f200000, |v4|
                                        ; implicit-def: $vgpr172
	s_and_saveexec_b32 s3, s2
	s_wait_alu 0xfffe
	s_xor_b32 s2, exec_lo, s3
	s_cbranch_execz .LBB25_1093
; %bb.1092:
	v_add_f32_e64 v172, |v4|, |v4|
	s_delay_alu instid0(VALU_DEP_1) | instskip(SKIP_1) | instid1(VALU_DEP_2)
	v_mul_f32_e32 v173, 0x3fb8aa3b, v172
	v_cmp_ngt_f32_e32 vcc_lo, 0xc2ce8ed0, v172
	v_rndne_f32_e32 v174, v173
	v_fma_f32 v175, 0x3fb8aa3b, v172, -v173
	s_delay_alu instid0(VALU_DEP_2) | instskip(NEXT) | instid1(VALU_DEP_2)
	v_sub_f32_e32 v173, v173, v174
	v_fmamk_f32 v175, v172, 0x32a5705f, v175
	v_cvt_i32_f32_e32 v174, v174
	s_delay_alu instid0(VALU_DEP_2) | instskip(NEXT) | instid1(VALU_DEP_1)
	v_add_f32_e32 v173, v173, v175
	v_exp_f32_e32 v173, v173
	s_delay_alu instid0(TRANS32_DEP_1) | instskip(SKIP_1) | instid1(VALU_DEP_1)
	v_ldexp_f32 v173, v173, v174
	s_wait_alu 0xfffd
	v_cndmask_b32_e32 v173, 0, v173, vcc_lo
	v_cmp_nlt_f32_e32 vcc_lo, 0x42b17218, v172
	s_wait_alu 0xfffd
	s_delay_alu instid0(VALU_DEP_2) | instskip(NEXT) | instid1(VALU_DEP_1)
	v_cndmask_b32_e32 v172, 0x7f800000, v173, vcc_lo
	v_add_f32_e32 v172, 1.0, v172
	s_delay_alu instid0(VALU_DEP_1) | instskip(NEXT) | instid1(TRANS32_DEP_1)
	v_rcp_f32_e32 v172, v172
	v_fma_f32 v172, v172, -2.0, 1.0
.LBB25_1093:
	s_wait_alu 0xfffe
	s_or_saveexec_b32 s2, s2
	v_wmma_f32_16x16x16_f16 v[8:15], v[168:171], v[88:91], v[8:15]
	s_wait_alu 0xfffe
	s_xor_b32 exec_lo, exec_lo, s2
	s_cbranch_execz .LBB25_1095
; %bb.1094:
	v_mul_f32_e32 v168, v4, v4
	s_mov_b32 s3, 0xbbbac73d
	s_wait_alu 0xfffe
	s_delay_alu instid0(VALU_DEP_1) | instskip(NEXT) | instid1(VALU_DEP_1)
	v_fmaak_f32 v169, s3, v168, 0x3ca908c9
	v_fmaak_f32 v169, v168, v169, 0xbd5c1c4e
	s_delay_alu instid0(VALU_DEP_1) | instskip(NEXT) | instid1(VALU_DEP_1)
	v_fmaak_f32 v169, v168, v169, 0x3e088382
	v_fmaak_f32 v169, v168, v169, 0xbeaaaa99
	s_delay_alu instid0(VALU_DEP_1) | instskip(NEXT) | instid1(VALU_DEP_1)
	v_mul_f32_e64 v169, |v4|, v169
	v_fma_f32 v172, v168, v169, |v4|
.LBB25_1095:
	s_or_b32 exec_lo, exec_lo, s2
	v_wmma_f32_16x16x16_f16 v[8:15], v[164:167], v[84:87], v[8:15]
	v_cmp_ngt_f32_e64 s2, 0x3f200000, |v5|
                                        ; implicit-def: $vgpr164
	s_and_saveexec_b32 s3, s2
	s_wait_alu 0xfffe
	s_xor_b32 s2, exec_lo, s3
	s_cbranch_execz .LBB25_1097
; %bb.1096:
	v_add_f32_e64 v164, |v5|, |v5|
	s_delay_alu instid0(VALU_DEP_1) | instskip(SKIP_1) | instid1(VALU_DEP_2)
	v_mul_f32_e32 v165, 0x3fb8aa3b, v164
	v_cmp_ngt_f32_e32 vcc_lo, 0xc2ce8ed0, v164
	v_rndne_f32_e32 v166, v165
	v_fma_f32 v167, 0x3fb8aa3b, v164, -v165
	s_delay_alu instid0(VALU_DEP_2) | instskip(NEXT) | instid1(VALU_DEP_2)
	v_sub_f32_e32 v165, v165, v166
	v_fmamk_f32 v167, v164, 0x32a5705f, v167
	v_cvt_i32_f32_e32 v166, v166
	s_delay_alu instid0(VALU_DEP_2) | instskip(NEXT) | instid1(VALU_DEP_1)
	v_add_f32_e32 v165, v165, v167
	v_exp_f32_e32 v165, v165
	s_delay_alu instid0(TRANS32_DEP_1) | instskip(SKIP_1) | instid1(VALU_DEP_1)
	v_ldexp_f32 v165, v165, v166
	s_wait_alu 0xfffd
	v_cndmask_b32_e32 v165, 0, v165, vcc_lo
	v_cmp_nlt_f32_e32 vcc_lo, 0x42b17218, v164
	s_wait_alu 0xfffd
	s_delay_alu instid0(VALU_DEP_2) | instskip(NEXT) | instid1(VALU_DEP_1)
	v_cndmask_b32_e32 v164, 0x7f800000, v165, vcc_lo
	v_add_f32_e32 v164, 1.0, v164
	s_delay_alu instid0(VALU_DEP_1) | instskip(NEXT) | instid1(TRANS32_DEP_1)
	v_rcp_f32_e32 v164, v164
	v_fma_f32 v164, v164, -2.0, 1.0
.LBB25_1097:
	s_wait_alu 0xfffe
	s_or_saveexec_b32 s2, s2
	v_wmma_f32_16x16x16_f16 v[8:15], v[160:163], v[80:83], v[8:15]
	s_wait_alu 0xfffe
	s_xor_b32 exec_lo, exec_lo, s2
	s_cbranch_execz .LBB25_1099
; %bb.1098:
	v_mul_f32_e32 v160, v5, v5
	s_mov_b32 s3, 0xbbbac73d
	s_wait_alu 0xfffe
	s_delay_alu instid0(VALU_DEP_1) | instskip(NEXT) | instid1(VALU_DEP_1)
	v_fmaak_f32 v161, s3, v160, 0x3ca908c9
	v_fmaak_f32 v161, v160, v161, 0xbd5c1c4e
	s_delay_alu instid0(VALU_DEP_1) | instskip(NEXT) | instid1(VALU_DEP_1)
	v_fmaak_f32 v161, v160, v161, 0x3e088382
	v_fmaak_f32 v161, v160, v161, 0xbeaaaa99
	s_delay_alu instid0(VALU_DEP_1) | instskip(NEXT) | instid1(VALU_DEP_1)
	v_mul_f32_e64 v161, |v5|, v161
	v_fma_f32 v164, v160, v161, |v5|
.LBB25_1099:
	s_or_b32 exec_lo, exec_lo, s2
	v_wmma_f32_16x16x16_f16 v[8:15], v[156:159], v[76:79], v[8:15]
	v_cmp_ngt_f32_e64 s2, 0x3f200000, |v6|
                                        ; implicit-def: $vgpr156
	s_and_saveexec_b32 s3, s2
	s_wait_alu 0xfffe
	s_xor_b32 s2, exec_lo, s3
	s_cbranch_execz .LBB25_1101
; %bb.1100:
	v_add_f32_e64 v156, |v6|, |v6|
	s_delay_alu instid0(VALU_DEP_1) | instskip(SKIP_1) | instid1(VALU_DEP_2)
	v_mul_f32_e32 v157, 0x3fb8aa3b, v156
	v_cmp_ngt_f32_e32 vcc_lo, 0xc2ce8ed0, v156
	v_rndne_f32_e32 v158, v157
	v_fma_f32 v159, 0x3fb8aa3b, v156, -v157
	s_delay_alu instid0(VALU_DEP_2) | instskip(NEXT) | instid1(VALU_DEP_2)
	v_sub_f32_e32 v157, v157, v158
	v_fmamk_f32 v159, v156, 0x32a5705f, v159
	v_cvt_i32_f32_e32 v158, v158
	s_delay_alu instid0(VALU_DEP_2) | instskip(NEXT) | instid1(VALU_DEP_1)
	v_add_f32_e32 v157, v157, v159
	v_exp_f32_e32 v157, v157
	s_delay_alu instid0(TRANS32_DEP_1) | instskip(SKIP_1) | instid1(VALU_DEP_1)
	v_ldexp_f32 v157, v157, v158
	s_wait_alu 0xfffd
	v_cndmask_b32_e32 v157, 0, v157, vcc_lo
	v_cmp_nlt_f32_e32 vcc_lo, 0x42b17218, v156
	s_wait_alu 0xfffd
	s_delay_alu instid0(VALU_DEP_2) | instskip(NEXT) | instid1(VALU_DEP_1)
	v_cndmask_b32_e32 v156, 0x7f800000, v157, vcc_lo
	v_add_f32_e32 v156, 1.0, v156
	s_delay_alu instid0(VALU_DEP_1) | instskip(NEXT) | instid1(TRANS32_DEP_1)
	v_rcp_f32_e32 v156, v156
	v_fma_f32 v156, v156, -2.0, 1.0
.LBB25_1101:
	s_wait_alu 0xfffe
	s_or_saveexec_b32 s2, s2
	v_wmma_f32_16x16x16_f16 v[8:15], v[152:155], v[72:75], v[8:15]
	s_wait_alu 0xfffe
	s_xor_b32 exec_lo, exec_lo, s2
	s_cbranch_execz .LBB25_1103
; %bb.1102:
	v_mul_f32_e32 v152, v6, v6
	s_mov_b32 s3, 0xbbbac73d
	s_wait_alu 0xfffe
	s_delay_alu instid0(VALU_DEP_1) | instskip(NEXT) | instid1(VALU_DEP_1)
	v_fmaak_f32 v153, s3, v152, 0x3ca908c9
	v_fmaak_f32 v153, v152, v153, 0xbd5c1c4e
	s_delay_alu instid0(VALU_DEP_1) | instskip(NEXT) | instid1(VALU_DEP_1)
	v_fmaak_f32 v153, v152, v153, 0x3e088382
	v_fmaak_f32 v153, v152, v153, 0xbeaaaa99
	s_delay_alu instid0(VALU_DEP_1) | instskip(NEXT) | instid1(VALU_DEP_1)
	v_mul_f32_e64 v153, |v6|, v153
	v_fma_f32 v156, v152, v153, |v6|
.LBB25_1103:
	s_or_b32 exec_lo, exec_lo, s2
	v_wmma_f32_16x16x16_f16 v[8:15], v[20:23], v[68:71], v[8:15]
	v_cmp_ngt_f32_e64 s2, 0x3f200000, |v7|
                                        ; implicit-def: $vgpr152
	s_and_saveexec_b32 s3, s2
	s_wait_alu 0xfffe
	s_xor_b32 s2, exec_lo, s3
	s_cbranch_execz .LBB25_1105
; %bb.1104:
	v_add_f32_e64 v20, |v7|, |v7|
	s_delay_alu instid0(VALU_DEP_1) | instskip(SKIP_1) | instid1(VALU_DEP_2)
	v_mul_f32_e32 v21, 0x3fb8aa3b, v20
	v_cmp_ngt_f32_e32 vcc_lo, 0xc2ce8ed0, v20
	v_rndne_f32_e32 v22, v21
	v_fma_f32 v23, 0x3fb8aa3b, v20, -v21
	s_delay_alu instid0(VALU_DEP_2) | instskip(NEXT) | instid1(VALU_DEP_2)
	v_sub_f32_e32 v21, v21, v22
	v_fmamk_f32 v23, v20, 0x32a5705f, v23
	v_cvt_i32_f32_e32 v22, v22
	s_delay_alu instid0(VALU_DEP_2) | instskip(NEXT) | instid1(VALU_DEP_1)
	v_add_f32_e32 v21, v21, v23
	v_exp_f32_e32 v21, v21
	s_delay_alu instid0(TRANS32_DEP_1) | instskip(SKIP_1) | instid1(VALU_DEP_1)
	v_ldexp_f32 v21, v21, v22
	s_wait_alu 0xfffd
	v_cndmask_b32_e32 v21, 0, v21, vcc_lo
	v_cmp_nlt_f32_e32 vcc_lo, 0x42b17218, v20
	s_wait_alu 0xfffd
	s_delay_alu instid0(VALU_DEP_2) | instskip(NEXT) | instid1(VALU_DEP_1)
	v_cndmask_b32_e32 v20, 0x7f800000, v21, vcc_lo
	v_add_f32_e32 v20, 1.0, v20
	s_delay_alu instid0(VALU_DEP_1) | instskip(NEXT) | instid1(TRANS32_DEP_1)
	v_rcp_f32_e32 v20, v20
	v_fma_f32 v152, v20, -2.0, 1.0
.LBB25_1105:
	s_wait_alu 0xfffe
	s_or_saveexec_b32 s2, s2
	v_wmma_f32_16x16x16_f16 v[8:15], v[16:19], v[64:67], v[8:15]
	s_wait_alu 0xfffe
	s_xor_b32 exec_lo, exec_lo, s2
	s_cbranch_execz .LBB25_1107
; %bb.1106:
	v_mul_f32_e32 v16, v7, v7
	s_mov_b32 s3, 0xbbbac73d
	s_wait_alu 0xfffe
	s_delay_alu instid0(VALU_DEP_1) | instskip(NEXT) | instid1(VALU_DEP_1)
	v_fmaak_f32 v17, s3, v16, 0x3ca908c9
	v_fmaak_f32 v17, v16, v17, 0xbd5c1c4e
	s_delay_alu instid0(VALU_DEP_1) | instskip(NEXT) | instid1(VALU_DEP_1)
	v_fmaak_f32 v17, v16, v17, 0x3e088382
	v_fmaak_f32 v17, v16, v17, 0xbeaaaa99
	s_delay_alu instid0(VALU_DEP_1) | instskip(NEXT) | instid1(VALU_DEP_1)
	v_mul_f32_e64 v17, |v7|, v17
	v_fma_f32 v152, v16, v17, |v7|
.LBB25_1107:
	s_or_b32 exec_lo, exec_lo, s2
	v_cmp_ngt_f32_e64 s2, 0x3f200000, |v8|
                                        ; implicit-def: $vgpr153
	s_and_saveexec_b32 s3, s2
	s_wait_alu 0xfffe
	s_xor_b32 s2, exec_lo, s3
	s_cbranch_execz .LBB25_1109
; %bb.1108:
	v_add_f32_e64 v16, |v8|, |v8|
	s_delay_alu instid0(VALU_DEP_1) | instskip(SKIP_1) | instid1(VALU_DEP_2)
	v_mul_f32_e32 v17, 0x3fb8aa3b, v16
	v_cmp_ngt_f32_e32 vcc_lo, 0xc2ce8ed0, v16
	v_rndne_f32_e32 v18, v17
	v_fma_f32 v19, 0x3fb8aa3b, v16, -v17
	s_delay_alu instid0(VALU_DEP_2) | instskip(NEXT) | instid1(VALU_DEP_2)
	v_sub_f32_e32 v17, v17, v18
	v_fmamk_f32 v19, v16, 0x32a5705f, v19
	v_cvt_i32_f32_e32 v18, v18
	s_delay_alu instid0(VALU_DEP_2) | instskip(NEXT) | instid1(VALU_DEP_1)
	v_add_f32_e32 v17, v17, v19
	v_exp_f32_e32 v17, v17
	s_delay_alu instid0(TRANS32_DEP_1) | instskip(SKIP_1) | instid1(VALU_DEP_1)
	v_ldexp_f32 v17, v17, v18
	s_wait_alu 0xfffd
	v_cndmask_b32_e32 v17, 0, v17, vcc_lo
	v_cmp_nlt_f32_e32 vcc_lo, 0x42b17218, v16
	s_wait_alu 0xfffd
	s_delay_alu instid0(VALU_DEP_2) | instskip(NEXT) | instid1(VALU_DEP_1)
	v_cndmask_b32_e32 v16, 0x7f800000, v17, vcc_lo
	v_add_f32_e32 v16, 1.0, v16
	s_delay_alu instid0(VALU_DEP_1) | instskip(NEXT) | instid1(TRANS32_DEP_1)
	v_rcp_f32_e32 v16, v16
	v_fma_f32 v153, v16, -2.0, 1.0
.LBB25_1109:
	s_wait_alu 0xfffe
	s_and_not1_saveexec_b32 s2, s2
	s_cbranch_execz .LBB25_1111
; %bb.1110:
	v_mul_f32_e32 v16, v8, v8
	s_mov_b32 s3, 0xbbbac73d
	s_wait_alu 0xfffe
	s_delay_alu instid0(VALU_DEP_1) | instskip(NEXT) | instid1(VALU_DEP_1)
	v_fmaak_f32 v17, s3, v16, 0x3ca908c9
	v_fmaak_f32 v17, v16, v17, 0xbd5c1c4e
	s_delay_alu instid0(VALU_DEP_1) | instskip(NEXT) | instid1(VALU_DEP_1)
	v_fmaak_f32 v17, v16, v17, 0x3e088382
	v_fmaak_f32 v17, v16, v17, 0xbeaaaa99
	s_delay_alu instid0(VALU_DEP_1) | instskip(NEXT) | instid1(VALU_DEP_1)
	v_mul_f32_e64 v17, |v8|, v17
	v_fma_f32 v153, v16, v17, |v8|
.LBB25_1111:
	s_wait_alu 0xfffe
	s_or_b32 exec_lo, exec_lo, s2
	v_cmp_ngt_f32_e64 s2, 0x3f200000, |v9|
                                        ; implicit-def: $vgpr154
	s_and_saveexec_b32 s3, s2
	s_wait_alu 0xfffe
	s_xor_b32 s2, exec_lo, s3
	s_cbranch_execz .LBB25_1113
; %bb.1112:
	v_add_f32_e64 v16, |v9|, |v9|
	s_delay_alu instid0(VALU_DEP_1) | instskip(SKIP_1) | instid1(VALU_DEP_2)
	v_mul_f32_e32 v17, 0x3fb8aa3b, v16
	v_cmp_ngt_f32_e32 vcc_lo, 0xc2ce8ed0, v16
	v_rndne_f32_e32 v18, v17
	v_fma_f32 v19, 0x3fb8aa3b, v16, -v17
	s_delay_alu instid0(VALU_DEP_2) | instskip(NEXT) | instid1(VALU_DEP_2)
	v_sub_f32_e32 v17, v17, v18
	v_fmamk_f32 v19, v16, 0x32a5705f, v19
	v_cvt_i32_f32_e32 v18, v18
	s_delay_alu instid0(VALU_DEP_2) | instskip(NEXT) | instid1(VALU_DEP_1)
	v_add_f32_e32 v17, v17, v19
	v_exp_f32_e32 v17, v17
	s_delay_alu instid0(TRANS32_DEP_1) | instskip(SKIP_1) | instid1(VALU_DEP_1)
	v_ldexp_f32 v17, v17, v18
	s_wait_alu 0xfffd
	v_cndmask_b32_e32 v17, 0, v17, vcc_lo
	v_cmp_nlt_f32_e32 vcc_lo, 0x42b17218, v16
	s_wait_alu 0xfffd
	s_delay_alu instid0(VALU_DEP_2) | instskip(NEXT) | instid1(VALU_DEP_1)
	v_cndmask_b32_e32 v16, 0x7f800000, v17, vcc_lo
	v_add_f32_e32 v16, 1.0, v16
	s_delay_alu instid0(VALU_DEP_1) | instskip(NEXT) | instid1(TRANS32_DEP_1)
	v_rcp_f32_e32 v16, v16
	v_fma_f32 v154, v16, -2.0, 1.0
.LBB25_1113:
	s_wait_alu 0xfffe
	s_and_not1_saveexec_b32 s2, s2
	s_cbranch_execz .LBB25_1115
; %bb.1114:
	v_mul_f32_e32 v16, v9, v9
	s_mov_b32 s3, 0xbbbac73d
	s_wait_alu 0xfffe
	s_delay_alu instid0(VALU_DEP_1) | instskip(NEXT) | instid1(VALU_DEP_1)
	v_fmaak_f32 v17, s3, v16, 0x3ca908c9
	v_fmaak_f32 v17, v16, v17, 0xbd5c1c4e
	s_delay_alu instid0(VALU_DEP_1) | instskip(NEXT) | instid1(VALU_DEP_1)
	v_fmaak_f32 v17, v16, v17, 0x3e088382
	v_fmaak_f32 v17, v16, v17, 0xbeaaaa99
	s_delay_alu instid0(VALU_DEP_1) | instskip(NEXT) | instid1(VALU_DEP_1)
	v_mul_f32_e64 v17, |v9|, v17
	v_fma_f32 v154, v16, v17, |v9|
.LBB25_1115:
	s_wait_alu 0xfffe
	s_or_b32 exec_lo, exec_lo, s2
	v_cmp_ngt_f32_e64 s2, 0x3f200000, |v10|
                                        ; implicit-def: $vgpr155
	s_and_saveexec_b32 s3, s2
	s_wait_alu 0xfffe
	s_xor_b32 s2, exec_lo, s3
	s_cbranch_execz .LBB25_1117
; %bb.1116:
	v_add_f32_e64 v16, |v10|, |v10|
	s_delay_alu instid0(VALU_DEP_1) | instskip(SKIP_1) | instid1(VALU_DEP_2)
	v_mul_f32_e32 v17, 0x3fb8aa3b, v16
	v_cmp_ngt_f32_e32 vcc_lo, 0xc2ce8ed0, v16
	v_rndne_f32_e32 v18, v17
	v_fma_f32 v19, 0x3fb8aa3b, v16, -v17
	s_delay_alu instid0(VALU_DEP_2) | instskip(NEXT) | instid1(VALU_DEP_2)
	v_sub_f32_e32 v17, v17, v18
	v_fmamk_f32 v19, v16, 0x32a5705f, v19
	v_cvt_i32_f32_e32 v18, v18
	s_delay_alu instid0(VALU_DEP_2) | instskip(NEXT) | instid1(VALU_DEP_1)
	v_add_f32_e32 v17, v17, v19
	v_exp_f32_e32 v17, v17
	s_delay_alu instid0(TRANS32_DEP_1) | instskip(SKIP_1) | instid1(VALU_DEP_1)
	v_ldexp_f32 v17, v17, v18
	s_wait_alu 0xfffd
	v_cndmask_b32_e32 v17, 0, v17, vcc_lo
	v_cmp_nlt_f32_e32 vcc_lo, 0x42b17218, v16
	s_wait_alu 0xfffd
	s_delay_alu instid0(VALU_DEP_2) | instskip(NEXT) | instid1(VALU_DEP_1)
	v_cndmask_b32_e32 v16, 0x7f800000, v17, vcc_lo
	v_add_f32_e32 v16, 1.0, v16
	s_delay_alu instid0(VALU_DEP_1) | instskip(NEXT) | instid1(TRANS32_DEP_1)
	v_rcp_f32_e32 v16, v16
	v_fma_f32 v155, v16, -2.0, 1.0
.LBB25_1117:
	s_wait_alu 0xfffe
	s_and_not1_saveexec_b32 s2, s2
	s_cbranch_execz .LBB25_1119
; %bb.1118:
	v_mul_f32_e32 v16, v10, v10
	s_mov_b32 s3, 0xbbbac73d
	s_wait_alu 0xfffe
	s_delay_alu instid0(VALU_DEP_1) | instskip(NEXT) | instid1(VALU_DEP_1)
	v_fmaak_f32 v17, s3, v16, 0x3ca908c9
	v_fmaak_f32 v17, v16, v17, 0xbd5c1c4e
	s_delay_alu instid0(VALU_DEP_1) | instskip(NEXT) | instid1(VALU_DEP_1)
	v_fmaak_f32 v17, v16, v17, 0x3e088382
	v_fmaak_f32 v17, v16, v17, 0xbeaaaa99
	s_delay_alu instid0(VALU_DEP_1) | instskip(NEXT) | instid1(VALU_DEP_1)
	v_mul_f32_e64 v17, |v10|, v17
	v_fma_f32 v155, v16, v17, |v10|
.LBB25_1119:
	s_wait_alu 0xfffe
	s_or_b32 exec_lo, exec_lo, s2
	v_cmp_ngt_f32_e64 s2, 0x3f200000, |v11|
                                        ; implicit-def: $vgpr157
	s_and_saveexec_b32 s3, s2
	s_wait_alu 0xfffe
	s_xor_b32 s2, exec_lo, s3
	s_cbranch_execz .LBB25_1121
; %bb.1120:
	v_add_f32_e64 v16, |v11|, |v11|
	s_delay_alu instid0(VALU_DEP_1) | instskip(SKIP_1) | instid1(VALU_DEP_2)
	v_mul_f32_e32 v17, 0x3fb8aa3b, v16
	v_cmp_ngt_f32_e32 vcc_lo, 0xc2ce8ed0, v16
	v_rndne_f32_e32 v18, v17
	v_fma_f32 v19, 0x3fb8aa3b, v16, -v17
	s_delay_alu instid0(VALU_DEP_2) | instskip(NEXT) | instid1(VALU_DEP_2)
	v_sub_f32_e32 v17, v17, v18
	v_fmamk_f32 v19, v16, 0x32a5705f, v19
	v_cvt_i32_f32_e32 v18, v18
	s_delay_alu instid0(VALU_DEP_2) | instskip(NEXT) | instid1(VALU_DEP_1)
	v_add_f32_e32 v17, v17, v19
	v_exp_f32_e32 v17, v17
	s_delay_alu instid0(TRANS32_DEP_1) | instskip(SKIP_1) | instid1(VALU_DEP_1)
	v_ldexp_f32 v17, v17, v18
	s_wait_alu 0xfffd
	v_cndmask_b32_e32 v17, 0, v17, vcc_lo
	v_cmp_nlt_f32_e32 vcc_lo, 0x42b17218, v16
	s_wait_alu 0xfffd
	s_delay_alu instid0(VALU_DEP_2) | instskip(NEXT) | instid1(VALU_DEP_1)
	v_cndmask_b32_e32 v16, 0x7f800000, v17, vcc_lo
	v_add_f32_e32 v16, 1.0, v16
	s_delay_alu instid0(VALU_DEP_1) | instskip(NEXT) | instid1(TRANS32_DEP_1)
	v_rcp_f32_e32 v16, v16
	v_fma_f32 v157, v16, -2.0, 1.0
.LBB25_1121:
	s_wait_alu 0xfffe
	s_and_not1_saveexec_b32 s2, s2
	s_cbranch_execz .LBB25_1123
; %bb.1122:
	v_mul_f32_e32 v16, v11, v11
	s_mov_b32 s3, 0xbbbac73d
	s_wait_alu 0xfffe
	s_delay_alu instid0(VALU_DEP_1) | instskip(NEXT) | instid1(VALU_DEP_1)
	v_fmaak_f32 v17, s3, v16, 0x3ca908c9
	v_fmaak_f32 v17, v16, v17, 0xbd5c1c4e
	s_delay_alu instid0(VALU_DEP_1) | instskip(NEXT) | instid1(VALU_DEP_1)
	v_fmaak_f32 v17, v16, v17, 0x3e088382
	v_fmaak_f32 v17, v16, v17, 0xbeaaaa99
	s_delay_alu instid0(VALU_DEP_1) | instskip(NEXT) | instid1(VALU_DEP_1)
	v_mul_f32_e64 v17, |v11|, v17
	v_fma_f32 v157, v16, v17, |v11|
.LBB25_1123:
	s_wait_alu 0xfffe
	s_or_b32 exec_lo, exec_lo, s2
	v_wmma_f32_16x16x16_f16 v[16:23], v[148:151], v[92:95], 0
	v_cmp_ngt_f32_e64 s2, 0x3f200000, |v12|
                                        ; implicit-def: $vgpr148
	s_and_saveexec_b32 s3, s2
	s_wait_alu 0xfffe
	s_xor_b32 s2, exec_lo, s3
	s_cbranch_execz .LBB25_1125
; %bb.1124:
	v_add_f32_e64 v148, |v12|, |v12|
	s_delay_alu instid0(VALU_DEP_1) | instskip(SKIP_1) | instid1(VALU_DEP_2)
	v_mul_f32_e32 v149, 0x3fb8aa3b, v148
	v_cmp_ngt_f32_e32 vcc_lo, 0xc2ce8ed0, v148
	v_rndne_f32_e32 v150, v149
	v_fma_f32 v151, 0x3fb8aa3b, v148, -v149
	s_delay_alu instid0(VALU_DEP_2) | instskip(NEXT) | instid1(VALU_DEP_2)
	v_sub_f32_e32 v149, v149, v150
	v_fmamk_f32 v151, v148, 0x32a5705f, v151
	v_cvt_i32_f32_e32 v150, v150
	s_delay_alu instid0(VALU_DEP_2) | instskip(NEXT) | instid1(VALU_DEP_1)
	v_add_f32_e32 v149, v149, v151
	v_exp_f32_e32 v149, v149
	s_delay_alu instid0(TRANS32_DEP_1) | instskip(SKIP_1) | instid1(VALU_DEP_1)
	v_ldexp_f32 v149, v149, v150
	s_wait_alu 0xfffd
	v_cndmask_b32_e32 v149, 0, v149, vcc_lo
	v_cmp_nlt_f32_e32 vcc_lo, 0x42b17218, v148
	s_wait_alu 0xfffd
	s_delay_alu instid0(VALU_DEP_2) | instskip(NEXT) | instid1(VALU_DEP_1)
	v_cndmask_b32_e32 v148, 0x7f800000, v149, vcc_lo
	v_add_f32_e32 v148, 1.0, v148
	s_delay_alu instid0(VALU_DEP_1) | instskip(NEXT) | instid1(TRANS32_DEP_1)
	v_rcp_f32_e32 v148, v148
	v_fma_f32 v148, v148, -2.0, 1.0
.LBB25_1125:
	s_wait_alu 0xfffe
	s_or_saveexec_b32 s2, s2
	v_wmma_f32_16x16x16_f16 v[16:23], v[144:147], v[88:91], v[16:23]
	s_wait_alu 0xfffe
	s_xor_b32 exec_lo, exec_lo, s2
	s_cbranch_execz .LBB25_1127
; %bb.1126:
	v_mul_f32_e32 v144, v12, v12
	s_mov_b32 s3, 0xbbbac73d
	s_wait_alu 0xfffe
	s_delay_alu instid0(VALU_DEP_1) | instskip(NEXT) | instid1(VALU_DEP_1)
	v_fmaak_f32 v145, s3, v144, 0x3ca908c9
	v_fmaak_f32 v145, v144, v145, 0xbd5c1c4e
	s_delay_alu instid0(VALU_DEP_1) | instskip(NEXT) | instid1(VALU_DEP_1)
	v_fmaak_f32 v145, v144, v145, 0x3e088382
	v_fmaak_f32 v145, v144, v145, 0xbeaaaa99
	s_delay_alu instid0(VALU_DEP_1) | instskip(NEXT) | instid1(VALU_DEP_1)
	v_mul_f32_e64 v145, |v12|, v145
	v_fma_f32 v148, v144, v145, |v12|
.LBB25_1127:
	s_or_b32 exec_lo, exec_lo, s2
	v_wmma_f32_16x16x16_f16 v[16:23], v[140:143], v[84:87], v[16:23]
	v_cmp_ngt_f32_e64 s2, 0x3f200000, |v13|
                                        ; implicit-def: $vgpr140
	s_and_saveexec_b32 s3, s2
	s_wait_alu 0xfffe
	s_xor_b32 s2, exec_lo, s3
	s_cbranch_execz .LBB25_1129
; %bb.1128:
	v_add_f32_e64 v140, |v13|, |v13|
	s_delay_alu instid0(VALU_DEP_1) | instskip(SKIP_1) | instid1(VALU_DEP_2)
	v_mul_f32_e32 v141, 0x3fb8aa3b, v140
	v_cmp_ngt_f32_e32 vcc_lo, 0xc2ce8ed0, v140
	v_rndne_f32_e32 v142, v141
	v_fma_f32 v143, 0x3fb8aa3b, v140, -v141
	s_delay_alu instid0(VALU_DEP_2) | instskip(NEXT) | instid1(VALU_DEP_2)
	v_sub_f32_e32 v141, v141, v142
	v_fmamk_f32 v143, v140, 0x32a5705f, v143
	v_cvt_i32_f32_e32 v142, v142
	s_delay_alu instid0(VALU_DEP_2) | instskip(NEXT) | instid1(VALU_DEP_1)
	v_add_f32_e32 v141, v141, v143
	v_exp_f32_e32 v141, v141
	s_delay_alu instid0(TRANS32_DEP_1) | instskip(SKIP_1) | instid1(VALU_DEP_1)
	v_ldexp_f32 v141, v141, v142
	s_wait_alu 0xfffd
	v_cndmask_b32_e32 v141, 0, v141, vcc_lo
	v_cmp_nlt_f32_e32 vcc_lo, 0x42b17218, v140
	s_wait_alu 0xfffd
	s_delay_alu instid0(VALU_DEP_2) | instskip(NEXT) | instid1(VALU_DEP_1)
	v_cndmask_b32_e32 v140, 0x7f800000, v141, vcc_lo
	v_add_f32_e32 v140, 1.0, v140
	s_delay_alu instid0(VALU_DEP_1) | instskip(NEXT) | instid1(TRANS32_DEP_1)
	v_rcp_f32_e32 v140, v140
	v_fma_f32 v140, v140, -2.0, 1.0
.LBB25_1129:
	s_wait_alu 0xfffe
	s_or_saveexec_b32 s2, s2
	v_wmma_f32_16x16x16_f16 v[16:23], v[136:139], v[80:83], v[16:23]
	s_wait_alu 0xfffe
	s_xor_b32 exec_lo, exec_lo, s2
	s_cbranch_execz .LBB25_1131
; %bb.1130:
	v_mul_f32_e32 v136, v13, v13
	s_mov_b32 s3, 0xbbbac73d
	s_wait_alu 0xfffe
	s_delay_alu instid0(VALU_DEP_1) | instskip(NEXT) | instid1(VALU_DEP_1)
	v_fmaak_f32 v137, s3, v136, 0x3ca908c9
	v_fmaak_f32 v137, v136, v137, 0xbd5c1c4e
	s_delay_alu instid0(VALU_DEP_1) | instskip(NEXT) | instid1(VALU_DEP_1)
	v_fmaak_f32 v137, v136, v137, 0x3e088382
	v_fmaak_f32 v137, v136, v137, 0xbeaaaa99
	s_delay_alu instid0(VALU_DEP_1) | instskip(NEXT) | instid1(VALU_DEP_1)
	v_mul_f32_e64 v137, |v13|, v137
	v_fma_f32 v140, v136, v137, |v13|
.LBB25_1131:
	s_or_b32 exec_lo, exec_lo, s2
	v_wmma_f32_16x16x16_f16 v[16:23], v[132:135], v[76:79], v[16:23]
	v_cmp_ngt_f32_e64 s2, 0x3f200000, |v14|
                                        ; implicit-def: $vgpr132
	s_and_saveexec_b32 s3, s2
	s_wait_alu 0xfffe
	s_xor_b32 s2, exec_lo, s3
	s_cbranch_execz .LBB25_1133
; %bb.1132:
	v_add_f32_e64 v132, |v14|, |v14|
	s_delay_alu instid0(VALU_DEP_1) | instskip(SKIP_1) | instid1(VALU_DEP_2)
	v_mul_f32_e32 v133, 0x3fb8aa3b, v132
	v_cmp_ngt_f32_e32 vcc_lo, 0xc2ce8ed0, v132
	v_rndne_f32_e32 v134, v133
	v_fma_f32 v135, 0x3fb8aa3b, v132, -v133
	s_delay_alu instid0(VALU_DEP_2) | instskip(NEXT) | instid1(VALU_DEP_2)
	v_sub_f32_e32 v133, v133, v134
	v_fmamk_f32 v135, v132, 0x32a5705f, v135
	v_cvt_i32_f32_e32 v134, v134
	s_delay_alu instid0(VALU_DEP_2) | instskip(NEXT) | instid1(VALU_DEP_1)
	v_add_f32_e32 v133, v133, v135
	v_exp_f32_e32 v133, v133
	s_delay_alu instid0(TRANS32_DEP_1) | instskip(SKIP_1) | instid1(VALU_DEP_1)
	v_ldexp_f32 v133, v133, v134
	s_wait_alu 0xfffd
	v_cndmask_b32_e32 v133, 0, v133, vcc_lo
	v_cmp_nlt_f32_e32 vcc_lo, 0x42b17218, v132
	s_wait_alu 0xfffd
	s_delay_alu instid0(VALU_DEP_2) | instskip(NEXT) | instid1(VALU_DEP_1)
	v_cndmask_b32_e32 v132, 0x7f800000, v133, vcc_lo
	v_add_f32_e32 v132, 1.0, v132
	s_delay_alu instid0(VALU_DEP_1) | instskip(NEXT) | instid1(TRANS32_DEP_1)
	v_rcp_f32_e32 v132, v132
	v_fma_f32 v132, v132, -2.0, 1.0
.LBB25_1133:
	s_wait_alu 0xfffe
	s_or_saveexec_b32 s2, s2
	v_wmma_f32_16x16x16_f16 v[16:23], v[128:131], v[72:75], v[16:23]
	s_wait_alu 0xfffe
	s_xor_b32 exec_lo, exec_lo, s2
	s_cbranch_execz .LBB25_1135
; %bb.1134:
	v_mul_f32_e32 v128, v14, v14
	s_mov_b32 s3, 0xbbbac73d
	s_wait_alu 0xfffe
	s_delay_alu instid0(VALU_DEP_1) | instskip(NEXT) | instid1(VALU_DEP_1)
	v_fmaak_f32 v129, s3, v128, 0x3ca908c9
	v_fmaak_f32 v129, v128, v129, 0xbd5c1c4e
	s_delay_alu instid0(VALU_DEP_1) | instskip(NEXT) | instid1(VALU_DEP_1)
	v_fmaak_f32 v129, v128, v129, 0x3e088382
	v_fmaak_f32 v129, v128, v129, 0xbeaaaa99
	s_delay_alu instid0(VALU_DEP_1) | instskip(NEXT) | instid1(VALU_DEP_1)
	v_mul_f32_e64 v129, |v14|, v129
	v_fma_f32 v132, v128, v129, |v14|
.LBB25_1135:
	s_or_b32 exec_lo, exec_lo, s2
	v_wmma_f32_16x16x16_f16 v[16:23], v[28:31], v[68:71], v[16:23]
	v_cmp_ngt_f32_e64 s2, 0x3f200000, |v15|
                                        ; implicit-def: $vgpr128
	s_and_saveexec_b32 s3, s2
	s_wait_alu 0xfffe
	s_xor_b32 s2, exec_lo, s3
	s_cbranch_execz .LBB25_1137
; %bb.1136:
	v_add_f32_e64 v28, |v15|, |v15|
	s_delay_alu instid0(VALU_DEP_1) | instskip(SKIP_1) | instid1(VALU_DEP_2)
	v_mul_f32_e32 v29, 0x3fb8aa3b, v28
	v_cmp_ngt_f32_e32 vcc_lo, 0xc2ce8ed0, v28
	v_rndne_f32_e32 v30, v29
	v_fma_f32 v31, 0x3fb8aa3b, v28, -v29
	s_delay_alu instid0(VALU_DEP_2) | instskip(NEXT) | instid1(VALU_DEP_2)
	v_sub_f32_e32 v29, v29, v30
	v_fmamk_f32 v31, v28, 0x32a5705f, v31
	v_cvt_i32_f32_e32 v30, v30
	s_delay_alu instid0(VALU_DEP_2) | instskip(NEXT) | instid1(VALU_DEP_1)
	v_add_f32_e32 v29, v29, v31
	v_exp_f32_e32 v29, v29
	s_delay_alu instid0(TRANS32_DEP_1) | instskip(SKIP_1) | instid1(VALU_DEP_1)
	v_ldexp_f32 v29, v29, v30
	s_wait_alu 0xfffd
	v_cndmask_b32_e32 v29, 0, v29, vcc_lo
	v_cmp_nlt_f32_e32 vcc_lo, 0x42b17218, v28
	s_wait_alu 0xfffd
	s_delay_alu instid0(VALU_DEP_2) | instskip(NEXT) | instid1(VALU_DEP_1)
	v_cndmask_b32_e32 v28, 0x7f800000, v29, vcc_lo
	v_add_f32_e32 v28, 1.0, v28
	s_delay_alu instid0(VALU_DEP_1) | instskip(NEXT) | instid1(TRANS32_DEP_1)
	v_rcp_f32_e32 v28, v28
	v_fma_f32 v128, v28, -2.0, 1.0
.LBB25_1137:
	s_wait_alu 0xfffe
	s_or_saveexec_b32 s2, s2
	v_wmma_f32_16x16x16_f16 v[16:23], v[24:27], v[64:67], v[16:23]
	s_wait_alu 0xfffe
	s_xor_b32 exec_lo, exec_lo, s2
	s_cbranch_execz .LBB25_1139
; %bb.1138:
	v_mul_f32_e32 v24, v15, v15
	s_mov_b32 s3, 0xbbbac73d
	s_wait_alu 0xfffe
	s_delay_alu instid0(VALU_DEP_1) | instskip(NEXT) | instid1(VALU_DEP_1)
	v_fmaak_f32 v25, s3, v24, 0x3ca908c9
	v_fmaak_f32 v25, v24, v25, 0xbd5c1c4e
	s_delay_alu instid0(VALU_DEP_1) | instskip(NEXT) | instid1(VALU_DEP_1)
	v_fmaak_f32 v25, v24, v25, 0x3e088382
	v_fmaak_f32 v25, v24, v25, 0xbeaaaa99
	s_delay_alu instid0(VALU_DEP_1) | instskip(NEXT) | instid1(VALU_DEP_1)
	v_mul_f32_e64 v25, |v15|, v25
	v_fma_f32 v128, v24, v25, |v15|
.LBB25_1139:
	s_or_b32 exec_lo, exec_lo, s2
	v_cmp_ngt_f32_e64 s2, 0x3f200000, |v16|
                                        ; implicit-def: $vgpr129
	s_and_saveexec_b32 s3, s2
	s_wait_alu 0xfffe
	s_xor_b32 s2, exec_lo, s3
	s_cbranch_execz .LBB25_1141
; %bb.1140:
	v_add_f32_e64 v24, |v16|, |v16|
	s_delay_alu instid0(VALU_DEP_1) | instskip(SKIP_1) | instid1(VALU_DEP_2)
	v_mul_f32_e32 v25, 0x3fb8aa3b, v24
	v_cmp_ngt_f32_e32 vcc_lo, 0xc2ce8ed0, v24
	v_rndne_f32_e32 v26, v25
	v_fma_f32 v27, 0x3fb8aa3b, v24, -v25
	s_delay_alu instid0(VALU_DEP_2) | instskip(NEXT) | instid1(VALU_DEP_2)
	v_sub_f32_e32 v25, v25, v26
	v_fmamk_f32 v27, v24, 0x32a5705f, v27
	v_cvt_i32_f32_e32 v26, v26
	s_delay_alu instid0(VALU_DEP_2) | instskip(NEXT) | instid1(VALU_DEP_1)
	v_add_f32_e32 v25, v25, v27
	v_exp_f32_e32 v25, v25
	s_delay_alu instid0(TRANS32_DEP_1) | instskip(SKIP_1) | instid1(VALU_DEP_1)
	v_ldexp_f32 v25, v25, v26
	s_wait_alu 0xfffd
	v_cndmask_b32_e32 v25, 0, v25, vcc_lo
	v_cmp_nlt_f32_e32 vcc_lo, 0x42b17218, v24
	s_wait_alu 0xfffd
	s_delay_alu instid0(VALU_DEP_2) | instskip(NEXT) | instid1(VALU_DEP_1)
	v_cndmask_b32_e32 v24, 0x7f800000, v25, vcc_lo
	v_add_f32_e32 v24, 1.0, v24
	s_delay_alu instid0(VALU_DEP_1) | instskip(NEXT) | instid1(TRANS32_DEP_1)
	v_rcp_f32_e32 v24, v24
	v_fma_f32 v129, v24, -2.0, 1.0
.LBB25_1141:
	s_wait_alu 0xfffe
	s_and_not1_saveexec_b32 s2, s2
	s_cbranch_execz .LBB25_1143
; %bb.1142:
	v_mul_f32_e32 v24, v16, v16
	s_mov_b32 s3, 0xbbbac73d
	s_wait_alu 0xfffe
	s_delay_alu instid0(VALU_DEP_1) | instskip(NEXT) | instid1(VALU_DEP_1)
	v_fmaak_f32 v25, s3, v24, 0x3ca908c9
	v_fmaak_f32 v25, v24, v25, 0xbd5c1c4e
	s_delay_alu instid0(VALU_DEP_1) | instskip(NEXT) | instid1(VALU_DEP_1)
	v_fmaak_f32 v25, v24, v25, 0x3e088382
	v_fmaak_f32 v25, v24, v25, 0xbeaaaa99
	s_delay_alu instid0(VALU_DEP_1) | instskip(NEXT) | instid1(VALU_DEP_1)
	v_mul_f32_e64 v25, |v16|, v25
	v_fma_f32 v129, v24, v25, |v16|
.LBB25_1143:
	s_wait_alu 0xfffe
	s_or_b32 exec_lo, exec_lo, s2
	v_cmp_ngt_f32_e64 s2, 0x3f200000, |v17|
                                        ; implicit-def: $vgpr130
	s_and_saveexec_b32 s3, s2
	s_wait_alu 0xfffe
	s_xor_b32 s2, exec_lo, s3
	s_cbranch_execz .LBB25_1145
; %bb.1144:
	v_add_f32_e64 v24, |v17|, |v17|
	s_delay_alu instid0(VALU_DEP_1) | instskip(SKIP_1) | instid1(VALU_DEP_2)
	v_mul_f32_e32 v25, 0x3fb8aa3b, v24
	v_cmp_ngt_f32_e32 vcc_lo, 0xc2ce8ed0, v24
	v_rndne_f32_e32 v26, v25
	v_fma_f32 v27, 0x3fb8aa3b, v24, -v25
	s_delay_alu instid0(VALU_DEP_2) | instskip(NEXT) | instid1(VALU_DEP_2)
	v_sub_f32_e32 v25, v25, v26
	v_fmamk_f32 v27, v24, 0x32a5705f, v27
	v_cvt_i32_f32_e32 v26, v26
	s_delay_alu instid0(VALU_DEP_2) | instskip(NEXT) | instid1(VALU_DEP_1)
	v_add_f32_e32 v25, v25, v27
	v_exp_f32_e32 v25, v25
	s_delay_alu instid0(TRANS32_DEP_1) | instskip(SKIP_1) | instid1(VALU_DEP_1)
	v_ldexp_f32 v25, v25, v26
	s_wait_alu 0xfffd
	v_cndmask_b32_e32 v25, 0, v25, vcc_lo
	v_cmp_nlt_f32_e32 vcc_lo, 0x42b17218, v24
	s_wait_alu 0xfffd
	s_delay_alu instid0(VALU_DEP_2) | instskip(NEXT) | instid1(VALU_DEP_1)
	v_cndmask_b32_e32 v24, 0x7f800000, v25, vcc_lo
	v_add_f32_e32 v24, 1.0, v24
	s_delay_alu instid0(VALU_DEP_1) | instskip(NEXT) | instid1(TRANS32_DEP_1)
	v_rcp_f32_e32 v24, v24
	v_fma_f32 v130, v24, -2.0, 1.0
.LBB25_1145:
	s_wait_alu 0xfffe
	s_and_not1_saveexec_b32 s2, s2
	s_cbranch_execz .LBB25_1147
; %bb.1146:
	v_mul_f32_e32 v24, v17, v17
	s_mov_b32 s3, 0xbbbac73d
	s_wait_alu 0xfffe
	s_delay_alu instid0(VALU_DEP_1) | instskip(NEXT) | instid1(VALU_DEP_1)
	v_fmaak_f32 v25, s3, v24, 0x3ca908c9
	v_fmaak_f32 v25, v24, v25, 0xbd5c1c4e
	s_delay_alu instid0(VALU_DEP_1) | instskip(NEXT) | instid1(VALU_DEP_1)
	v_fmaak_f32 v25, v24, v25, 0x3e088382
	v_fmaak_f32 v25, v24, v25, 0xbeaaaa99
	s_delay_alu instid0(VALU_DEP_1) | instskip(NEXT) | instid1(VALU_DEP_1)
	v_mul_f32_e64 v25, |v17|, v25
	v_fma_f32 v130, v24, v25, |v17|
.LBB25_1147:
	s_wait_alu 0xfffe
	s_or_b32 exec_lo, exec_lo, s2
	v_cmp_ngt_f32_e64 s2, 0x3f200000, |v18|
                                        ; implicit-def: $vgpr131
	s_and_saveexec_b32 s3, s2
	s_wait_alu 0xfffe
	s_xor_b32 s2, exec_lo, s3
	s_cbranch_execz .LBB25_1149
; %bb.1148:
	v_add_f32_e64 v24, |v18|, |v18|
	s_delay_alu instid0(VALU_DEP_1) | instskip(SKIP_1) | instid1(VALU_DEP_2)
	v_mul_f32_e32 v25, 0x3fb8aa3b, v24
	v_cmp_ngt_f32_e32 vcc_lo, 0xc2ce8ed0, v24
	v_rndne_f32_e32 v26, v25
	v_fma_f32 v27, 0x3fb8aa3b, v24, -v25
	s_delay_alu instid0(VALU_DEP_2) | instskip(NEXT) | instid1(VALU_DEP_2)
	v_sub_f32_e32 v25, v25, v26
	v_fmamk_f32 v27, v24, 0x32a5705f, v27
	v_cvt_i32_f32_e32 v26, v26
	s_delay_alu instid0(VALU_DEP_2) | instskip(NEXT) | instid1(VALU_DEP_1)
	v_add_f32_e32 v25, v25, v27
	v_exp_f32_e32 v25, v25
	s_delay_alu instid0(TRANS32_DEP_1) | instskip(SKIP_1) | instid1(VALU_DEP_1)
	v_ldexp_f32 v25, v25, v26
	s_wait_alu 0xfffd
	v_cndmask_b32_e32 v25, 0, v25, vcc_lo
	v_cmp_nlt_f32_e32 vcc_lo, 0x42b17218, v24
	s_wait_alu 0xfffd
	s_delay_alu instid0(VALU_DEP_2) | instskip(NEXT) | instid1(VALU_DEP_1)
	v_cndmask_b32_e32 v24, 0x7f800000, v25, vcc_lo
	v_add_f32_e32 v24, 1.0, v24
	s_delay_alu instid0(VALU_DEP_1) | instskip(NEXT) | instid1(TRANS32_DEP_1)
	v_rcp_f32_e32 v24, v24
	v_fma_f32 v131, v24, -2.0, 1.0
.LBB25_1149:
	s_wait_alu 0xfffe
	s_and_not1_saveexec_b32 s2, s2
	s_cbranch_execz .LBB25_1151
; %bb.1150:
	v_mul_f32_e32 v24, v18, v18
	s_mov_b32 s3, 0xbbbac73d
	s_wait_alu 0xfffe
	s_delay_alu instid0(VALU_DEP_1) | instskip(NEXT) | instid1(VALU_DEP_1)
	v_fmaak_f32 v25, s3, v24, 0x3ca908c9
	v_fmaak_f32 v25, v24, v25, 0xbd5c1c4e
	s_delay_alu instid0(VALU_DEP_1) | instskip(NEXT) | instid1(VALU_DEP_1)
	v_fmaak_f32 v25, v24, v25, 0x3e088382
	v_fmaak_f32 v25, v24, v25, 0xbeaaaa99
	s_delay_alu instid0(VALU_DEP_1) | instskip(NEXT) | instid1(VALU_DEP_1)
	v_mul_f32_e64 v25, |v18|, v25
	v_fma_f32 v131, v24, v25, |v18|
.LBB25_1151:
	s_wait_alu 0xfffe
	s_or_b32 exec_lo, exec_lo, s2
	v_cmp_ngt_f32_e64 s2, 0x3f200000, |v19|
                                        ; implicit-def: $vgpr133
	s_and_saveexec_b32 s3, s2
	s_wait_alu 0xfffe
	s_xor_b32 s2, exec_lo, s3
	s_cbranch_execz .LBB25_1153
; %bb.1152:
	v_add_f32_e64 v24, |v19|, |v19|
	s_delay_alu instid0(VALU_DEP_1) | instskip(SKIP_1) | instid1(VALU_DEP_2)
	v_mul_f32_e32 v25, 0x3fb8aa3b, v24
	v_cmp_ngt_f32_e32 vcc_lo, 0xc2ce8ed0, v24
	v_rndne_f32_e32 v26, v25
	v_fma_f32 v27, 0x3fb8aa3b, v24, -v25
	s_delay_alu instid0(VALU_DEP_2) | instskip(NEXT) | instid1(VALU_DEP_2)
	v_sub_f32_e32 v25, v25, v26
	v_fmamk_f32 v27, v24, 0x32a5705f, v27
	v_cvt_i32_f32_e32 v26, v26
	s_delay_alu instid0(VALU_DEP_2) | instskip(NEXT) | instid1(VALU_DEP_1)
	v_add_f32_e32 v25, v25, v27
	v_exp_f32_e32 v25, v25
	s_delay_alu instid0(TRANS32_DEP_1) | instskip(SKIP_1) | instid1(VALU_DEP_1)
	v_ldexp_f32 v25, v25, v26
	s_wait_alu 0xfffd
	v_cndmask_b32_e32 v25, 0, v25, vcc_lo
	v_cmp_nlt_f32_e32 vcc_lo, 0x42b17218, v24
	s_wait_alu 0xfffd
	s_delay_alu instid0(VALU_DEP_2) | instskip(NEXT) | instid1(VALU_DEP_1)
	v_cndmask_b32_e32 v24, 0x7f800000, v25, vcc_lo
	v_add_f32_e32 v24, 1.0, v24
	s_delay_alu instid0(VALU_DEP_1) | instskip(NEXT) | instid1(TRANS32_DEP_1)
	v_rcp_f32_e32 v24, v24
	v_fma_f32 v133, v24, -2.0, 1.0
.LBB25_1153:
	s_wait_alu 0xfffe
	s_and_not1_saveexec_b32 s2, s2
	s_cbranch_execz .LBB25_1155
; %bb.1154:
	v_mul_f32_e32 v24, v19, v19
	s_mov_b32 s3, 0xbbbac73d
	s_wait_alu 0xfffe
	s_delay_alu instid0(VALU_DEP_1) | instskip(NEXT) | instid1(VALU_DEP_1)
	v_fmaak_f32 v25, s3, v24, 0x3ca908c9
	v_fmaak_f32 v25, v24, v25, 0xbd5c1c4e
	s_delay_alu instid0(VALU_DEP_1) | instskip(NEXT) | instid1(VALU_DEP_1)
	v_fmaak_f32 v25, v24, v25, 0x3e088382
	v_fmaak_f32 v25, v24, v25, 0xbeaaaa99
	s_delay_alu instid0(VALU_DEP_1) | instskip(NEXT) | instid1(VALU_DEP_1)
	v_mul_f32_e64 v25, |v19|, v25
	v_fma_f32 v133, v24, v25, |v19|
.LBB25_1155:
	s_wait_alu 0xfffe
	s_or_b32 exec_lo, exec_lo, s2
	v_wmma_f32_16x16x16_f16 v[24:31], v[124:127], v[92:95], 0
	v_cmp_ngt_f32_e64 s2, 0x3f200000, |v20|
                                        ; implicit-def: $vgpr92
	s_and_saveexec_b32 s3, s2
	s_wait_alu 0xfffe
	s_xor_b32 s2, exec_lo, s3
	s_cbranch_execz .LBB25_1157
; %bb.1156:
	v_add_f32_e64 v92, |v20|, |v20|
	s_delay_alu instid0(VALU_DEP_1) | instskip(SKIP_1) | instid1(VALU_DEP_2)
	v_mul_f32_e32 v93, 0x3fb8aa3b, v92
	v_cmp_ngt_f32_e32 vcc_lo, 0xc2ce8ed0, v92
	v_rndne_f32_e32 v94, v93
	v_fma_f32 v95, 0x3fb8aa3b, v92, -v93
	s_delay_alu instid0(VALU_DEP_2) | instskip(NEXT) | instid1(VALU_DEP_2)
	v_sub_f32_e32 v93, v93, v94
	v_fmamk_f32 v95, v92, 0x32a5705f, v95
	v_cvt_i32_f32_e32 v94, v94
	s_delay_alu instid0(VALU_DEP_2) | instskip(NEXT) | instid1(VALU_DEP_1)
	v_add_f32_e32 v93, v93, v95
	v_exp_f32_e32 v93, v93
	s_delay_alu instid0(TRANS32_DEP_1) | instskip(SKIP_1) | instid1(VALU_DEP_1)
	v_ldexp_f32 v93, v93, v94
	s_wait_alu 0xfffd
	v_cndmask_b32_e32 v93, 0, v93, vcc_lo
	v_cmp_nlt_f32_e32 vcc_lo, 0x42b17218, v92
	s_wait_alu 0xfffd
	s_delay_alu instid0(VALU_DEP_2) | instskip(NEXT) | instid1(VALU_DEP_1)
	v_cndmask_b32_e32 v92, 0x7f800000, v93, vcc_lo
	v_add_f32_e32 v92, 1.0, v92
	s_delay_alu instid0(VALU_DEP_1) | instskip(NEXT) | instid1(TRANS32_DEP_1)
	v_rcp_f32_e32 v92, v92
	v_fma_f32 v92, v92, -2.0, 1.0
.LBB25_1157:
	s_wait_alu 0xfffe
	s_or_saveexec_b32 s2, s2
	v_wmma_f32_16x16x16_f16 v[24:31], v[120:123], v[88:91], v[24:31]
	s_wait_alu 0xfffe
	s_xor_b32 exec_lo, exec_lo, s2
	s_cbranch_execz .LBB25_1159
; %bb.1158:
	v_mul_f32_e32 v88, v20, v20
	s_mov_b32 s3, 0xbbbac73d
	s_wait_alu 0xfffe
	s_delay_alu instid0(VALU_DEP_1) | instskip(NEXT) | instid1(VALU_DEP_1)
	v_fmaak_f32 v89, s3, v88, 0x3ca908c9
	v_fmaak_f32 v89, v88, v89, 0xbd5c1c4e
	s_delay_alu instid0(VALU_DEP_1) | instskip(NEXT) | instid1(VALU_DEP_1)
	v_fmaak_f32 v89, v88, v89, 0x3e088382
	v_fmaak_f32 v89, v88, v89, 0xbeaaaa99
	s_delay_alu instid0(VALU_DEP_1) | instskip(NEXT) | instid1(VALU_DEP_1)
	v_mul_f32_e64 v89, |v20|, v89
	v_fma_f32 v92, v88, v89, |v20|
.LBB25_1159:
	s_or_b32 exec_lo, exec_lo, s2
	v_wmma_f32_16x16x16_f16 v[24:31], v[116:119], v[84:87], v[24:31]
	v_cmp_ngt_f32_e64 s2, 0x3f200000, |v21|
                                        ; implicit-def: $vgpr84
	s_and_saveexec_b32 s3, s2
	s_wait_alu 0xfffe
	s_xor_b32 s2, exec_lo, s3
	s_cbranch_execz .LBB25_1161
; %bb.1160:
	v_add_f32_e64 v84, |v21|, |v21|
	s_delay_alu instid0(VALU_DEP_1) | instskip(SKIP_1) | instid1(VALU_DEP_2)
	v_mul_f32_e32 v85, 0x3fb8aa3b, v84
	v_cmp_ngt_f32_e32 vcc_lo, 0xc2ce8ed0, v84
	v_rndne_f32_e32 v86, v85
	v_fma_f32 v87, 0x3fb8aa3b, v84, -v85
	s_delay_alu instid0(VALU_DEP_2) | instskip(NEXT) | instid1(VALU_DEP_2)
	v_sub_f32_e32 v85, v85, v86
	v_fmamk_f32 v87, v84, 0x32a5705f, v87
	v_cvt_i32_f32_e32 v86, v86
	s_delay_alu instid0(VALU_DEP_2) | instskip(NEXT) | instid1(VALU_DEP_1)
	v_add_f32_e32 v85, v85, v87
	v_exp_f32_e32 v85, v85
	s_delay_alu instid0(TRANS32_DEP_1) | instskip(SKIP_1) | instid1(VALU_DEP_1)
	v_ldexp_f32 v85, v85, v86
	s_wait_alu 0xfffd
	v_cndmask_b32_e32 v85, 0, v85, vcc_lo
	v_cmp_nlt_f32_e32 vcc_lo, 0x42b17218, v84
	s_wait_alu 0xfffd
	s_delay_alu instid0(VALU_DEP_2) | instskip(NEXT) | instid1(VALU_DEP_1)
	v_cndmask_b32_e32 v84, 0x7f800000, v85, vcc_lo
	v_add_f32_e32 v84, 1.0, v84
	s_delay_alu instid0(VALU_DEP_1) | instskip(NEXT) | instid1(TRANS32_DEP_1)
	v_rcp_f32_e32 v84, v84
	v_fma_f32 v84, v84, -2.0, 1.0
.LBB25_1161:
	s_wait_alu 0xfffe
	s_or_saveexec_b32 s2, s2
	v_wmma_f32_16x16x16_f16 v[24:31], v[112:115], v[80:83], v[24:31]
	s_wait_alu 0xfffe
	s_xor_b32 exec_lo, exec_lo, s2
	s_cbranch_execz .LBB25_1163
; %bb.1162:
	v_mul_f32_e32 v80, v21, v21
	s_mov_b32 s3, 0xbbbac73d
	s_wait_alu 0xfffe
	s_delay_alu instid0(VALU_DEP_1) | instskip(NEXT) | instid1(VALU_DEP_1)
	v_fmaak_f32 v81, s3, v80, 0x3ca908c9
	v_fmaak_f32 v81, v80, v81, 0xbd5c1c4e
	s_delay_alu instid0(VALU_DEP_1) | instskip(NEXT) | instid1(VALU_DEP_1)
	v_fmaak_f32 v81, v80, v81, 0x3e088382
	v_fmaak_f32 v81, v80, v81, 0xbeaaaa99
	s_delay_alu instid0(VALU_DEP_1) | instskip(NEXT) | instid1(VALU_DEP_1)
	v_mul_f32_e64 v81, |v21|, v81
	v_fma_f32 v84, v80, v81, |v21|
.LBB25_1163:
	s_or_b32 exec_lo, exec_lo, s2
	v_wmma_f32_16x16x16_f16 v[24:31], v[108:111], v[76:79], v[24:31]
	v_cmp_ngt_f32_e64 s2, 0x3f200000, |v22|
                                        ; implicit-def: $vgpr76
	s_and_saveexec_b32 s3, s2
	s_wait_alu 0xfffe
	s_xor_b32 s2, exec_lo, s3
	s_cbranch_execz .LBB25_1165
; %bb.1164:
	v_add_f32_e64 v76, |v22|, |v22|
	s_delay_alu instid0(VALU_DEP_1) | instskip(SKIP_1) | instid1(VALU_DEP_2)
	v_mul_f32_e32 v77, 0x3fb8aa3b, v76
	v_cmp_ngt_f32_e32 vcc_lo, 0xc2ce8ed0, v76
	v_rndne_f32_e32 v78, v77
	v_fma_f32 v79, 0x3fb8aa3b, v76, -v77
	s_delay_alu instid0(VALU_DEP_2) | instskip(NEXT) | instid1(VALU_DEP_2)
	v_sub_f32_e32 v77, v77, v78
	v_fmamk_f32 v79, v76, 0x32a5705f, v79
	v_cvt_i32_f32_e32 v78, v78
	s_delay_alu instid0(VALU_DEP_2) | instskip(NEXT) | instid1(VALU_DEP_1)
	v_add_f32_e32 v77, v77, v79
	v_exp_f32_e32 v77, v77
	s_delay_alu instid0(TRANS32_DEP_1) | instskip(SKIP_1) | instid1(VALU_DEP_1)
	v_ldexp_f32 v77, v77, v78
	s_wait_alu 0xfffd
	v_cndmask_b32_e32 v77, 0, v77, vcc_lo
	v_cmp_nlt_f32_e32 vcc_lo, 0x42b17218, v76
	s_wait_alu 0xfffd
	s_delay_alu instid0(VALU_DEP_2) | instskip(NEXT) | instid1(VALU_DEP_1)
	v_cndmask_b32_e32 v76, 0x7f800000, v77, vcc_lo
	v_add_f32_e32 v76, 1.0, v76
	s_delay_alu instid0(VALU_DEP_1) | instskip(NEXT) | instid1(TRANS32_DEP_1)
	v_rcp_f32_e32 v76, v76
	v_fma_f32 v76, v76, -2.0, 1.0
.LBB25_1165:
	s_wait_alu 0xfffe
	s_or_saveexec_b32 s2, s2
	v_wmma_f32_16x16x16_f16 v[24:31], v[104:107], v[72:75], v[24:31]
	s_wait_alu 0xfffe
	s_xor_b32 exec_lo, exec_lo, s2
	s_cbranch_execz .LBB25_1167
; %bb.1166:
	v_mul_f32_e32 v72, v22, v22
	s_mov_b32 s3, 0xbbbac73d
	s_wait_alu 0xfffe
	s_delay_alu instid0(VALU_DEP_1) | instskip(NEXT) | instid1(VALU_DEP_1)
	v_fmaak_f32 v73, s3, v72, 0x3ca908c9
	v_fmaak_f32 v73, v72, v73, 0xbd5c1c4e
	s_delay_alu instid0(VALU_DEP_1) | instskip(NEXT) | instid1(VALU_DEP_1)
	v_fmaak_f32 v73, v72, v73, 0x3e088382
	v_fmaak_f32 v73, v72, v73, 0xbeaaaa99
	s_delay_alu instid0(VALU_DEP_1) | instskip(NEXT) | instid1(VALU_DEP_1)
	v_mul_f32_e64 v73, |v22|, v73
	v_fma_f32 v76, v72, v73, |v22|
.LBB25_1167:
	s_or_b32 exec_lo, exec_lo, s2
	v_wmma_f32_16x16x16_f16 v[24:31], v[100:103], v[68:71], v[24:31]
	v_cmp_ngt_f32_e64 s2, 0x3f200000, |v23|
                                        ; implicit-def: $vgpr68
	s_and_saveexec_b32 s3, s2
	s_wait_alu 0xfffe
	s_xor_b32 s2, exec_lo, s3
	s_cbranch_execz .LBB25_1169
; %bb.1168:
	v_add_f32_e64 v68, |v23|, |v23|
	s_delay_alu instid0(VALU_DEP_1) | instskip(SKIP_1) | instid1(VALU_DEP_2)
	v_mul_f32_e32 v69, 0x3fb8aa3b, v68
	v_cmp_ngt_f32_e32 vcc_lo, 0xc2ce8ed0, v68
	v_rndne_f32_e32 v70, v69
	v_fma_f32 v71, 0x3fb8aa3b, v68, -v69
	s_delay_alu instid0(VALU_DEP_2) | instskip(NEXT) | instid1(VALU_DEP_2)
	v_sub_f32_e32 v69, v69, v70
	v_fmamk_f32 v71, v68, 0x32a5705f, v71
	v_cvt_i32_f32_e32 v70, v70
	s_delay_alu instid0(VALU_DEP_2) | instskip(NEXT) | instid1(VALU_DEP_1)
	v_add_f32_e32 v69, v69, v71
	v_exp_f32_e32 v69, v69
	s_delay_alu instid0(TRANS32_DEP_1) | instskip(SKIP_1) | instid1(VALU_DEP_1)
	v_ldexp_f32 v69, v69, v70
	s_wait_alu 0xfffd
	v_cndmask_b32_e32 v69, 0, v69, vcc_lo
	v_cmp_nlt_f32_e32 vcc_lo, 0x42b17218, v68
	s_wait_alu 0xfffd
	s_delay_alu instid0(VALU_DEP_2) | instskip(NEXT) | instid1(VALU_DEP_1)
	v_cndmask_b32_e32 v68, 0x7f800000, v69, vcc_lo
	v_add_f32_e32 v68, 1.0, v68
	s_delay_alu instid0(VALU_DEP_1) | instskip(NEXT) | instid1(TRANS32_DEP_1)
	v_rcp_f32_e32 v68, v68
	v_fma_f32 v68, v68, -2.0, 1.0
.LBB25_1169:
	s_wait_alu 0xfffe
	s_or_saveexec_b32 s2, s2
	v_wmma_f32_16x16x16_f16 v[24:31], v[180:183], v[64:67], v[24:31]
	s_wait_alu 0xfffe
	s_xor_b32 exec_lo, exec_lo, s2
	s_cbranch_execz .LBB25_1171
; %bb.1170:
	v_mul_f32_e32 v64, v23, v23
	s_mov_b32 s3, 0xbbbac73d
	s_wait_alu 0xfffe
	s_delay_alu instid0(VALU_DEP_1) | instskip(NEXT) | instid1(VALU_DEP_1)
	v_fmaak_f32 v65, s3, v64, 0x3ca908c9
	v_fmaak_f32 v65, v64, v65, 0xbd5c1c4e
	s_delay_alu instid0(VALU_DEP_1) | instskip(NEXT) | instid1(VALU_DEP_1)
	v_fmaak_f32 v65, v64, v65, 0x3e088382
	v_fmaak_f32 v65, v64, v65, 0xbeaaaa99
	s_delay_alu instid0(VALU_DEP_1) | instskip(NEXT) | instid1(VALU_DEP_1)
	v_mul_f32_e64 v65, |v23|, v65
	v_fma_f32 v68, v64, v65, |v23|
.LBB25_1171:
	s_or_b32 exec_lo, exec_lo, s2
	v_cmp_ngt_f32_e64 s2, 0x3f200000, |v24|
                                        ; implicit-def: $vgpr64
	s_and_saveexec_b32 s3, s2
	s_wait_alu 0xfffe
	s_xor_b32 s2, exec_lo, s3
	s_cbranch_execz .LBB25_1173
; %bb.1172:
	v_add_f32_e64 v64, |v24|, |v24|
	s_delay_alu instid0(VALU_DEP_1) | instskip(SKIP_1) | instid1(VALU_DEP_2)
	v_mul_f32_e32 v65, 0x3fb8aa3b, v64
	v_cmp_ngt_f32_e32 vcc_lo, 0xc2ce8ed0, v64
	v_rndne_f32_e32 v66, v65
	v_fma_f32 v67, 0x3fb8aa3b, v64, -v65
	s_delay_alu instid0(VALU_DEP_2) | instskip(NEXT) | instid1(VALU_DEP_2)
	v_sub_f32_e32 v65, v65, v66
	v_fmamk_f32 v67, v64, 0x32a5705f, v67
	v_cvt_i32_f32_e32 v66, v66
	s_delay_alu instid0(VALU_DEP_2) | instskip(NEXT) | instid1(VALU_DEP_1)
	v_add_f32_e32 v65, v65, v67
	v_exp_f32_e32 v65, v65
	s_delay_alu instid0(TRANS32_DEP_1) | instskip(SKIP_1) | instid1(VALU_DEP_1)
	v_ldexp_f32 v65, v65, v66
	s_wait_alu 0xfffd
	v_cndmask_b32_e32 v65, 0, v65, vcc_lo
	v_cmp_nlt_f32_e32 vcc_lo, 0x42b17218, v64
	s_wait_alu 0xfffd
	s_delay_alu instid0(VALU_DEP_2) | instskip(NEXT) | instid1(VALU_DEP_1)
	v_cndmask_b32_e32 v64, 0x7f800000, v65, vcc_lo
	v_add_f32_e32 v64, 1.0, v64
	s_delay_alu instid0(VALU_DEP_1) | instskip(NEXT) | instid1(TRANS32_DEP_1)
	v_rcp_f32_e32 v64, v64
	v_fma_f32 v64, v64, -2.0, 1.0
.LBB25_1173:
	s_wait_alu 0xfffe
	s_and_not1_saveexec_b32 s2, s2
	s_cbranch_execz .LBB25_1175
; %bb.1174:
	v_mul_f32_e32 v64, v24, v24
	s_mov_b32 s3, 0xbbbac73d
	s_wait_alu 0xfffe
	s_delay_alu instid0(VALU_DEP_1) | instskip(NEXT) | instid1(VALU_DEP_1)
	v_fmaak_f32 v65, s3, v64, 0x3ca908c9
	v_fmaak_f32 v65, v64, v65, 0xbd5c1c4e
	s_delay_alu instid0(VALU_DEP_1) | instskip(NEXT) | instid1(VALU_DEP_1)
	v_fmaak_f32 v65, v64, v65, 0x3e088382
	v_fmaak_f32 v65, v64, v65, 0xbeaaaa99
	s_delay_alu instid0(VALU_DEP_1) | instskip(NEXT) | instid1(VALU_DEP_1)
	v_mul_f32_e64 v65, |v24|, v65
	v_fma_f32 v64, v64, v65, |v24|
.LBB25_1175:
	s_wait_alu 0xfffe
	s_or_b32 exec_lo, exec_lo, s2
	v_cmp_ngt_f32_e64 s2, 0x3f200000, |v25|
                                        ; implicit-def: $vgpr65
	s_and_saveexec_b32 s3, s2
	s_wait_alu 0xfffe
	s_xor_b32 s2, exec_lo, s3
	s_cbranch_execz .LBB25_1177
; %bb.1176:
	v_add_f32_e64 v65, |v25|, |v25|
	s_delay_alu instid0(VALU_DEP_1) | instskip(SKIP_1) | instid1(VALU_DEP_2)
	v_mul_f32_e32 v66, 0x3fb8aa3b, v65
	v_cmp_ngt_f32_e32 vcc_lo, 0xc2ce8ed0, v65
	v_rndne_f32_e32 v67, v66
	v_fma_f32 v69, 0x3fb8aa3b, v65, -v66
	s_delay_alu instid0(VALU_DEP_1) | instskip(SKIP_1) | instid1(VALU_DEP_2)
	v_dual_sub_f32 v66, v66, v67 :: v_dual_fmamk_f32 v69, v65, 0x32a5705f, v69
	v_cvt_i32_f32_e32 v67, v67
	v_add_f32_e32 v66, v66, v69
	s_delay_alu instid0(VALU_DEP_1) | instskip(NEXT) | instid1(TRANS32_DEP_1)
	v_exp_f32_e32 v66, v66
	v_ldexp_f32 v66, v66, v67
	s_wait_alu 0xfffd
	s_delay_alu instid0(VALU_DEP_1) | instskip(SKIP_2) | instid1(VALU_DEP_2)
	v_cndmask_b32_e32 v66, 0, v66, vcc_lo
	v_cmp_nlt_f32_e32 vcc_lo, 0x42b17218, v65
	s_wait_alu 0xfffd
	v_cndmask_b32_e32 v65, 0x7f800000, v66, vcc_lo
	s_delay_alu instid0(VALU_DEP_1) | instskip(NEXT) | instid1(VALU_DEP_1)
	v_add_f32_e32 v65, 1.0, v65
	v_rcp_f32_e32 v65, v65
	s_delay_alu instid0(TRANS32_DEP_1)
	v_fma_f32 v65, v65, -2.0, 1.0
.LBB25_1177:
	s_wait_alu 0xfffe
	s_and_not1_saveexec_b32 s2, s2
	s_cbranch_execz .LBB25_1179
; %bb.1178:
	v_mul_f32_e32 v65, v25, v25
	s_mov_b32 s3, 0xbbbac73d
	s_wait_alu 0xfffe
	s_delay_alu instid0(VALU_DEP_1) | instskip(NEXT) | instid1(VALU_DEP_1)
	v_fmaak_f32 v66, s3, v65, 0x3ca908c9
	v_fmaak_f32 v66, v65, v66, 0xbd5c1c4e
	s_delay_alu instid0(VALU_DEP_1) | instskip(NEXT) | instid1(VALU_DEP_1)
	v_fmaak_f32 v66, v65, v66, 0x3e088382
	v_fmaak_f32 v66, v65, v66, 0xbeaaaa99
	s_delay_alu instid0(VALU_DEP_1) | instskip(NEXT) | instid1(VALU_DEP_1)
	v_mul_f32_e64 v66, |v25|, v66
	v_fma_f32 v65, v65, v66, |v25|
.LBB25_1179:
	s_wait_alu 0xfffe
	s_or_b32 exec_lo, exec_lo, s2
	v_cmp_ngt_f32_e64 s2, 0x3f200000, |v26|
                                        ; implicit-def: $vgpr67
	s_and_saveexec_b32 s3, s2
	s_wait_alu 0xfffe
	s_xor_b32 s2, exec_lo, s3
	s_cbranch_execz .LBB25_1181
; %bb.1180:
	v_add_f32_e64 v66, |v26|, |v26|
	s_delay_alu instid0(VALU_DEP_1) | instskip(SKIP_1) | instid1(VALU_DEP_2)
	v_mul_f32_e32 v67, 0x3fb8aa3b, v66
	v_cmp_ngt_f32_e32 vcc_lo, 0xc2ce8ed0, v66
	v_rndne_f32_e32 v69, v67
	v_fma_f32 v70, 0x3fb8aa3b, v66, -v67
	s_delay_alu instid0(VALU_DEP_1) | instskip(SKIP_1) | instid1(VALU_DEP_2)
	v_dual_sub_f32 v67, v67, v69 :: v_dual_fmamk_f32 v70, v66, 0x32a5705f, v70
	v_cvt_i32_f32_e32 v69, v69
	v_add_f32_e32 v67, v67, v70
	s_delay_alu instid0(VALU_DEP_1) | instskip(NEXT) | instid1(TRANS32_DEP_1)
	v_exp_f32_e32 v67, v67
	v_ldexp_f32 v67, v67, v69
	s_wait_alu 0xfffd
	s_delay_alu instid0(VALU_DEP_1) | instskip(SKIP_2) | instid1(VALU_DEP_2)
	v_cndmask_b32_e32 v67, 0, v67, vcc_lo
	v_cmp_nlt_f32_e32 vcc_lo, 0x42b17218, v66
	s_wait_alu 0xfffd
	v_cndmask_b32_e32 v66, 0x7f800000, v67, vcc_lo
	s_delay_alu instid0(VALU_DEP_1) | instskip(NEXT) | instid1(VALU_DEP_1)
	v_add_f32_e32 v66, 1.0, v66
	v_rcp_f32_e32 v66, v66
	s_delay_alu instid0(TRANS32_DEP_1)
	v_fma_f32 v67, v66, -2.0, 1.0
.LBB25_1181:
	s_wait_alu 0xfffe
	s_and_not1_saveexec_b32 s2, s2
	s_cbranch_execz .LBB25_1183
; %bb.1182:
	v_mul_f32_e32 v66, v26, v26
	s_mov_b32 s3, 0xbbbac73d
	s_wait_alu 0xfffe
	s_delay_alu instid0(VALU_DEP_1) | instskip(NEXT) | instid1(VALU_DEP_1)
	v_fmaak_f32 v67, s3, v66, 0x3ca908c9
	v_fmaak_f32 v67, v66, v67, 0xbd5c1c4e
	s_delay_alu instid0(VALU_DEP_1) | instskip(NEXT) | instid1(VALU_DEP_1)
	v_fmaak_f32 v67, v66, v67, 0x3e088382
	v_fmaak_f32 v67, v66, v67, 0xbeaaaa99
	s_delay_alu instid0(VALU_DEP_1) | instskip(NEXT) | instid1(VALU_DEP_1)
	v_mul_f32_e64 v67, |v26|, v67
	v_fma_f32 v67, v66, v67, |v26|
.LBB25_1183:
	s_wait_alu 0xfffe
	s_or_b32 exec_lo, exec_lo, s2
	v_cmp_ngt_f32_e64 s2, 0x3f200000, |v27|
                                        ; implicit-def: $vgpr69
	s_and_saveexec_b32 s3, s2
	s_wait_alu 0xfffe
	s_xor_b32 s2, exec_lo, s3
	s_cbranch_execz .LBB25_1185
; %bb.1184:
	v_add_f32_e64 v66, |v27|, |v27|
	s_delay_alu instid0(VALU_DEP_1) | instskip(SKIP_1) | instid1(VALU_DEP_2)
	v_mul_f32_e32 v69, 0x3fb8aa3b, v66
	v_cmp_ngt_f32_e32 vcc_lo, 0xc2ce8ed0, v66
	v_rndne_f32_e32 v70, v69
	v_fma_f32 v71, 0x3fb8aa3b, v66, -v69
	s_delay_alu instid0(VALU_DEP_2) | instskip(NEXT) | instid1(VALU_DEP_2)
	v_sub_f32_e32 v69, v69, v70
	v_fmamk_f32 v71, v66, 0x32a5705f, v71
	v_cvt_i32_f32_e32 v70, v70
	s_delay_alu instid0(VALU_DEP_2) | instskip(NEXT) | instid1(VALU_DEP_1)
	v_add_f32_e32 v69, v69, v71
	v_exp_f32_e32 v69, v69
	s_delay_alu instid0(TRANS32_DEP_1) | instskip(SKIP_1) | instid1(VALU_DEP_1)
	v_ldexp_f32 v69, v69, v70
	s_wait_alu 0xfffd
	v_cndmask_b32_e32 v69, 0, v69, vcc_lo
	v_cmp_nlt_f32_e32 vcc_lo, 0x42b17218, v66
	s_wait_alu 0xfffd
	s_delay_alu instid0(VALU_DEP_2) | instskip(NEXT) | instid1(VALU_DEP_1)
	v_cndmask_b32_e32 v66, 0x7f800000, v69, vcc_lo
	v_add_f32_e32 v66, 1.0, v66
	s_delay_alu instid0(VALU_DEP_1) | instskip(NEXT) | instid1(TRANS32_DEP_1)
	v_rcp_f32_e32 v66, v66
	v_fma_f32 v69, v66, -2.0, 1.0
.LBB25_1185:
	s_wait_alu 0xfffe
	s_and_not1_saveexec_b32 s2, s2
	s_cbranch_execz .LBB25_1187
; %bb.1186:
	v_mul_f32_e32 v66, v27, v27
	s_mov_b32 s3, 0xbbbac73d
	s_wait_alu 0xfffe
	s_delay_alu instid0(VALU_DEP_1) | instskip(NEXT) | instid1(VALU_DEP_1)
	v_fmaak_f32 v69, s3, v66, 0x3ca908c9
	v_fmaak_f32 v69, v66, v69, 0xbd5c1c4e
	s_delay_alu instid0(VALU_DEP_1) | instskip(NEXT) | instid1(VALU_DEP_1)
	v_fmaak_f32 v69, v66, v69, 0x3e088382
	v_fmaak_f32 v69, v66, v69, 0xbeaaaa99
	s_delay_alu instid0(VALU_DEP_1) | instskip(NEXT) | instid1(VALU_DEP_1)
	v_mul_f32_e64 v69, |v27|, v69
	v_fma_f32 v69, v66, v69, |v27|
.LBB25_1187:
	s_wait_alu 0xfffe
	s_or_b32 exec_lo, exec_lo, s2
	v_cmp_ngt_f32_e64 s2, 0x3f200000, |v28|
                                        ; implicit-def: $vgpr70
	s_and_saveexec_b32 s3, s2
	s_wait_alu 0xfffe
	s_xor_b32 s2, exec_lo, s3
	s_cbranch_execz .LBB25_1189
; %bb.1188:
	v_add_f32_e64 v66, |v28|, |v28|
	s_delay_alu instid0(VALU_DEP_1) | instskip(SKIP_1) | instid1(VALU_DEP_2)
	v_mul_f32_e32 v70, 0x3fb8aa3b, v66
	v_cmp_ngt_f32_e32 vcc_lo, 0xc2ce8ed0, v66
	v_rndne_f32_e32 v71, v70
	v_fma_f32 v72, 0x3fb8aa3b, v66, -v70
	s_delay_alu instid0(VALU_DEP_2) | instskip(NEXT) | instid1(VALU_DEP_2)
	v_sub_f32_e32 v70, v70, v71
	v_fmamk_f32 v72, v66, 0x32a5705f, v72
	v_cvt_i32_f32_e32 v71, v71
	s_delay_alu instid0(VALU_DEP_2) | instskip(NEXT) | instid1(VALU_DEP_1)
	v_add_f32_e32 v70, v70, v72
	v_exp_f32_e32 v70, v70
	s_delay_alu instid0(TRANS32_DEP_1) | instskip(SKIP_1) | instid1(VALU_DEP_1)
	v_ldexp_f32 v70, v70, v71
	s_wait_alu 0xfffd
	v_cndmask_b32_e32 v70, 0, v70, vcc_lo
	v_cmp_nlt_f32_e32 vcc_lo, 0x42b17218, v66
	s_wait_alu 0xfffd
	s_delay_alu instid0(VALU_DEP_2) | instskip(NEXT) | instid1(VALU_DEP_1)
	v_cndmask_b32_e32 v66, 0x7f800000, v70, vcc_lo
	v_add_f32_e32 v66, 1.0, v66
	s_delay_alu instid0(VALU_DEP_1) | instskip(NEXT) | instid1(TRANS32_DEP_1)
	v_rcp_f32_e32 v66, v66
	v_fma_f32 v70, v66, -2.0, 1.0
.LBB25_1189:
	s_wait_alu 0xfffe
	s_and_not1_saveexec_b32 s2, s2
	s_cbranch_execz .LBB25_1191
; %bb.1190:
	v_mul_f32_e32 v66, v28, v28
	s_mov_b32 s3, 0xbbbac73d
	s_wait_alu 0xfffe
	s_delay_alu instid0(VALU_DEP_1) | instskip(NEXT) | instid1(VALU_DEP_1)
	v_fmaak_f32 v70, s3, v66, 0x3ca908c9
	v_fmaak_f32 v70, v66, v70, 0xbd5c1c4e
	s_delay_alu instid0(VALU_DEP_1) | instskip(NEXT) | instid1(VALU_DEP_1)
	v_fmaak_f32 v70, v66, v70, 0x3e088382
	v_fmaak_f32 v70, v66, v70, 0xbeaaaa99
	s_delay_alu instid0(VALU_DEP_1) | instskip(NEXT) | instid1(VALU_DEP_1)
	v_mul_f32_e64 v70, |v28|, v70
	v_fma_f32 v70, v66, v70, |v28|
.LBB25_1191:
	s_wait_alu 0xfffe
	s_or_b32 exec_lo, exec_lo, s2
	v_cmp_ngt_f32_e64 s2, 0x3f200000, |v29|
                                        ; implicit-def: $vgpr71
	s_and_saveexec_b32 s3, s2
	s_wait_alu 0xfffe
	s_xor_b32 s2, exec_lo, s3
	s_cbranch_execz .LBB25_1193
; %bb.1192:
	v_add_f32_e64 v66, |v29|, |v29|
	s_delay_alu instid0(VALU_DEP_1) | instskip(SKIP_1) | instid1(VALU_DEP_2)
	v_mul_f32_e32 v71, 0x3fb8aa3b, v66
	v_cmp_ngt_f32_e32 vcc_lo, 0xc2ce8ed0, v66
	v_rndne_f32_e32 v72, v71
	v_fma_f32 v73, 0x3fb8aa3b, v66, -v71
	s_delay_alu instid0(VALU_DEP_2) | instskip(NEXT) | instid1(VALU_DEP_2)
	v_sub_f32_e32 v71, v71, v72
	v_fmamk_f32 v73, v66, 0x32a5705f, v73
	v_cvt_i32_f32_e32 v72, v72
	s_delay_alu instid0(VALU_DEP_2) | instskip(NEXT) | instid1(VALU_DEP_1)
	v_add_f32_e32 v71, v71, v73
	v_exp_f32_e32 v71, v71
	s_delay_alu instid0(TRANS32_DEP_1) | instskip(SKIP_1) | instid1(VALU_DEP_1)
	v_ldexp_f32 v71, v71, v72
	s_wait_alu 0xfffd
	v_cndmask_b32_e32 v71, 0, v71, vcc_lo
	v_cmp_nlt_f32_e32 vcc_lo, 0x42b17218, v66
	s_wait_alu 0xfffd
	s_delay_alu instid0(VALU_DEP_2) | instskip(NEXT) | instid1(VALU_DEP_1)
	v_cndmask_b32_e32 v66, 0x7f800000, v71, vcc_lo
	v_add_f32_e32 v66, 1.0, v66
	s_delay_alu instid0(VALU_DEP_1) | instskip(NEXT) | instid1(TRANS32_DEP_1)
	v_rcp_f32_e32 v66, v66
	v_fma_f32 v71, v66, -2.0, 1.0
.LBB25_1193:
	s_wait_alu 0xfffe
	s_and_not1_saveexec_b32 s2, s2
	s_cbranch_execz .LBB25_1195
; %bb.1194:
	v_mul_f32_e32 v66, v29, v29
	s_mov_b32 s3, 0xbbbac73d
	s_wait_alu 0xfffe
	s_delay_alu instid0(VALU_DEP_1) | instskip(NEXT) | instid1(VALU_DEP_1)
	v_fmaak_f32 v71, s3, v66, 0x3ca908c9
	v_fmaak_f32 v71, v66, v71, 0xbd5c1c4e
	s_delay_alu instid0(VALU_DEP_1) | instskip(NEXT) | instid1(VALU_DEP_1)
	v_fmaak_f32 v71, v66, v71, 0x3e088382
	v_fmaak_f32 v71, v66, v71, 0xbeaaaa99
	s_delay_alu instid0(VALU_DEP_1) | instskip(NEXT) | instid1(VALU_DEP_1)
	v_mul_f32_e64 v71, |v29|, v71
	v_fma_f32 v71, v66, v71, |v29|
.LBB25_1195:
	s_wait_alu 0xfffe
	s_or_b32 exec_lo, exec_lo, s2
	v_cmp_ngt_f32_e64 s2, 0x3f200000, |v30|
                                        ; implicit-def: $vgpr72
	s_and_saveexec_b32 s3, s2
	s_wait_alu 0xfffe
	s_xor_b32 s2, exec_lo, s3
	s_cbranch_execz .LBB25_1197
; %bb.1196:
	v_add_f32_e64 v66, |v30|, |v30|
	s_delay_alu instid0(VALU_DEP_1) | instskip(SKIP_1) | instid1(VALU_DEP_2)
	v_mul_f32_e32 v72, 0x3fb8aa3b, v66
	v_cmp_ngt_f32_e32 vcc_lo, 0xc2ce8ed0, v66
	v_rndne_f32_e32 v73, v72
	v_fma_f32 v74, 0x3fb8aa3b, v66, -v72
	s_delay_alu instid0(VALU_DEP_2) | instskip(NEXT) | instid1(VALU_DEP_2)
	v_sub_f32_e32 v72, v72, v73
	v_fmamk_f32 v74, v66, 0x32a5705f, v74
	v_cvt_i32_f32_e32 v73, v73
	s_delay_alu instid0(VALU_DEP_2) | instskip(NEXT) | instid1(VALU_DEP_1)
	v_add_f32_e32 v72, v72, v74
	v_exp_f32_e32 v72, v72
	s_delay_alu instid0(TRANS32_DEP_1) | instskip(SKIP_1) | instid1(VALU_DEP_1)
	v_ldexp_f32 v72, v72, v73
	s_wait_alu 0xfffd
	v_cndmask_b32_e32 v72, 0, v72, vcc_lo
	v_cmp_nlt_f32_e32 vcc_lo, 0x42b17218, v66
	s_wait_alu 0xfffd
	s_delay_alu instid0(VALU_DEP_2) | instskip(NEXT) | instid1(VALU_DEP_1)
	v_cndmask_b32_e32 v66, 0x7f800000, v72, vcc_lo
	v_add_f32_e32 v66, 1.0, v66
	s_delay_alu instid0(VALU_DEP_1) | instskip(NEXT) | instid1(TRANS32_DEP_1)
	v_rcp_f32_e32 v66, v66
	v_fma_f32 v72, v66, -2.0, 1.0
.LBB25_1197:
	s_wait_alu 0xfffe
	s_and_not1_saveexec_b32 s2, s2
	s_cbranch_execz .LBB25_1199
; %bb.1198:
	v_mul_f32_e32 v66, v30, v30
	s_mov_b32 s3, 0xbbbac73d
	s_wait_alu 0xfffe
	s_delay_alu instid0(VALU_DEP_1) | instskip(NEXT) | instid1(VALU_DEP_1)
	v_fmaak_f32 v72, s3, v66, 0x3ca908c9
	v_fmaak_f32 v72, v66, v72, 0xbd5c1c4e
	s_delay_alu instid0(VALU_DEP_1) | instskip(NEXT) | instid1(VALU_DEP_1)
	v_fmaak_f32 v72, v66, v72, 0x3e088382
	v_fmaak_f32 v72, v66, v72, 0xbeaaaa99
	s_delay_alu instid0(VALU_DEP_1) | instskip(NEXT) | instid1(VALU_DEP_1)
	v_mul_f32_e64 v72, |v30|, v72
	v_fma_f32 v72, v66, v72, |v30|
.LBB25_1199:
	s_wait_alu 0xfffe
	s_or_b32 exec_lo, exec_lo, s2
	v_cmp_ngt_f32_e64 s2, 0x3f200000, |v31|
                                        ; implicit-def: $vgpr73
	s_and_saveexec_b32 s3, s2
	s_wait_alu 0xfffe
	s_xor_b32 s2, exec_lo, s3
	s_cbranch_execz .LBB25_1201
; %bb.1200:
	v_add_f32_e64 v66, |v31|, |v31|
	s_delay_alu instid0(VALU_DEP_1) | instskip(SKIP_1) | instid1(VALU_DEP_2)
	v_mul_f32_e32 v73, 0x3fb8aa3b, v66
	v_cmp_ngt_f32_e32 vcc_lo, 0xc2ce8ed0, v66
	v_rndne_f32_e32 v74, v73
	v_fma_f32 v75, 0x3fb8aa3b, v66, -v73
	s_delay_alu instid0(VALU_DEP_2) | instskip(NEXT) | instid1(VALU_DEP_2)
	v_sub_f32_e32 v73, v73, v74
	v_fmamk_f32 v75, v66, 0x32a5705f, v75
	v_cvt_i32_f32_e32 v74, v74
	s_delay_alu instid0(VALU_DEP_2) | instskip(NEXT) | instid1(VALU_DEP_1)
	v_add_f32_e32 v73, v73, v75
	v_exp_f32_e32 v73, v73
	s_delay_alu instid0(TRANS32_DEP_1) | instskip(SKIP_1) | instid1(VALU_DEP_1)
	v_ldexp_f32 v73, v73, v74
	s_wait_alu 0xfffd
	v_cndmask_b32_e32 v73, 0, v73, vcc_lo
	v_cmp_nlt_f32_e32 vcc_lo, 0x42b17218, v66
	s_wait_alu 0xfffd
	s_delay_alu instid0(VALU_DEP_2) | instskip(NEXT) | instid1(VALU_DEP_1)
	v_cndmask_b32_e32 v66, 0x7f800000, v73, vcc_lo
	v_add_f32_e32 v66, 1.0, v66
	s_delay_alu instid0(VALU_DEP_1) | instskip(NEXT) | instid1(TRANS32_DEP_1)
	v_rcp_f32_e32 v66, v66
	v_fma_f32 v73, v66, -2.0, 1.0
.LBB25_1201:
	s_wait_alu 0xfffe
	s_and_not1_saveexec_b32 s2, s2
	s_cbranch_execz .LBB25_1203
; %bb.1202:
	v_mul_f32_e32 v66, v31, v31
	s_mov_b32 s3, 0xbbbac73d
	s_wait_alu 0xfffe
	s_delay_alu instid0(VALU_DEP_1) | instskip(NEXT) | instid1(VALU_DEP_1)
	v_fmaak_f32 v73, s3, v66, 0x3ca908c9
	v_fmaak_f32 v73, v66, v73, 0xbd5c1c4e
	s_delay_alu instid0(VALU_DEP_1) | instskip(NEXT) | instid1(VALU_DEP_1)
	v_fmaak_f32 v73, v66, v73, 0x3e088382
	v_fmaak_f32 v73, v66, v73, 0xbeaaaa99
	s_delay_alu instid0(VALU_DEP_1) | instskip(NEXT) | instid1(VALU_DEP_1)
	v_mul_f32_e64 v73, |v31|, v73
	v_fma_f32 v73, v66, v73, |v31|
.LBB25_1203:
	s_wait_alu 0xfffe
	s_or_b32 exec_lo, exec_lo, s2
	scratch_load_b64 v[158:159], off, off offset:96 ; 8-byte Folded Reload
	v_bfi_b32 v78, 0x7fffffff, v152, v7
	scratch_load_b32 v7, off, off offset:128 th:TH_LOAD_LU ; 4-byte Folded Reload
	v_bfi_b32 v23, 0x7fffffff, v68, v23
	v_bfi_b32 v68, 0x7fffffff, v129, v16
	;; [unrolled: 1-line block ×20, first 2 shown]
	s_ashr_i32 s27, s26, 31
	s_mov_b32 s2, exec_lo
	s_wait_alu 0xfffe
	s_mul_u64 s[0:1], s[0:1], s[26:27]
	s_wait_alu 0xfffe
	s_lshl_b64 s[0:1], s[0:1], 2
	s_wait_alu 0xfffe
	s_add_nc_u64 s[0:1], s[8:9], s[0:1]
	s_wait_loadcnt 0x1
	v_and_or_b32 v66, v158, 14, v200
	v_lshrrev_b32_e32 v74, 1, v158
	s_delay_alu instid0(VALU_DEP_2) | instskip(NEXT) | instid1(VALU_DEP_2)
	v_lshrrev_b32_e32 v75, 1, v66
	v_and_b32_e32 v66, 0x1f8, v74
	v_bfi_b32 v74, 0x7fffffff, v130, v17
	s_delay_alu instid0(VALU_DEP_3) | instskip(SKIP_1) | instid1(VALU_DEP_2)
	v_mad_u32_u24 v16, 0x90, v75, 0
	v_bfi_b32 v75, 0x7fffffff, v153, v8
	v_lshl_add_u32 v17, v66, 1, v16
	s_delay_alu instid0(VALU_DEP_1)
	v_add_nc_u32_e32 v8, 0x4400, v17
	v_add_nc_u32_e32 v6, 0x4448, v17
	;; [unrolled: 1-line block ×3, first 2 shown]
	ds_load_2addr_b32 v[8:9], v8 offset1:1
	s_wait_dscnt 0x0
	v_fma_mix_f32 v81, s7, v81, v9 op_sel_hi:[0,0,1]
	s_wait_loadcnt 0x0
	v_add_nc_u32_e32 v7, v16, v7
	v_fma_mix_f32 v84, s7, v84, v9 op_sel:[0,0,1] op_sel_hi:[0,0,1]
	v_add_nc_u32_e32 v16, 0x4420, v17
	v_fma_mix_f32 v79, s7, v79, v8 op_sel_hi:[0,0,1]
	ds_load_b32 v82, v7 offset:17408
	ds_load_2addr_b32 v[0:1], v16 offset1:1
	ds_load_b32 v83, v17 offset:17416
	v_fma_mix_f32 v80, s7, v80, v8 op_sel:[0,0,1] op_sel_hi:[0,0,1]
	v_add_f32_e32 v8, 0x40051340, v79
	v_add_nc_u32_e32 v16, 0x4460, v17
	s_delay_alu instid0(VALU_DEP_3) | instskip(NEXT) | instid1(VALU_DEP_1)
	v_add_f32_e32 v9, 0x40051340, v80
	v_max3_num_f32 v8, v96, v8, v9
	s_wait_dscnt 0x2
	v_fma_mix_f32 v78, s7, v78, v82 op_sel:[0,0,1] op_sel_hi:[0,0,1]
	v_add_nc_u32_e32 v4, 0x4440, v17
	s_wait_dscnt 0x0
	v_fma_mix_f32 v85, s7, v85, v83 op_sel_hi:[0,0,1]
	v_fma_mix_f32 v83, s7, v86, v83 op_sel:[0,0,1] op_sel_hi:[0,0,1]
	v_add_nc_u32_e32 v2, 0x4428, v17
	v_dual_add_f32 v86, 0x40051340, v81 :: v_dual_add_f32 v89, 0x40051340, v84
	ds_load_2addr_b32 v[2:3], v2 offset1:1
	ds_load_2addr_b32 v[4:5], v4 offset1:1
	;; [unrolled: 1-line block ×4, first 2 shown]
	v_fma_mix_f32 v87, s7, v87, v82 op_sel_hi:[0,0,1]
	v_dual_add_f32 v9, 0x40051340, v85 :: v_dual_add_f32 v82, 0x40051340, v83
	v_max3_num_f32 v8, v8, v86, v89
	v_fma_mix_f32 v75, s7, v75, v0 op_sel_hi:[0,0,1]
	v_fma_mix_f32 v77, s7, v77, v0 op_sel:[0,0,1] op_sel_hi:[0,0,1]
	v_add_f32_e32 v0, 0x40051340, v87
	v_add_f32_e32 v86, 0x40051340, v78
	v_max3_num_f32 v8, v8, v9, v82
	v_fma_mix_f32 v82, s7, v10, v1 op_sel_hi:[0,0,1]
	v_fma_mix_f32 v89, s7, v11, v1 op_sel:[0,0,1] op_sel_hi:[0,0,1]
	v_add_f32_e32 v1, 0x40051340, v75
	v_add_f32_e32 v9, 0x40051340, v77
	v_max3_num_f32 v0, v8, v0, v86
	s_wait_dscnt 0x3
	v_fma_mix_f32 v86, s7, v12, v2 op_sel_hi:[0,0,1]
	v_fma_mix_f32 v90, s7, v13, v2 op_sel:[0,0,1] op_sel_hi:[0,0,1]
	v_add_f32_e32 v2, 0x40051340, v82
	v_add_f32_e32 v8, 0x40051340, v89
	v_max3_num_f32 v0, v0, v1, v9
	v_fma_mix_f32 v14, s7, v14, v3 op_sel_hi:[0,0,1]
	v_fma_mix_f32 v91, s7, v15, v3 op_sel:[0,0,1] op_sel_hi:[0,0,1]
	v_add_f32_e32 v1, 0x40051340, v86
	v_add_f32_e32 v3, 0x40051340, v90
	v_max3_num_f32 v0, v0, v2, v8
	s_wait_dscnt 0x2
	v_fma_mix_f32 v92, s7, v68, v4 op_sel_hi:[0,0,1]
	v_fma_mix_f32 v15, s7, v74, v4 op_sel:[0,0,1] op_sel_hi:[0,0,1]
	v_add_f32_e32 v2, 0x40051340, v14
	v_add_f32_e32 v4, 0x40051340, v91
	v_max3_num_f32 v0, v0, v1, v3
	v_fma_mix_f32 v13, s7, v18, v5 op_sel_hi:[0,0,1]
	v_add_f32_e32 v1, 0x40051340, v92
	v_add_f32_e32 v3, 0x40051340, v15
	v_fma_mix_f32 v12, s7, v19, v5 op_sel:[0,0,1] op_sel_hi:[0,0,1]
	v_max3_num_f32 v0, v0, v2, v4
	v_add_f32_e32 v2, 0x40051340, v13
	s_wait_dscnt 0x1
	v_fma_mix_f32 v11, s7, v20, v6 op_sel_hi:[0,0,1]
	v_fma_mix_f32 v10, s7, v21, v6 op_sel:[0,0,1] op_sel_hi:[0,0,1]
	v_add_f32_e32 v4, 0x40051340, v12
	v_max3_num_f32 v0, v0, v1, v3
	v_bfi_b32 v1, 0x7fffffff, v76, v22
	ds_load_2addr_b32 v[18:19], v88 offset1:1
	v_add_f32_e32 v3, 0x40051340, v11
	v_fma_mix_f32 v8, s7, v23, v7 op_sel:[0,0,1] op_sel_hi:[0,0,1]
	v_add_f32_e32 v5, 0x40051340, v10
	v_fma_mix_f32 v9, s7, v1, v7 op_sel_hi:[0,0,1]
	v_bfi_b32 v1, 0x7fffffff, v64, v24
	v_max3_num_f32 v0, v0, v2, v4
	v_bfi_b32 v2, 0x7fffffff, v65, v25
	v_add_f32_e32 v4, 0x40051340, v8
	v_mbcnt_lo_u32_b32 v21, -1, 0
	s_wait_dscnt 0x1
	v_fma_mix_f32 v7, s7, v1, v16 op_sel_hi:[0,0,1]
	v_bfi_b32 v1, 0x7fffffff, v67, v26
	v_max3_num_f32 v0, v0, v3, v5
	v_fma_mix_f32 v5, s7, v2, v16 op_sel:[0,0,1] op_sel_hi:[0,0,1]
	v_bfi_b32 v2, 0x7fffffff, v69, v27
	s_delay_alu instid0(VALU_DEP_4) | instskip(SKIP_1) | instid1(VALU_DEP_4)
	v_fma_mix_f32 v6, s7, v1, v17 op_sel_hi:[0,0,1]
	v_add_f32_e32 v3, 0x40051340, v9
	v_add_f32_e32 v16, 0x40051340, v5
	v_bfi_b32 v1, 0x7fffffff, v70, v28
	s_delay_alu instid0(VALU_DEP_3) | instskip(SKIP_3) | instid1(VALU_DEP_3)
	v_max3_num_f32 v0, v0, v3, v4
	v_add_f32_e32 v3, 0x40051340, v7
	v_fma_mix_f32 v4, s7, v2, v17 op_sel:[0,0,1] op_sel_hi:[0,0,1]
	v_bfi_b32 v2, 0x7fffffff, v71, v29
	v_max3_num_f32 v0, v0, v3, v16
	v_add_f32_e32 v16, 0x40051340, v6
	s_wait_dscnt 0x0
	v_fma_mix_f32 v3, s7, v1, v18 op_sel_hi:[0,0,1]
	v_fma_mix_f32 v2, s7, v2, v18 op_sel:[0,0,1] op_sel_hi:[0,0,1]
	v_add_f32_e32 v17, 0x40051340, v4
	v_bfi_b32 v18, 0x7fffffff, v73, v31
	v_bfi_b32 v1, 0x7fffffff, v72, v30
	s_delay_alu instid0(VALU_DEP_4) | instskip(NEXT) | instid1(VALU_DEP_4)
	v_add_f32_e32 v20, 0x40051340, v2
	v_max3_num_f32 v16, v0, v16, v17
	s_delay_alu instid0(VALU_DEP_4) | instskip(SKIP_2) | instid1(VALU_DEP_3)
	v_fma_mix_f32 v0, s7, v18, v19 op_sel:[0,0,1] op_sel_hi:[0,0,1]
	v_xor_b32_e32 v18, 16, v21
	v_fma_mix_f32 v1, s7, v1, v19 op_sel_hi:[0,0,1]
	v_add_f32_e32 v19, 0x40051340, v0
	s_delay_alu instid0(VALU_DEP_3) | instskip(SKIP_2) | instid1(VALU_DEP_1)
	v_cmp_gt_i32_e32 vcc_lo, 32, v18
	s_wait_alu 0xfffd
	v_dual_add_f32 v17, 0x40051340, v3 :: v_dual_cndmask_b32 v18, v21, v18
	v_max3_num_f32 v16, v16, v17, v20
	v_add_f32_e32 v17, 0x40051340, v1
	s_delay_alu instid0(VALU_DEP_3) | instskip(NEXT) | instid1(VALU_DEP_2)
	v_lshlrev_b32_e32 v65, 2, v18
	v_max3_num_f32 v16, v16, v17, v19
	ds_bpermute_b32 v17, v65, v16
	s_wait_dscnt 0x0
	v_max_num_f32_e32 v17, v17, v17
	s_delay_alu instid0(VALU_DEP_1) | instskip(NEXT) | instid1(VALU_DEP_1)
	v_max_num_f32_e32 v64, v16, v17
	v_sub_f32_e32 v16, v79, v64
	v_sub_f32_e32 v21, v83, v64
	;; [unrolled: 1-line block ×5, first 2 shown]
	s_delay_alu instid0(VALU_DEP_4) | instskip(NEXT) | instid1(VALU_DEP_4)
	v_dual_mul_f32 v24, 0x3fb8aa3b, v16 :: v_dual_mul_f32 v29, 0x3fb8aa3b, v21
	v_mul_f32_e32 v25, 0x3fb8aa3b, v17
	v_cmp_ngt_f32_e32 vcc_lo, 0xc2ce8ed0, v16
	v_sub_f32_e32 v19, v84, v64
	s_delay_alu instid0(VALU_DEP_4) | instskip(SKIP_4) | instid1(VALU_DEP_4)
	v_fma_f32 v31, 0x3fb8aa3b, v16, -v24
	v_rndne_f32_e32 v67, v24
	v_fma_f32 v68, 0x3fb8aa3b, v17, -v25
	v_rndne_f32_e32 v69, v25
	v_mul_f32_e32 v26, 0x3fb8aa3b, v18
	v_dual_fmac_f32 v31, 0x32a5705f, v16 :: v_dual_sub_f32 v24, v24, v67
	v_cvt_i32_f32_e32 v67, v67
	v_fmac_f32_e32 v68, 0x32a5705f, v17
	v_sub_f32_e32 v25, v25, v69
	v_fma_f32 v70, 0x3fb8aa3b, v18, -v26
	v_add_f32_e32 v24, v24, v31
	v_rndne_f32_e32 v71, v26
	v_dual_sub_f32 v22, v87, v64 :: v_dual_mul_f32 v27, 0x3fb8aa3b, v19
	v_add_f32_e32 v25, v25, v68
	s_delay_alu instid0(VALU_DEP_4)
	v_exp_f32_e32 v24, v24
	v_fmac_f32_e32 v70, 0x32a5705f, v18
	v_cvt_i32_f32_e32 v69, v69
	v_fma_f32 v72, 0x3fb8aa3b, v19, -v27
	v_exp_f32_e32 v25, v25
	v_rndne_f32_e32 v73, v27
	v_mul_f32_e32 v28, 0x3fb8aa3b, v20
	v_cvt_i32_f32_e32 v31, v71
	v_sub_f32_e32 v23, v78, v64
	v_fma_f32 v78, 0x3fb8aa3b, v21, -v29
	v_ldexp_f32 v24, v24, v67
	v_sub_f32_e32 v27, v27, v73
	v_rndne_f32_e32 v79, v29
	v_cvt_i32_f32_e32 v68, v73
	v_ldexp_f32 v25, v25, v69
	s_wait_alu 0xfffd
	v_cndmask_b32_e32 v24, 0, v24, vcc_lo
	v_sub_f32_e32 v26, v26, v71
	v_cmp_ngt_f32_e32 vcc_lo, 0xc2ce8ed0, v17
	v_mul_f32_e32 v30, 0x3fb8aa3b, v22
	v_dual_fmac_f32 v78, 0x32a5705f, v21 :: v_dual_sub_f32 v29, v29, v79
	s_wait_alu 0xfffd
	v_dual_add_f32 v26, v26, v70 :: v_dual_cndmask_b32 v25, 0, v25
	s_delay_alu instid0(VALU_DEP_3) | instskip(SKIP_2) | instid1(VALU_DEP_4)
	v_rndne_f32_e32 v81, v30
	v_fmac_f32_e32 v72, 0x32a5705f, v19
	v_cmp_ngt_f32_e32 vcc_lo, 0xc2ce8ed0, v18
	v_exp_f32_e32 v26, v26
	v_fma_f32 v74, 0x3fb8aa3b, v20, -v28
	v_rndne_f32_e32 v76, v28
	v_add_f32_e32 v27, v27, v72
	v_fma_f32 v80, 0x3fb8aa3b, v22, -v30
	v_sub_f32_e32 v12, v12, v64
	v_sub_f32_e32 v10, v10, v64
	;; [unrolled: 1-line block ×3, first 2 shown]
	v_exp_f32_e32 v27, v27
	v_fmac_f32_e32 v80, 0x32a5705f, v22
	v_ldexp_f32 v26, v26, v31
	v_sub_f32_e32 v8, v8, v64
	v_sub_f32_e32 v4, v4, v64
	;; [unrolled: 1-line block ×4, first 2 shown]
	s_wait_alu 0xfffd
	v_cndmask_b32_e32 v26, 0, v26, vcc_lo
	v_cmp_nlt_f32_e32 vcc_lo, 0x42b17218, v16
	v_sub_f32_e32 v15, v15, v64
	v_ldexp_f32 v27, v27, v68
	v_sub_f32_e32 v13, v13, v64
	v_sub_f32_e32 v11, v11, v64
	s_wait_alu 0xfffd
	v_cndmask_b32_e32 v67, 0x7f800000, v24, vcc_lo
	v_cmp_nlt_f32_e32 vcc_lo, 0x42b17218, v17
	v_add_f32_e32 v24, v29, v78
	v_dual_mul_f32 v122, 0x3fb8aa3b, v13 :: v_dual_sub_f32 v9, v9, v64
	s_wait_alu 0xfffd
	v_dual_sub_f32 v7, v7, v64 :: v_dual_cndmask_b32 v68, 0x7f800000, v25
	v_cmp_ngt_f32_e32 vcc_lo, 0xc2ce8ed0, v19
	v_cvt_i32_f32_e32 v25, v79
	v_sub_f32_e32 v5, v5, v64
	v_sub_f32_e32 v3, v3, v64
	s_wait_alu 0xfffd
	v_dual_add_f32 v17, v67, v68 :: v_dual_cndmask_b32 v16, 0, v27
	v_cmp_nlt_f32_e32 vcc_lo, 0x42b17218, v18
	v_cvt_i32_f32_e32 v18, v76
	v_sub_f32_e32 v1, v1, v64
	s_wait_alu 0xfffd
	v_dual_sub_f32 v6, v6, v64 :: v_dual_cndmask_b32 v69, 0x7f800000, v26
	v_cmp_nlt_f32_e32 vcc_lo, 0x42b17218, v19
	v_exp_f32_e32 v19, v24
	v_mul_f32_e32 v24, 0x3fb8aa3b, v23
	s_wait_alu 0xfffd
	v_cndmask_b32_e32 v70, 0x7f800000, v16, vcc_lo
	v_add_f32_e32 v16, v69, v17
	s_delay_alu instid0(VALU_DEP_3) | instskip(SKIP_3) | instid1(VALU_DEP_3)
	v_rndne_f32_e32 v27, v24
	v_dual_fmac_f32 v74, 0x32a5705f, v20 :: v_dual_sub_f32 v17, v30, v81
	v_cmp_ngt_f32_e32 vcc_lo, 0xc2ce8ed0, v20
	v_fma_f32 v26, 0x3fb8aa3b, v23, -v24
	v_dual_add_f32 v28, v28, v74 :: v_dual_add_f32 v17, v17, v80
	s_delay_alu instid0(VALU_DEP_2) | instskip(NEXT) | instid1(VALU_DEP_2)
	v_fmac_f32_e32 v26, 0x32a5705f, v23
	v_exp_f32_e32 v28, v28
	s_delay_alu instid0(VALU_DEP_2) | instskip(NEXT) | instid1(TRANS32_DEP_2)
	v_exp_f32_e32 v17, v17
	v_ldexp_f32 v18, v28, v18
	s_wait_alu 0xfffd
	s_delay_alu instid0(VALU_DEP_1) | instskip(SKIP_3) | instid1(VALU_DEP_3)
	v_cndmask_b32_e32 v18, 0, v18, vcc_lo
	v_cmp_nlt_f32_e32 vcc_lo, 0x42b17218, v20
	v_cvt_i32_f32_e32 v20, v81
	s_wait_alu 0xfffd
	v_cndmask_b32_e32 v71, 0x7f800000, v18, vcc_lo
	v_ldexp_f32 v18, v19, v25
	v_sub_f32_e32 v19, v24, v27
	v_cmp_ngt_f32_e32 vcc_lo, 0xc2ce8ed0, v21
	v_sub_f32_e32 v24, v75, v64
	v_ldexp_f32 v17, v17, v20
	v_cvt_i32_f32_e32 v20, v27
	v_add_f32_e32 v19, v19, v26
	s_wait_alu 0xfffd
	v_cndmask_b32_e32 v18, 0, v18, vcc_lo
	v_cmp_nlt_f32_e32 vcc_lo, 0x42b17218, v21
	v_sub_f32_e32 v26, v77, v64
	s_wait_alu 0xfffd
	s_delay_alu instid0(VALU_DEP_3) | instskip(SKIP_3) | instid1(VALU_DEP_2)
	v_dual_sub_f32 v27, v89, v64 :: v_dual_cndmask_b32 v72, 0x7f800000, v18
	v_exp_f32_e32 v18, v19
	v_mul_f32_e32 v19, 0x3fb8aa3b, v24
	v_cmp_ngt_f32_e32 vcc_lo, 0xc2ce8ed0, v22
	v_fma_f32 v21, 0x3fb8aa3b, v24, -v19
	s_wait_alu 0xfffd
	v_cndmask_b32_e32 v17, 0, v17, vcc_lo
	v_rndne_f32_e32 v25, v19
	v_cmp_nlt_f32_e32 vcc_lo, 0x42b17218, v22
	v_sub_f32_e32 v22, v82, v64
	v_fmac_f32_e32 v21, 0x32a5705f, v24
	s_wait_alu 0xfffd
	v_cndmask_b32_e32 v73, 0x7f800000, v17, vcc_lo
	v_ldexp_f32 v17, v18, v20
	v_dual_sub_f32 v18, v19, v25 :: v_dual_mul_f32 v19, 0x3fb8aa3b, v26
	v_cmp_ngt_f32_e32 vcc_lo, 0xc2ce8ed0, v23
	s_delay_alu instid0(VALU_DEP_2) | instskip(NEXT) | instid1(VALU_DEP_3)
	v_add_f32_e32 v18, v18, v21
	v_fma_f32 v20, 0x3fb8aa3b, v26, -v19
	s_wait_alu 0xfffd
	v_cndmask_b32_e32 v17, 0, v17, vcc_lo
	v_rndne_f32_e32 v21, v19
	v_cmp_nlt_f32_e32 vcc_lo, 0x42b17218, v23
	v_cvt_i32_f32_e32 v23, v25
	v_fmac_f32_e32 v20, 0x32a5705f, v26
	s_wait_alu 0xfffd
	v_cndmask_b32_e32 v74, 0x7f800000, v17, vcc_lo
	v_exp_f32_e32 v17, v18
	v_dual_sub_f32 v18, v19, v21 :: v_dual_mul_f32 v19, 0x3fb8aa3b, v22
	v_cmp_ngt_f32_e32 vcc_lo, 0xc2ce8ed0, v24
	v_cvt_i32_f32_e32 v21, v21
	s_delay_alu instid0(VALU_DEP_3) | instskip(NEXT) | instid1(VALU_DEP_4)
	v_add_f32_e32 v18, v18, v20
	v_fma_f32 v20, 0x3fb8aa3b, v22, -v19
	v_rndne_f32_e32 v25, v19
	s_delay_alu instid0(TRANS32_DEP_1) | instskip(NEXT) | instid1(VALU_DEP_4)
	v_ldexp_f32 v17, v17, v23
	v_exp_f32_e32 v18, v18
	s_delay_alu instid0(VALU_DEP_2)
	v_dual_fmac_f32 v20, 0x32a5705f, v22 :: v_dual_sub_f32 v19, v19, v25
	v_dual_add_f32 v16, v70, v16 :: v_dual_mul_f32 v23, 0x3fb8aa3b, v27
	s_wait_alu 0xfffd
	v_cndmask_b32_e32 v17, 0, v17, vcc_lo
	v_cmp_nlt_f32_e32 vcc_lo, 0x42b17218, v24
	v_add_f32_e32 v19, v19, v20
	v_add_f32_e32 v16, v71, v16
	v_fma_f32 v20, 0x3fb8aa3b, v27, -v23
	v_rndne_f32_e32 v28, v23
	s_wait_alu 0xfffd
	v_cndmask_b32_e32 v75, 0x7f800000, v17, vcc_lo
	v_ldexp_f32 v17, v18, v21
	v_cmp_ngt_f32_e32 vcc_lo, 0xc2ce8ed0, v26
	v_exp_f32_e32 v18, v19
	v_sub_f32_e32 v19, v23, v28
	v_cvt_i32_f32_e32 v21, v25
	v_sub_f32_e32 v25, v90, v64
	s_wait_alu 0xfffd
	v_cndmask_b32_e32 v17, 0, v17, vcc_lo
	v_cmp_nlt_f32_e32 vcc_lo, 0x42b17218, v26
	v_sub_f32_e32 v26, v91, v64
	v_fmac_f32_e32 v20, 0x32a5705f, v27
	s_wait_alu 0xfffd
	v_cndmask_b32_e32 v76, 0x7f800000, v17, vcc_lo
	v_ldexp_f32 v17, v18, v21
	s_delay_alu instid0(VALU_DEP_3) | instskip(SKIP_3) | instid1(VALU_DEP_4)
	v_add_f32_e32 v19, v19, v20
	v_sub_f32_e32 v20, v86, v64
	v_cmp_ngt_f32_e32 vcc_lo, 0xc2ce8ed0, v22
	v_cvt_i32_f32_e32 v21, v28
	v_exp_f32_e32 v18, v19
	s_delay_alu instid0(VALU_DEP_3)
	v_mul_f32_e32 v19, 0x3fb8aa3b, v20
	s_wait_alu 0xfffd
	v_cndmask_b32_e32 v17, 0, v17, vcc_lo
	v_cmp_nlt_f32_e32 vcc_lo, 0x42b17218, v22
	v_add_f32_e32 v16, v72, v16
	v_fma_f32 v23, 0x3fb8aa3b, v20, -v19
	v_rndne_f32_e32 v24, v19
	s_wait_alu 0xfffd
	v_cndmask_b32_e32 v77, 0x7f800000, v17, vcc_lo
	v_cmp_ngt_f32_e32 vcc_lo, 0xc2ce8ed0, v27
	v_ldexp_f32 v17, v18, v21
	v_fmac_f32_e32 v23, 0x32a5705f, v20
	v_dual_sub_f32 v18, v19, v24 :: v_dual_mul_f32 v19, 0x3fb8aa3b, v25
	s_wait_alu 0xfffd
	s_delay_alu instid0(VALU_DEP_3) | instskip(SKIP_1) | instid1(VALU_DEP_3)
	v_dual_add_f32 v16, v73, v16 :: v_dual_cndmask_b32 v17, 0, v17
	v_cmp_nlt_f32_e32 vcc_lo, 0x42b17218, v27
	v_add_f32_e32 v18, v18, v23
	v_fma_f32 v21, 0x3fb8aa3b, v25, -v19
	v_rndne_f32_e32 v22, v19
	v_sub_f32_e32 v23, v14, v64
	v_add_f32_e32 v16, v74, v16
	s_wait_alu 0xfffd
	v_cndmask_b32_e32 v78, 0x7f800000, v17, vcc_lo
	v_exp_f32_e32 v14, v18
	v_fmac_f32_e32 v21, 0x32a5705f, v25
	v_dual_sub_f32 v17, v19, v22 :: v_dual_mul_f32 v18, 0x3fb8aa3b, v23
	v_cvt_i32_f32_e32 v19, v24
	v_cmp_ngt_f32_e32 vcc_lo, 0xc2ce8ed0, v20
	v_cvt_i32_f32_e32 v22, v22
	s_delay_alu instid0(VALU_DEP_4) | instskip(SKIP_2) | instid1(TRANS32_DEP_1)
	v_add_f32_e32 v17, v17, v21
	v_fma_f32 v21, 0x3fb8aa3b, v23, -v18
	v_rndne_f32_e32 v24, v18
	v_ldexp_f32 v14, v14, v19
	v_mul_f32_e32 v19, 0x3fb8aa3b, v26
	v_exp_f32_e32 v17, v17
	s_delay_alu instid0(VALU_DEP_3)
	v_dual_fmac_f32 v21, 0x32a5705f, v23 :: v_dual_sub_f32 v18, v18, v24
	s_wait_alu 0xfffd
	v_cndmask_b32_e32 v14, 0, v14, vcc_lo
	v_rndne_f32_e32 v27, v19
	v_cmp_nlt_f32_e32 vcc_lo, 0x42b17218, v20
	v_add_f32_e32 v16, v75, v16
	v_add_f32_e32 v18, v18, v21
	v_fma_f32 v21, 0x3fb8aa3b, v26, -v19
	v_cvt_i32_f32_e32 v20, v24
	s_wait_alu 0xfffd
	v_cndmask_b32_e32 v79, 0x7f800000, v14, vcc_lo
	v_ldexp_f32 v14, v17, v22
	v_exp_f32_e32 v17, v18
	v_dual_fmac_f32 v21, 0x32a5705f, v26 :: v_dual_sub_f32 v18, v19, v27
	v_cmp_ngt_f32_e32 vcc_lo, 0xc2ce8ed0, v25
	s_wait_alu 0xfffd
	s_delay_alu instid0(VALU_DEP_2) | instskip(SKIP_3) | instid1(TRANS32_DEP_1)
	v_dual_add_f32 v18, v18, v21 :: v_dual_cndmask_b32 v19, 0, v14
	v_sub_f32_e32 v14, v92, v64
	v_cmp_nlt_f32_e32 vcc_lo, 0x42b17218, v25
	v_add_f32_e32 v16, v76, v16
	v_ldexp_f32 v17, v17, v20
	v_exp_f32_e32 v18, v18
	v_cvt_i32_f32_e32 v20, v27
	s_wait_alu 0xfffd
	v_cndmask_b32_e32 v80, 0x7f800000, v19, vcc_lo
	v_mul_f32_e32 v19, 0x3fb8aa3b, v14
	v_cmp_ngt_f32_e32 vcc_lo, 0xc2ce8ed0, v23
	s_delay_alu instid0(VALU_DEP_2)
	v_fma_f32 v21, 0x3fb8aa3b, v14, -v19
	s_wait_alu 0xfffd
	v_cndmask_b32_e32 v17, 0, v17, vcc_lo
	v_rndne_f32_e32 v22, v19
	v_cmp_nlt_f32_e32 vcc_lo, 0x42b17218, v23
	v_dual_add_f32 v16, v77, v16 :: v_dual_fmac_f32 v21, 0x32a5705f, v14
	s_delay_alu instid0(VALU_DEP_3)
	v_cvt_i32_f32_e32 v120, v22
	s_wait_alu 0xfffd
	v_cndmask_b32_e32 v81, 0x7f800000, v17, vcc_lo
	v_ldexp_f32 v17, v18, v20
	v_sub_f32_e32 v18, v19, v22
	v_dual_add_f32 v16, v78, v16 :: v_dual_mul_f32 v19, 0x3fb8aa3b, v15
	scratch_load_b32 v22, off, off offset:84 th:TH_LOAD_LU ; 4-byte Folded Reload
	v_add_f32_e32 v21, v18, v21
	scratch_load_b32 v18, off, off offset:72 th:TH_LOAD_LU ; 4-byte Folded Reload
	v_cmp_ngt_f32_e32 vcc_lo, 0xc2ce8ed0, v26
	v_fma_f32 v23, 0x3fb8aa3b, v15, -v19
	v_exp_f32_e32 v82, v21
	s_wait_alu 0xfffd
	v_cndmask_b32_e32 v20, 0, v17, vcc_lo
	v_cmp_nlt_f32_e32 vcc_lo, 0x42b17218, v26
	v_rndne_f32_e32 v17, v19
	v_fmac_f32_e32 v23, 0x32a5705f, v15
	s_wait_alu 0xfffd
	v_cndmask_b32_e32 v95, 0x7f800000, v20, vcc_lo
	scratch_load_b32 v20, off, off offset:76 th:TH_LOAD_LU ; 4-byte Folded Reload
	v_sub_f32_e32 v21, v19, v17
	v_cvt_i32_f32_e32 v17, v17
	s_delay_alu instid0(VALU_DEP_2) | instskip(SKIP_4) | instid1(VALU_DEP_1)
	v_add_f32_e32 v121, v21, v23
	s_wait_loadcnt 0x2
	v_mul_lo_u32 v22, v22, s26
	s_wait_loadcnt 0x1
	v_mul_lo_u32 v18, v18, s26
	v_ashrrev_i32_e32 v19, 31, v18
	s_wait_loadcnt 0x0
	v_mul_lo_u32 v20, v20, s26
	s_delay_alu instid0(VALU_DEP_2) | instskip(SKIP_1) | instid1(VALU_DEP_1)
	v_lshlrev_b64_e32 v[18:19], 2, v[18:19]
	s_wait_alu 0xfffe
	v_add_co_u32 v23, vcc_lo, s0, v18
	s_delay_alu instid0(VALU_DEP_3) | instskip(SKIP_1) | instid1(VALU_DEP_3)
	v_ashrrev_i32_e32 v21, 31, v20
	s_wait_alu 0xfffd
	v_add_co_ci_u32_e64 v24, null, s1, v19, vcc_lo
	s_delay_alu instid0(VALU_DEP_2) | instskip(SKIP_2) | instid1(VALU_DEP_3)
	v_lshlrev_b64_e32 v[18:19], 2, v[20:21]
	v_add_co_u32 v20, vcc_lo, v23, v178
	s_wait_alu 0xfffd
	v_add_co_ci_u32_e64 v21, null, v24, v179, vcc_lo
	scratch_load_b32 v24, off, off offset:104 th:TH_LOAD_LU ; 4-byte Folded Reload
	v_ashrrev_i32_e32 v23, 31, v22
	v_add_co_u32 v25, vcc_lo, s0, v18
	s_wait_alu 0xfffd
	v_add_co_ci_u32_e64 v26, null, s1, v19, vcc_lo
	s_delay_alu instid0(VALU_DEP_3) | instskip(NEXT) | instid1(VALU_DEP_3)
	v_lshlrev_b64_e32 v[18:19], 2, v[22:23]
	v_add_co_u32 v22, vcc_lo, v25, v178
	s_wait_alu 0xfffd
	s_delay_alu instid0(VALU_DEP_3)
	v_add_co_ci_u32_e64 v23, null, v26, v179, vcc_lo
	scratch_load_b32 v26, off, off offset:112 th:TH_LOAD_LU ; 4-byte Folded Reload
	v_add_co_u32 v27, vcc_lo, s0, v18
	s_wait_alu 0xfffd
	v_add_co_ci_u32_e64 v28, null, s1, v19, vcc_lo
	s_wait_loadcnt 0x1
	v_mul_lo_u32 v24, v24, s26
	s_delay_alu instid0(VALU_DEP_1) | instskip(SKIP_2) | instid1(VALU_DEP_2)
	v_ashrrev_i32_e32 v25, 31, v24
	s_wait_loadcnt 0x0
	v_mul_lo_u32 v26, v26, s26
	v_lshlrev_b64_e32 v[18:19], 2, v[24:25]
	v_add_co_u32 v24, vcc_lo, v27, v178
	s_wait_alu 0xfffd
	v_add_co_ci_u32_e64 v25, null, v28, v179, vcc_lo
	scratch_load_b32 v28, off, off offset:116 th:TH_LOAD_LU ; 4-byte Folded Reload
	v_ashrrev_i32_e32 v27, 31, v26
	v_add_co_u32 v29, vcc_lo, s0, v18
	s_wait_alu 0xfffd
	v_add_co_ci_u32_e64 v30, null, s1, v19, vcc_lo
	s_delay_alu instid0(VALU_DEP_3) | instskip(NEXT) | instid1(VALU_DEP_3)
	v_lshlrev_b64_e32 v[18:19], 2, v[26:27]
	v_add_co_u32 v26, vcc_lo, v29, v178
	s_wait_alu 0xfffd
	s_delay_alu instid0(VALU_DEP_3) | instskip(SKIP_4) | instid1(VALU_DEP_2)
	v_add_co_ci_u32_e64 v27, null, v30, v179, vcc_lo
	scratch_load_b32 v30, off, off offset:120 th:TH_LOAD_LU ; 4-byte Folded Reload
	v_add_co_u32 v31, vcc_lo, s0, v18
	s_wait_alu 0xfffd
	v_add_co_ci_u32_e64 v83, null, s1, v19, vcc_lo
	v_add_co_u32 v104, vcc_lo, v31, v178
	s_wait_alu 0xfffd
	s_delay_alu instid0(VALU_DEP_2) | instskip(SKIP_2) | instid1(VALU_DEP_1)
	v_add_co_ci_u32_e64 v105, null, v83, v179, vcc_lo
	s_wait_loadcnt 0x1
	v_mul_lo_u32 v28, v28, s26
	v_ashrrev_i32_e32 v29, 31, v28
	s_wait_loadcnt 0x0
	v_mul_lo_u32 v30, v30, s26
	s_delay_alu instid0(VALU_DEP_2)
	v_lshlrev_b64_e32 v[18:19], 2, v[28:29]
	scratch_load_b32 v28, off, off offset:124 th:TH_LOAD_LU ; 4-byte Folded Reload
	v_ashrrev_i32_e32 v31, 31, v30
	v_add_co_u32 v83, vcc_lo, s0, v18
	s_wait_alu 0xfffd
	v_add_co_ci_u32_e64 v84, null, s1, v19, vcc_lo
	s_delay_alu instid0(VALU_DEP_3) | instskip(NEXT) | instid1(VALU_DEP_3)
	v_lshlrev_b64_e32 v[18:19], 2, v[30:31]
	v_add_co_u32 v30, vcc_lo, v83, v178
	s_wait_alu 0xfffd
	s_delay_alu instid0(VALU_DEP_3) | instskip(NEXT) | instid1(VALU_DEP_3)
	v_add_co_ci_u32_e64 v31, null, v84, v179, vcc_lo
	v_add_co_u32 v18, vcc_lo, s0, v18
	s_wait_alu 0xfffd
	v_add_co_ci_u32_e64 v19, null, s1, v19, vcc_lo
	s_wait_loadcnt 0x0
	v_mul_lo_u32 v28, v28, s26
	s_delay_alu instid0(VALU_DEP_1) | instskip(NEXT) | instid1(VALU_DEP_1)
	v_ashrrev_i32_e32 v29, 31, v28
	v_lshlrev_b64_e32 v[28:29], 2, v[28:29]
	s_delay_alu instid0(VALU_DEP_1) | instskip(SKIP_1) | instid1(VALU_DEP_2)
	v_add_co_u32 v28, vcc_lo, s0, v28
	s_wait_alu 0xfffd
	v_add_co_ci_u32_e64 v29, null, s1, v29, vcc_lo
	v_add_co_u32 v18, vcc_lo, v18, v178
	s_wait_alu 0xfffd
	v_add_co_ci_u32_e64 v19, null, v19, v179, vcc_lo
	;; [unrolled: 3-line block ×3, first 2 shown]
	s_clause 0x7
	global_load_b128 v[83:86], v[20:21], off
	global_load_b128 v[87:90], v[22:23], off
	;; [unrolled: 1-line block ×8, first 2 shown]
	v_ldexp_f32 v18, v82, v120
	v_exp_f32_e32 v19, v121
	v_fma_f32 v20, 0x3fb8aa3b, v13, -v122
	v_rndne_f32_e32 v21, v122
	v_cmp_ngt_f32_e32 vcc_lo, 0xc2ce8ed0, v14
	s_mov_b32 s1, 0
	s_delay_alu instid0(VALU_DEP_3) | instskip(NEXT) | instid1(VALU_DEP_3)
	v_fmac_f32_e32 v20, 0x32a5705f, v13
	v_sub_f32_e32 v22, v122, v21
	s_wait_alu 0xfffd
	v_cndmask_b32_e32 v18, 0, v18, vcc_lo
	v_cmp_nlt_f32_e32 vcc_lo, 0x42b17218, v14
	v_ldexp_f32 v14, v19, v17
	s_wait_alu 0xfffd
	s_delay_alu instid0(VALU_DEP_3) | instskip(SKIP_2) | instid1(VALU_DEP_3)
	v_dual_add_f32 v17, v22, v20 :: v_dual_cndmask_b32 v120, 0x7f800000, v18
	v_mul_f32_e32 v18, 0x3fb8aa3b, v12
	v_cmp_ngt_f32_e32 vcc_lo, 0xc2ce8ed0, v15
	v_exp_f32_e32 v17, v17
	s_delay_alu instid0(VALU_DEP_2)
	v_fma_f32 v19, 0x3fb8aa3b, v12, -v18
	s_wait_alu 0xfffd
	v_cndmask_b32_e32 v14, 0, v14, vcc_lo
	v_rndne_f32_e32 v20, v18
	v_cmp_nlt_f32_e32 vcc_lo, 0x42b17218, v15
	v_add_f32_e32 v16, v79, v16
	v_fmac_f32_e32 v19, 0x32a5705f, v12
	s_delay_alu instid0(VALU_DEP_4)
	v_sub_f32_e32 v15, v18, v20
	s_wait_alu 0xfffd
	v_cndmask_b32_e32 v121, 0x7f800000, v14, vcc_lo
	v_cvt_i32_f32_e32 v14, v21
	v_mul_f32_e32 v18, 0x3fb8aa3b, v11
	v_cmp_ngt_f32_e32 vcc_lo, 0xc2ce8ed0, v13
	v_add_f32_e32 v15, v15, v19
	s_delay_alu instid0(VALU_DEP_4) | instskip(NEXT) | instid1(VALU_DEP_4)
	v_ldexp_f32 v14, v17, v14
	v_fma_f32 v17, 0x3fb8aa3b, v11, -v18
	v_rndne_f32_e32 v19, v18
	v_add_f32_e32 v16, v80, v16
	v_exp_f32_e32 v15, v15
	s_wait_alu 0xfffd
	v_dual_cndmask_b32 v14, 0, v14 :: v_dual_fmac_f32 v17, 0x32a5705f, v11
	v_sub_f32_e32 v18, v18, v19
	v_cmp_nlt_f32_e32 vcc_lo, 0x42b17218, v13
	v_add_f32_e32 v16, v81, v16
	v_cvt_i32_f32_e32 v13, v20
	v_cvt_i32_f32_e32 v19, v19
	s_wait_alu 0xfffd
	v_cndmask_b32_e32 v122, 0x7f800000, v14, vcc_lo
	v_dual_add_f32 v14, v18, v17 :: v_dual_mul_f32 v17, 0x3fb8aa3b, v10
	v_ldexp_f32 v13, v15, v13
	v_cmp_ngt_f32_e32 vcc_lo, 0xc2ce8ed0, v12
	s_delay_alu instid0(VALU_DEP_3) | instskip(NEXT) | instid1(VALU_DEP_3)
	v_exp_f32_e32 v14, v14
	v_fma_f32 v15, 0x3fb8aa3b, v10, -v17
	v_rndne_f32_e32 v18, v17
	s_wait_alu 0xfffd
	v_cndmask_b32_e32 v13, 0, v13, vcc_lo
	v_cmp_nlt_f32_e32 vcc_lo, 0x42b17218, v12
	v_dual_add_f32 v16, v95, v16 :: v_dual_fmac_f32 v15, 0x32a5705f, v10
	v_sub_f32_e32 v17, v17, v18
	s_wait_alu 0xfffd
	v_cndmask_b32_e32 v123, 0x7f800000, v13, vcc_lo
	v_ldexp_f32 v12, v14, v19
	v_cmp_ngt_f32_e32 vcc_lo, 0xc2ce8ed0, v11
	v_dual_add_f32 v13, v17, v15 :: v_dual_mul_f32 v14, 0x3fb8aa3b, v9
	s_delay_alu instid0(VALU_DEP_4) | instskip(SKIP_2) | instid1(VALU_DEP_3)
	v_cvt_f16_f32_e64 v138, v123
	s_wait_alu 0xfffd
	v_cndmask_b32_e32 v12, 0, v12, vcc_lo
	v_exp_f32_e32 v13, v13
	v_cmp_nlt_f32_e32 vcc_lo, 0x42b17218, v11
	v_cvt_i32_f32_e32 v11, v18
	v_rndne_f32_e32 v17, v14
	s_wait_alu 0xfffd
	v_cndmask_b32_e32 v124, 0x7f800000, v12, vcc_lo
	v_cmp_ngt_f32_e32 vcc_lo, 0xc2ce8ed0, v10
	s_delay_alu instid0(VALU_DEP_3) | instskip(NEXT) | instid1(TRANS32_DEP_1)
	v_sub_f32_e32 v12, v14, v17
	v_ldexp_f32 v11, v13, v11
	s_wait_alu 0xfffd
	s_delay_alu instid0(VALU_DEP_1) | instskip(SKIP_4) | instid1(VALU_DEP_2)
	v_cndmask_b32_e32 v11, 0, v11, vcc_lo
	v_cmp_nlt_f32_e32 vcc_lo, 0x42b17218, v10
	v_add_f32_e32 v16, v120, v16
	v_cvt_i32_f32_e32 v10, v17
	s_wait_alu 0xfffd
	v_dual_cndmask_b32 v125, 0x7f800000, v11 :: v_dual_add_f32 v16, v121, v16
	v_cmp_ngt_f32_e32 vcc_lo, 0xc2ce8ed0, v9
	s_delay_alu instid0(VALU_DEP_2) | instskip(NEXT) | instid1(VALU_DEP_3)
	v_cvt_f16_f32_e64 v142, v125
	v_add_f32_e32 v16, v122, v16
	s_delay_alu instid0(VALU_DEP_1) | instskip(SKIP_1) | instid1(VALU_DEP_2)
	v_add_f32_e32 v15, v123, v16
	v_fma_f32 v16, 0x3fb8aa3b, v9, -v14
	v_dual_mul_f32 v14, 0x3fb8aa3b, v8 :: v_dual_add_f32 v15, v124, v15
	s_delay_alu instid0(VALU_DEP_2) | instskip(NEXT) | instid1(VALU_DEP_2)
	v_fmac_f32_e32 v16, 0x32a5705f, v9
	v_fma_f32 v13, 0x3fb8aa3b, v8, -v14
	s_delay_alu instid0(VALU_DEP_2) | instskip(SKIP_1) | instid1(VALU_DEP_3)
	v_add_f32_e32 v12, v12, v16
	v_rndne_f32_e32 v16, v14
	v_fmac_f32_e32 v13, 0x32a5705f, v8
	s_delay_alu instid0(VALU_DEP_3) | instskip(NEXT) | instid1(VALU_DEP_2)
	v_exp_f32_e32 v12, v12
	v_sub_f32_e32 v14, v14, v16
	v_cvt_i32_f32_e32 v16, v16
	s_delay_alu instid0(VALU_DEP_2) | instskip(SKIP_2) | instid1(TRANS32_DEP_1)
	v_add_f32_e32 v11, v14, v13
	v_mul_f32_e32 v13, 0x3fb8aa3b, v7
	v_add_f32_e32 v14, v125, v15
	v_ldexp_f32 v10, v12, v10
	s_delay_alu instid0(VALU_DEP_4) | instskip(NEXT) | instid1(VALU_DEP_3)
	v_exp_f32_e32 v11, v11
	v_fma_f32 v12, 0x3fb8aa3b, v7, -v13
	v_rndne_f32_e32 v15, v13
	s_wait_alu 0xfffd
	v_cndmask_b32_e32 v10, 0, v10, vcc_lo
	v_cmp_nlt_f32_e32 vcc_lo, 0x42b17218, v9
	v_fmac_f32_e32 v12, 0x32a5705f, v7
	s_wait_alu 0xfffd
	s_delay_alu instid0(VALU_DEP_3) | instskip(NEXT) | instid1(TRANS32_DEP_1)
	v_dual_sub_f32 v13, v13, v15 :: v_dual_cndmask_b32 v126, 0x7f800000, v10
	v_ldexp_f32 v9, v11, v16
	s_delay_alu instid0(VALU_DEP_2) | instskip(SKIP_1) | instid1(VALU_DEP_4)
	v_add_f32_e32 v10, v13, v12
	v_cmp_ngt_f32_e32 vcc_lo, 0xc2ce8ed0, v8
	v_dual_mul_f32 v12, 0x3fb8aa3b, v5 :: v_dual_add_f32 v11, v126, v14
	v_mul_f32_e32 v14, 0x3fb8aa3b, v6
	s_delay_alu instid0(VALU_DEP_4)
	v_exp_f32_e32 v10, v10
	s_wait_alu 0xfffd
	v_cndmask_b32_e32 v9, 0, v9, vcc_lo
	v_cmp_nlt_f32_e32 vcc_lo, 0x42b17218, v8
	v_cvt_i32_f32_e32 v8, v15
	v_rndne_f32_e32 v13, v12
	v_rndne_f32_e32 v15, v14
	v_mul_f32_e32 v16, 0x3fb8aa3b, v3
	s_wait_alu 0xfffd
	v_cndmask_b32_e32 v127, 0x7f800000, v9, vcc_lo
	v_fma_f32 v9, 0x3fb8aa3b, v5, -v12
	v_cmp_ngt_f32_e32 vcc_lo, 0xc2ce8ed0, v7
	v_ldexp_f32 v8, v10, v8
	v_sub_f32_e32 v10, v12, v13
	v_fma_f32 v12, 0x3fb8aa3b, v6, -v14
	v_fmac_f32_e32 v9, 0x32a5705f, v5
	v_cvt_i32_f32_e32 v13, v13
	s_wait_alu 0xfffd
	v_cndmask_b32_e32 v8, 0, v8, vcc_lo
	v_cmp_nlt_f32_e32 vcc_lo, 0x42b17218, v7
	v_dual_fmac_f32 v12, 0x32a5705f, v6 :: v_dual_add_f32 v9, v10, v9
	v_sub_f32_e32 v10, v14, v15
	v_mul_f32_e32 v14, 0x3fb8aa3b, v4
	s_wait_alu 0xfffd
	v_cndmask_b32_e32 v7, 0x7f800000, v8, vcc_lo
	v_cmp_ngt_f32_e32 vcc_lo, 0xc2ce8ed0, v5
	v_exp_f32_e32 v8, v9
	v_add_f32_e32 v9, v10, v12
	v_fma_f32 v10, 0x3fb8aa3b, v4, -v14
	v_rndne_f32_e32 v12, v14
	v_add_f32_e32 v11, v127, v11
	v_cvt_f16_f32_e64 v136, v122
	v_exp_f32_e32 v9, v9
	v_fmac_f32_e32 v10, 0x32a5705f, v4
	s_delay_alu instid0(VALU_DEP_3) | instskip(NEXT) | instid1(TRANS32_DEP_2)
	v_dual_sub_f32 v14, v14, v12 :: v_dual_add_f32 v11, v7, v11
	v_ldexp_f32 v8, v8, v13
	v_cvt_i32_f32_e32 v13, v15
	v_rndne_f32_e32 v15, v16
	s_delay_alu instid0(VALU_DEP_4)
	v_add_f32_e32 v10, v14, v10
	v_fma_f32 v14, 0x3fb8aa3b, v3, -v16
	s_wait_alu 0xfffd
	v_cndmask_b32_e32 v8, 0, v8, vcc_lo
	v_cmp_nlt_f32_e32 vcc_lo, 0x42b17218, v5
	v_ldexp_f32 v9, v9, v13
	v_exp_f32_e32 v10, v10
	v_fmac_f32_e32 v14, 0x32a5705f, v3
	s_wait_alu 0xfffd
	v_dual_sub_f32 v13, v16, v15 :: v_dual_cndmask_b32 v128, 0x7f800000, v8
	v_cmp_ngt_f32_e32 vcc_lo, 0xc2ce8ed0, v6
	v_cvt_i32_f32_e32 v5, v12
	v_cvt_f16_f32_e64 v141, v124
	v_cvt_f16_f32_e64 v143, v126
	s_wait_alu 0xfffd
	v_dual_add_f32 v11, v128, v11 :: v_dual_cndmask_b32 v8, 0, v9
	v_add_f32_e32 v9, v13, v14
	v_cmp_nlt_f32_e32 vcc_lo, 0x42b17218, v6
	v_ldexp_f32 v5, v10, v5
	v_sub_f32_e32 v10, v96, v64
	v_mul_f32_e32 v14, 0x3fb8aa3b, v0
	v_exp_f32_e32 v6, v9
	s_wait_alu 0xfffd
	v_cndmask_b32_e32 v129, 0x7f800000, v8, vcc_lo
	v_cmp_ngt_f32_e32 vcc_lo, 0xc2ce8ed0, v4
	v_cvt_i32_f32_e32 v9, v15
	v_rndne_f32_e32 v15, v14
	v_cvt_f16_f32_e32 v127, v127
	s_wait_alu 0xfffd
	v_dual_add_f32 v8, v129, v11 :: v_dual_cndmask_b32 v5, 0, v5
	v_cmp_nlt_f32_e32 vcc_lo, 0x42b17218, v4
	v_dual_mul_f32 v4, 0x3fb8aa3b, v2 :: v_dual_mul_f32 v11, 0x3fb8aa3b, v1
	v_cvt_f16_f32_e32 v7, v7
	s_wait_alu 0xfffd
	v_cndmask_b32_e32 v130, 0x7f800000, v5, vcc_lo
	v_ldexp_f32 v5, v6, v9
	v_cmp_ngt_f32_e32 vcc_lo, 0xc2ce8ed0, v3
	v_rndne_f32_e32 v9, v4
	v_fma_f32 v12, 0x3fb8aa3b, v1, -v11
	v_add_f32_e32 v6, v130, v8
	v_fma_f32 v8, 0x3fb8aa3b, v2, -v4
	s_wait_alu 0xfffd
	v_cndmask_b32_e32 v5, 0, v5, vcc_lo
	v_cmp_nlt_f32_e32 vcc_lo, 0x42b17218, v3
	v_dual_sub_f32 v4, v4, v9 :: v_dual_mul_f32 v3, 0x3fb8aa3b, v10
	v_fmac_f32_e32 v8, 0x32a5705f, v2
	v_rndne_f32_e32 v13, v11
	s_wait_alu 0xfffd
	v_cndmask_b32_e32 v131, 0x7f800000, v5, vcc_lo
	v_cvt_i32_f32_e32 v9, v9
	v_fmac_f32_e32 v12, 0x32a5705f, v1
	v_add_f32_e32 v4, v4, v8
	v_rndne_f32_e32 v8, v3
	v_add_f32_e32 v5, v131, v6
	v_fma_f32 v6, 0x3fb8aa3b, v10, -v3
	v_cmp_ngt_f32_e32 vcc_lo, 0xc2ce8ed0, v2
	v_exp_f32_e32 v4, v4
	v_sub_f32_e32 v3, v3, v8
	v_cvt_i32_f32_e32 v8, v8
	v_fmac_f32_e32 v6, 0x32a5705f, v10
	s_delay_alu instid0(VALU_DEP_1) | instskip(SKIP_1) | instid1(TRANS32_DEP_1)
	v_add_f32_e32 v3, v3, v6
	v_sub_f32_e32 v6, v11, v13
	v_ldexp_f32 v4, v4, v9
	v_fma_f32 v11, 0x3fb8aa3b, v0, -v14
	v_sub_f32_e32 v9, v14, v15
	v_exp_f32_e32 v3, v3
	v_add_f32_e32 v6, v6, v12
	s_wait_alu 0xfffd
	v_cndmask_b32_e32 v4, 0, v4, vcc_lo
	v_cmp_nlt_f32_e32 vcc_lo, 0x42b17218, v2
	v_fmac_f32_e32 v11, 0x32a5705f, v0
	v_cvt_i32_f32_e32 v2, v13
	v_exp_f32_e32 v6, v6
	s_wait_alu 0xfffd
	v_cndmask_b32_e32 v132, 0x7f800000, v4, vcc_lo
	v_cmp_ngt_f32_e32 vcc_lo, 0xc2ce8ed0, v10
	v_ldexp_f32 v3, v3, v8
	v_add_f32_e32 v9, v9, v11
	s_delay_alu instid0(VALU_DEP_4) | instskip(SKIP_1) | instid1(VALU_DEP_3)
	v_add_f32_e32 v5, v132, v5
	s_wait_alu 0xfffd
	v_cndmask_b32_e32 v3, 0, v3, vcc_lo
	v_cmp_nlt_f32_e32 vcc_lo, 0x42b17218, v10
	v_ldexp_f32 v2, v6, v2
	v_exp_f32_e32 v4, v9
	v_cvt_i32_f32_e32 v6, v15
	s_wait_alu 0xfffd
	v_cndmask_b32_e32 v3, 0x7f800000, v3, vcc_lo
	v_cmp_ngt_f32_e32 vcc_lo, 0xc2ce8ed0, v1
	s_wait_alu 0xfffd
	v_cndmask_b32_e32 v2, 0, v2, vcc_lo
	v_cmp_le_f32_e32 vcc_lo, 0xc1a00000, v10
	s_delay_alu instid0(TRANS32_DEP_1)
	v_ldexp_f32 v4, v4, v6
	s_wait_alu 0xfffd
	v_cndmask_b32_e32 v3, 0, v3, vcc_lo
	v_cmp_nlt_f32_e32 vcc_lo, 0x42b17218, v1
	s_wait_alu 0xfffd
	v_cndmask_b32_e32 v133, 0x7f800000, v2, vcc_lo
	v_cmp_ngt_f32_e32 vcc_lo, 0xc2ce8ed0, v0
	v_cvt_f16_f32_e32 v2, v3
	s_wait_alu 0xfffd
	v_cndmask_b32_e32 v1, 0, v4, vcc_lo
	v_cmp_nlt_f32_e32 vcc_lo, 0x42b17218, v0
	s_delay_alu instid0(VALU_DEP_3) | instskip(SKIP_3) | instid1(VALU_DEP_3)
	v_and_b32_e32 v0, 0xffff, v2
	v_add_f32_e32 v4, v133, v5
	s_wait_alu 0xfffd
	v_cndmask_b32_e32 v134, 0x7f800000, v1, vcc_lo
	v_mul_u32_u24_e32 v135, 0x10001, v0
	s_delay_alu instid0(VALU_DEP_2) | instskip(NEXT) | instid1(VALU_DEP_2)
	v_add_f32_e32 v82, v134, v4
	v_pk_mul_f16 v5, v33, v135
	scratch_load_b32 v33, off, off offset:68 th:TH_LOAD_LU ; 4-byte Folded Reload
	s_wait_loadcnt 0x8
	ds_store_b128 v98, v[83:86]
	s_wait_loadcnt 0x7
	ds_store_b128 v99, v[87:90]
	;; [unrolled: 2-line block ×8, first 2 shown]
	v_pk_mul_f16 v2, v38, v135
	scratch_load_b32 v38, off, off offset:60 th:TH_LOAD_LU ; 4-byte Folded Reload
	v_pk_mul_f16 v4, v32, v135
	v_pk_mul_f16 v23, v51, v135
	v_cvt_f16_f32_e32 v51, v81
	v_fmac_f32_e32 v82, v97, v3
	v_pk_mul_f16 v24, v60, v135
	v_pk_mul_f16 v25, v61, v135
	;; [unrolled: 1-line block ×8, first 2 shown]
	v_cvt_f16_f32_e32 v34, v67
	v_cvt_f16_f32_e32 v39, v68
	s_wait_loadcnt_dscnt 0x0
	s_barrier_signal -1
	s_barrier_wait -1
	global_inv scope:SCOPE_SE
	v_pk_mul_f16 v28, v52, v135
	v_pk_mul_f16 v29, v53, v135
	;; [unrolled: 1-line block ×8, first 2 shown]
	v_cvt_f16_f32_e32 v44, v69
	v_cvt_f16_f32_e32 v45, v70
	;; [unrolled: 1-line block ×8, first 2 shown]
	v_pk_mul_f16 v30, v54, v135
	v_pk_mul_f16 v31, v55, v135
	;; [unrolled: 1-line block ×5, first 2 shown]
	v_cvt_f16_f32_e32 v54, v77
	v_cvt_f16_f32_e32 v55, v78
	;; [unrolled: 1-line block ×4, first 2 shown]
	v_pack_b32_f16 v45, v44, v45
	v_pack_b32_f16 v44, v34, v39
	v_cvt_f16_f32_e64 v34, v129
	v_pk_mul_f16 v13, v41, v135
	v_pk_mul_f16 v17, v57, v135
	v_cvt_f16_f32_e32 v57, v95
	v_pk_mul_f16 v26, v62, v135
	v_pk_mul_f16 v27, v63, v135
	v_cvt_f16_f32_e32 v62, v120
	v_cvt_f16_f32_e32 v63, v121
	v_pack_b32_f16 v47, v47, v49
	v_pack_b32_f16 v46, v46, v48
	v_pk_mul_f16 v14, v42, v135
	v_pk_mul_f16 v15, v43, v135
	v_pack_b32_f16 v51, v51, v57
	v_pack_b32_f16 v50, v50, v56
	;; [unrolled: 1-line block ×8, first 2 shown]
	v_and_b32_e32 v32, 0x1f8, v33
	v_or_b32_e32 v36, 6, v33
	v_or_b32_e32 v37, 7, v33
	s_delay_alu instid0(VALU_DEP_3) | instskip(NEXT) | instid1(VALU_DEP_3)
	v_mul_u32_u24_e32 v32, 0x110, v32
	v_mul_u32_u24_e32 v36, 0x110, v36
	s_delay_alu instid0(VALU_DEP_3) | instskip(NEXT) | instid1(VALU_DEP_3)
	v_mul_u32_u24_e32 v37, 0x110, v37
	v_add3_u32 v81, 0, v32, v38
	ds_load_2addr_b32 v[32:33], v81 offset1:16
	ds_load_2addr_b32 v[58:59], v81 offset0:68 offset1:84
	ds_load_2addr_b32 v[60:61], v81 offset0:136 offset1:152
	;; [unrolled: 1-line block ×3, first 2 shown]
	v_add_nc_u32_e32 v137, 0x400, v81
	v_add3_u32 v139, 0, v36, v38
	v_add3_u32 v140, 0, v37, v38
	ds_load_2addr_b32 v[69:70], v137 offset0:16 offset1:32
	ds_load_2addr_b32 v[71:72], v137 offset0:84 offset1:100
	ds_load_2addr_b32 v[73:74], v139 offset1:16
	ds_load_2addr_b32 v[75:76], v140 offset1:16
	v_add_nc_u32_e32 v144, 0x1000, v81
	v_add_nc_u32_e32 v145, 0x1400, v81
	v_add_nc_u32_e32 v146, 0x1000, v139
	v_add_nc_u32_e32 v147, 0x1000, v140
	v_add_nc_u32_e32 v148, 0x2400, v81
	ds_load_2addr_b32 v[77:78], v144 offset0:64 offset1:80
	ds_load_2addr_b32 v[79:80], v144 offset0:132 offset1:148
	;; [unrolled: 1-line block ×8, first 2 shown]
	v_add_nc_u32_e32 v129, 0x2000, v139
	v_add_nc_u32_e32 v149, 0x3000, v81
	;; [unrolled: 1-line block ×3, first 2 shown]
	s_wait_dscnt 0xe
	v_perm_b32 v36, v58, v32, 0x7060302
	v_perm_b32 v40, v58, v32, 0x5040100
	v_cvt_f16_f32_e64 v32, v128
	v_add_nc_u32_e32 v128, 0x2000, v81
	s_wait_dscnt 0xc
	v_perm_b32 v37, v67, v60, 0x7060302
	v_perm_b32 v41, v67, v60, 0x5040100
	v_cvt_f16_f32_e64 v67, v130
	v_add_nc_u32_e32 v130, 0x2000, v140
	ds_load_2addr_b32 v[95:96], v128 offset0:128 offset1:144
	ds_load_2addr_b32 v[97:98], v128 offset0:196 offset1:212
	;; [unrolled: 1-line block ×8, first 2 shown]
	v_add_nc_u32_e32 v151, 0x3800, v81
	v_add_nc_u32_e32 v152, 0x3000, v139
	;; [unrolled: 1-line block ×3, first 2 shown]
	ds_load_2addr_b32 v[111:112], v149 offset0:192 offset1:208
	ds_load_2addr_b32 v[113:114], v150 offset0:4 offset1:20
	;; [unrolled: 1-line block ×8, first 2 shown]
	s_wait_dscnt 0x1a
	v_perm_b32 v38, v71, v69, 0x7060302
	s_wait_dscnt 0x18
	v_perm_b32 v39, v75, v73, 0x7060302
	v_perm_b32 v43, v75, v73, 0x5040100
	;; [unrolled: 1-line block ×3, first 2 shown]
	v_cvt_f16_f32_e64 v69, v131
	v_cvt_f16_f32_e64 v71, v132
	v_wmma_f16_16x16x16_f16 v[28:31], v[36:39], v[44:47], v[28:31]
	s_wait_dscnt 0x16
	v_perm_b32 v36, v79, v77, 0x7060302
	s_wait_dscnt 0x14
	v_perm_b32 v37, v85, v83, 0x7060302
	;; [unrolled: 2-line block ×4, first 2 shown]
	v_cvt_f16_f32_e64 v73, v133
	v_cvt_f16_f32_e64 v75, v134
	v_perm_b32 v56, v59, v33, 0x7060302
	v_perm_b32 v57, v68, v61, 0x7060302
	;; [unrolled: 1-line block ×8, first 2 shown]
	v_wmma_f16_16x16x16_f16 v[24:27], v[40:43], v[44:47], v[24:27]
	v_perm_b32 v43, v93, v91, 0x5040100
	v_perm_b32 v42, v89, v87, 0x5040100
	;; [unrolled: 1-line block ×4, first 2 shown]
	v_wmma_f16_16x16x16_f16 v[28:31], v[36:39], v[48:51], v[28:31]
	s_wait_dscnt 0xe
	v_perm_b32 v36, v97, v95, 0x7060302
	s_wait_dscnt 0xc
	v_perm_b32 v37, v101, v99, 0x7060302
	;; [unrolled: 2-line block ×4, first 2 shown]
	v_pack_b32_f16 v70, v73, v75
	v_wmma_f16_16x16x16_f16 v[16:19], v[60:63], v[44:47], v[16:19]
	v_wmma_f16_16x16x16_f16 v[20:23], v[56:59], v[44:47], v[20:23]
	v_perm_b32 v56, v80, v78, 0x7060302
	v_perm_b32 v57, v86, v84, 0x7060302
	;; [unrolled: 1-line block ×8, first 2 shown]
	v_pack_b32_f16 v69, v69, v71
	ds_load_2addr_b32 v[71:72], v81 offset0:32 offset1:48
	ds_load_2addr_b32 v[73:74], v81 offset0:100 offset1:116
	;; [unrolled: 1-line block ×8, first 2 shown]
	v_wmma_f16_16x16x16_f16 v[24:27], v[40:43], v[48:51], v[24:27]
	v_perm_b32 v43, v109, v107, 0x5040100
	v_perm_b32 v42, v105, v103, 0x5040100
	;; [unrolled: 1-line block ×4, first 2 shown]
	v_wmma_f16_16x16x16_f16 v[28:31], v[36:39], v[52:55], v[28:31]
	s_wait_dscnt 0xe
	v_perm_b32 v36, v113, v111, 0x7060302
	s_wait_dscnt 0xc
	v_perm_b32 v37, v117, v115, 0x7060302
	;; [unrolled: 2-line block ×4, first 2 shown]
	v_pack_b32_f16 v68, v34, v67
	v_pack_b32_f16 v67, v7, v32
	v_wmma_f16_16x16x16_f16 v[16:19], v[60:63], v[48:51], v[16:19]
	v_wmma_f16_16x16x16_f16 v[20:23], v[56:59], v[48:51], v[20:23]
	v_perm_b32 v56, v98, v96, 0x7060302
	v_perm_b32 v57, v102, v100, 0x7060302
	;; [unrolled: 1-line block ×6, first 2 shown]
	ds_load_2addr_b32 v[89:90], v144 offset0:96 offset1:112
	ds_load_2addr_b32 v[91:92], v144 offset0:164 offset1:180
	;; [unrolled: 1-line block ×8, first 2 shown]
	v_add_nc_u32_e32 v32, 0x2600, v81
	v_wmma_f16_16x16x16_f16 v[24:27], v[40:43], v[52:55], v[24:27]
	v_perm_b32 v41, v117, v115, 0x5040100
	v_perm_b32 v63, v110, v108, 0x5040100
	;; [unrolled: 1-line block ×3, first 2 shown]
	v_wmma_f16_16x16x16_f16 v[28:31], v[36:39], v[67:70], v[28:31]
	v_perm_b32 v34, v118, v116, 0x7060302
	v_perm_b32 v38, v118, v116, 0x5040100
	ds_load_2addr_b32 v[105:106], v128 offset0:160 offset1:176
	ds_load_2addr_b32 v[107:108], v128 offset0:228 offset1:244
	;; [unrolled: 1-line block ×8, first 2 shown]
	v_wmma_f16_16x16x16_f16 v[16:19], v[60:63], v[52:55], v[16:19]
	v_wmma_f16_16x16x16_f16 v[20:23], v[56:59], v[52:55], v[20:23]
	s_wait_dscnt 0x16
	v_perm_b32 v56, v73, v71, 0x7060302
	s_wait_dscnt 0x14
	v_perm_b32 v57, v77, v75, 0x7060302
	;; [unrolled: 2-line block ×4, first 2 shown]
	v_perm_b32 v63, v87, v85, 0x5040100
	v_perm_b32 v62, v83, v79, 0x5040100
	;; [unrolled: 1-line block ×7, first 2 shown]
	v_wmma_f16_16x16x16_f16 v[12:15], v[56:59], v[44:47], v[12:15]
	v_wmma_f16_16x16x16_f16 v[8:11], v[60:63], v[44:47], v[8:11]
	s_wait_dscnt 0xe
	v_perm_b32 v56, v91, v89, 0x7060302
	s_wait_dscnt 0xc
	v_perm_b32 v57, v95, v93, 0x7060302
	;; [unrolled: 2-line block ×4, first 2 shown]
	v_perm_b32 v62, v99, v97, 0x5040100
	v_perm_b32 v61, v95, v93, 0x5040100
	;; [unrolled: 1-line block ×4, first 2 shown]
	v_add_nc_u32_e32 v32, 0x3600, v81
	v_pk_mul_f16 v7, v35, v135
	v_wmma_f16_16x16x16_f16 v[24:27], v[40:43], v[67:70], v[24:27]
	v_perm_b32 v33, v114, v112, 0x7060302
	v_perm_b32 v40, v126, v124, 0x5040100
	v_perm_b32 v39, v122, v120, 0x5040100
	v_perm_b32 v37, v114, v112, 0x5040100
	v_perm_b32 v35, v122, v120, 0x7060302
	v_perm_b32 v36, v126, v124, 0x7060302
	v_wmma_f16_16x16x16_f16 v[8:11], v[60:63], v[48:51], v[8:11]
	v_wmma_f16_16x16x16_f16 v[12:15], v[56:59], v[48:51], v[12:15]
	s_wait_dscnt 0x2
	v_perm_b32 v59, v127, v117, 0x5040100
	s_wait_dscnt 0x1
	v_perm_b32 v58, v129, v115, 0x5040100
	;; [unrolled: 2-line block ×3, first 2 shown]
	v_perm_b32 v56, v107, v105, 0x5040100
	ds_load_2addr_b32 v[111:112], v149 offset0:224 offset1:240
	ds_load_2addr_b32 v[113:114], v150 offset0:36 offset1:52
	;; [unrolled: 1-line block ×8, first 2 shown]
	v_perm_b32 v63, v88, v86, 0x5040100
	v_perm_b32 v62, v84, v80, 0x5040100
	v_wmma_f16_16x16x16_f16 v[8:11], v[56:59], v[52:55], v[8:11]
	v_perm_b32 v56, v74, v72, 0x7060302
	v_perm_b32 v57, v78, v76, 0x7060302
	;; [unrolled: 1-line block ×9, first 2 shown]
	v_wmma_f16_16x16x16_f16 v[0:3], v[60:63], v[44:47], v[0:3]
	v_wmma_f16_16x16x16_f16 v[4:7], v[56:59], v[44:47], v[4:7]
	v_perm_b32 v59, v104, v102, 0x5040100
	v_perm_b32 v58, v100, v98, 0x5040100
	;; [unrolled: 1-line block ×5, first 2 shown]
	ds_bpermute_b32 v32, v65, v82
	v_wmma_f16_16x16x16_f16 v[16:19], v[37:40], v[67:70], v[16:19]
	v_perm_b32 v37, v107, v105, 0x7060302
	v_perm_b32 v38, v131, v109, 0x7060302
	;; [unrolled: 1-line block ×4, first 2 shown]
	v_wmma_f16_16x16x16_f16 v[0:3], v[56:59], v[48:51], v[0:3]
	v_wmma_f16_16x16x16_f16 v[4:7], v[41:44], v[48:51], v[4:7]
	v_perm_b32 v46, v108, v106, 0x7060302
	v_perm_b32 v47, v132, v110, 0x7060302
	;; [unrolled: 1-line block ×8, first 2 shown]
	v_wmma_f16_16x16x16_f16 v[12:15], v[37:40], v[52:55], v[12:15]
	s_wait_dscnt 0x7
	v_perm_b32 v37, v113, v111, 0x7060302
	s_wait_dscnt 0x5
	v_perm_b32 v38, v121, v119, 0x7060302
	;; [unrolled: 2-line block ×4, first 2 shown]
	v_perm_b32 v45, v135, v133, 0x5040100
	v_perm_b32 v44, v125, v123, 0x5040100
	;; [unrolled: 1-line block ×4, first 2 shown]
	v_wmma_f16_16x16x16_f16 v[0:3], v[56:59], v[52:55], v[0:3]
	v_wmma_f16_16x16x16_f16 v[4:7], v[46:49], v[52:55], v[4:7]
	v_perm_b32 v46, v114, v112, 0x7060302
	v_perm_b32 v47, v122, v120, 0x7060302
	;; [unrolled: 1-line block ×8, first 2 shown]
	v_wmma_f16_16x16x16_f16 v[20:23], v[33:36], v[67:70], v[20:23]
	v_wmma_f16_16x16x16_f16 v[8:11], v[42:45], v[67:70], v[8:11]
	;; [unrolled: 1-line block ×5, first 2 shown]
	s_wait_loadcnt_dscnt 0x0
	s_barrier_signal -1
	s_barrier_wait -1
	global_inv scope:SCOPE_SE
	s_wait_loadcnt 0x0
	s_barrier_signal -1
	s_barrier_wait -1
	global_inv scope:SCOPE_SE
	v_cmpx_gt_u32_e32 16, v158
	s_cbranch_execz .LBB25_1205
; %bb.1204:
	v_readlane_b32 s6, v255, 1
	v_or_b32_e32 v33, v200, v158
	v_readlane_b32 s7, v255, 2
	v_add_f32_e32 v65, v82, v32
	s_add_co_i32 s0, s6, ttmp9
	v_lshlrev_b32_e32 v33, 3, v33
	s_wait_alu 0xfffe
	s_lshl_b32 s0, s0, 6
	s_wait_alu 0xfffe
	s_lshl_b64 s[6:7], s[0:1], 3
	s_wait_alu 0xfffe
	s_add_nc_u64 s[6:7], s[22:23], s[6:7]
	global_store_b64 v33, v[64:65], s[6:7]
.LBB25_1205:
	s_or_b32 exec_lo, exec_lo, s2
	scratch_load_b32 v32, off, off offset:52 th:TH_LOAD_LU ; 4-byte Folded Reload
	v_lshlrev_b32_e32 v33, 2, v66
	v_perm_b32 v34, v28, v24, 0x5040100
	v_perm_b32 v24, v28, v24, 0x7060302
	;; [unrolled: 1-line block ×10, first 2 shown]
	s_clause 0x1
	s_load_b32 s0, s[4:5], 0x0
	s_load_u16 s2, s[4:5], 0x12
	v_perm_b32 v20, v21, v17, 0x5040100
	v_perm_b32 v17, v21, v17, 0x7060302
	v_perm_b32 v21, v22, v18, 0x5040100
	v_perm_b32 v18, v22, v18, 0x7060302
	v_perm_b32 v22, v23, v19, 0x5040100
	v_perm_b32 v19, v23, v19, 0x7060302
	s_mov_b32 s3, s1
	s_wait_kmcnt 0x0
	s_cmp_lg_u32 s2, 0
	s_cselect_b32 s2, -1, 0
	s_wait_alu 0xfffe
	s_cmp_lg_u32 s2, 0
	s_add_co_ci_u32 s0, s0, 0
	s_wait_alu 0xfffe
	s_lshl_b32 s2, ttmp9, 12
	s_lshl_b32 s0, s0, 7
	s_wait_alu 0xfffe
	s_lshl_b64 s[2:3], s[2:3], 3
	s_lshl_b64 s[4:5], s[0:1], 3
	s_wait_alu 0xfffe
	s_add_nc_u64 s[0:1], s[22:23], s[4:5]
	s_wait_alu 0xfffe
	s_add_nc_u64 s[0:1], s[0:1], s[2:3]
	s_wait_loadcnt 0x0
	v_or_b32_e32 v32, v200, v32
	s_delay_alu instid0(VALU_DEP_1) | instskip(NEXT) | instid1(VALU_DEP_1)
	v_mul_u32_u24_e32 v32, 0x110, v32
	v_add3_u32 v32, 0, v33, v32
	ds_store_2addr_b32 v32, v34, v24 offset1:1
	ds_store_2addr_b32 v32, v28, v25 offset0:2 offset1:3
	ds_store_2addr_b32 v32, v29, v26 offset0:4 offset1:5
	;; [unrolled: 1-line block ×7, first 2 shown]
	v_perm_b32 v16, v12, v8, 0x5040100
	v_perm_b32 v8, v12, v8, 0x7060302
	;; [unrolled: 1-line block ×16, first 2 shown]
	ds_store_2addr_b32 v32, v16, v8 offset0:32 offset1:33
	ds_store_2addr_b32 v32, v12, v9 offset0:34 offset1:35
	;; [unrolled: 1-line block ×8, first 2 shown]
	s_clause 0x1
	scratch_load_b32 v0, off, off offset:208 th:TH_LOAD_LU
	scratch_load_b32 v22, off, off offset:44 th:TH_LOAD_LU
	s_wait_storecnt 0x0
	s_wait_loadcnt_dscnt 0x0
	s_barrier_signal -1
	s_barrier_wait -1
	global_inv scope:SCOPE_SE
	s_clause 0x1
	scratch_load_b32 v11, off, off offset:80 th:TH_LOAD_LU
	scratch_load_b32 v21, off, off offset:624 th:TH_LOAD_LU
	v_add3_u32 v14, 0, v0, v22
	ds_load_2addr_b32 v[0:1], v14 offset1:32
	s_wait_loadcnt 0x1
	v_and_b32_e32 v15, 15, v11
	s_wait_loadcnt 0x0
	s_delay_alu instid0(VALU_DEP_1)
	v_and_or_b32 v17, 0x7f0, v21, v15
	s_wait_dscnt 0x0
	v_lshrrev_b32_e32 v4, 16, v0
	v_lshrrev_b32_e32 v6, 16, v1
	v_cvt_f32_f16_e32 v7, v1
	v_cvt_f32_f16_e32 v0, v0
	s_delay_alu instid0(VALU_DEP_4) | instskip(SKIP_2) | instid1(VALU_DEP_4)
	v_cvt_f32_f16_e32 v4, v4
	v_add_nc_u32_e32 v2, 0x400, v14
	v_cvt_f32_f16_e32 v8, v6
	v_add_f32_e32 v0, 0, v0
	s_delay_alu instid0(VALU_DEP_4)
	v_add_f32_e32 v1, 0, v4
	ds_load_2addr_b32 v[2:3], v2 offset0:16 offset1:48
	v_add_f32_e32 v4, 0, v7
	s_wait_dscnt 0x0
	v_cvt_f32_f16_e32 v9, v2
	v_lshlrev_b32_e32 v5, 6, v11
	v_lshrrev_b32_e32 v2, 16, v2
	v_lshrrev_b32_e32 v10, 16, v3
	v_cvt_f32_f16_e32 v3, v3
	s_delay_alu instid0(VALU_DEP_3)
	v_cvt_f32_f16_e32 v13, v2
	v_add_f32_e32 v2, 0, v9
	v_add_lshl_u32 v12, v158, v5, 3
	v_add_nc_u32_e32 v5, 0x800, v14
	v_cvt_f32_f16_e32 v9, v10
	v_add_nc_u32_e32 v10, 0xc00, v14
	ds_load_2addr_b32 v[6:7], v5 offset0:32 offset1:64
	v_add_f32_e32 v5, 0, v8
	scratch_load_b32 v8, off, off offset:92 th:TH_LOAD_LU ; 4-byte Folded Reload
	ds_load_2addr_b32 v[10:11], v10 offset0:48 offset1:80
	v_add_f32_e32 v9, 0, v9
	s_wait_dscnt 0x0
	v_cvt_f32_f16_e32 v19, v11
	s_wait_loadcnt 0x0
	v_lshlrev_b32_e32 v8, 6, v8
	s_delay_alu instid0(VALU_DEP_1)
	v_add_lshl_u32 v16, v158, v8, 3
	v_dual_add_f32 v8, 0, v3 :: v_dual_add_f32 v3, 0, v13
	s_clause 0x2
	global_store_b64 v12, v[0:1], s[0:1]
	global_store_b64 v12, v[4:5], s[0:1] offset:256
	global_store_b64 v16, v[8:9], s[0:1] offset:256
	scratch_load_b32 v1, off, off offset:88 th:TH_LOAD_LU ; 4-byte Folded Reload
	v_lshrrev_b32_e32 v0, 16, v6
	v_mul_u32_u24_e32 v13, 0x110, v17
	v_cvt_f32_f16_e32 v5, v6
	s_delay_alu instid0(VALU_DEP_3) | instskip(NEXT) | instid1(VALU_DEP_3)
	v_cvt_f32_f16_e32 v6, v0
	v_add3_u32 v4, 0, v13, v22
	v_add_nc_u32_e32 v13, 0x1400, v14
	s_wait_loadcnt 0x0
	v_lshlrev_b32_e32 v8, 6, v1
	v_lshrrev_b32_e32 v1, 16, v7
	v_cvt_f32_f16_e32 v7, v7
	s_delay_alu instid0(VALU_DEP_2)
	v_cvt_f32_f16_e32 v9, v1
	ds_load_2addr_b32 v[0:1], v4 offset1:32
	v_dual_add_f32 v4, 0, v5 :: v_dual_add_f32 v5, 0, v6
	v_dual_add_f32 v6, 0, v7 :: v_dual_add_f32 v7, 0, v9
	scratch_load_b32 v9, off, off offset:628 th:TH_LOAD_LU ; 4-byte Folded Reload
	v_add_lshl_u32 v17, v158, v8, 3
	v_lshrrev_b32_e32 v8, 16, v10
	v_cvt_f32_f16_e32 v10, v10
	s_delay_alu instid0(VALU_DEP_2) | instskip(SKIP_3) | instid1(VALU_DEP_3)
	v_cvt_f32_f16_e32 v18, v8
	s_wait_loadcnt 0x0
	v_lshlrev_b32_e32 v12, 6, v9
	v_lshrrev_b32_e32 v9, 16, v11
	v_add_f32_e32 v11, 0, v18
	s_delay_alu instid0(VALU_DEP_3) | instskip(NEXT) | instid1(VALU_DEP_3)
	v_add_lshl_u32 v18, v158, v12, 3
	v_cvt_f32_f16_e32 v20, v9
	v_add_f32_e32 v12, 0, v19
	ds_load_2addr_b32 v[8:9], v13 offset0:80 offset1:112
	s_wait_dscnt 0x1
	v_cvt_f32_f16_e32 v19, v0
	v_lshrrev_b32_e32 v0, 16, v0
	v_dual_add_f32 v10, 0, v10 :: v_dual_add_f32 v13, 0, v20
	s_clause 0x3
	global_store_b64 v16, v[2:3], s[0:1]
	global_store_b64 v17, v[4:5], s[0:1]
	global_store_b64 v17, v[6:7], s[0:1] offset:256
	global_store_b64 v18, v[12:13], s[0:1] offset:256
	v_cvt_f32_f16_e32 v0, v0
	v_dual_add_f32 v2, 0, v19 :: v_dual_add_nc_u32 v5, 0x1800, v14
	v_lshrrev_b32_e32 v6, 16, v1
	s_delay_alu instid0(VALU_DEP_3)
	v_dual_add_f32 v3, 0, v0 :: v_dual_lshlrev_b32 v4, 6, v21
	v_cvt_f32_f16_e32 v7, v1
	ds_load_2addr_b32 v[0:1], v5 offset0:96 offset1:128
	v_cvt_f32_f16_e32 v6, v6
	v_add_lshl_u32 v16, v158, v4, 3
	v_and_or_b32 v20, 0x7f0, v199, v15
	v_add_f32_e32 v4, 0, v7
	v_and_or_b32 v15, 0x7f0, v195, v15
	s_wait_dscnt 0x1
	v_lshrrev_b32_e32 v5, 16, v8
	v_cvt_f32_f16_e32 v7, v8
	v_lshrrev_b32_e32 v13, 16, v9
	v_mul_u32_u24_e32 v20, 0x110, v20
	s_delay_alu instid0(VALU_DEP_4)
	v_cvt_f32_f16_e32 v8, v5
	v_add_f32_e32 v5, 0, v6
	scratch_load_b32 v6, off, off offset:620 th:TH_LOAD_LU ; 4-byte Folded Reload
	v_cvt_f32_f16_e32 v17, v13
	s_wait_loadcnt 0x0
	v_lshlrev_b32_e32 v12, 6, v6
	v_dual_add_f32 v6, 0, v7 :: v_dual_add_f32 v7, 0, v8
	v_cvt_f32_f16_e32 v8, v9
	v_add_nc_u32_e32 v9, 0x1c00, v14
	s_delay_alu instid0(VALU_DEP_4) | instskip(NEXT) | instid1(VALU_DEP_3)
	v_add_lshl_u32 v19, v158, v12, 3
	v_add_f32_e32 v8, 0, v8
	ds_load_2addr_b32 v[12:13], v9 offset0:112 offset1:144
	v_add_f32_e32 v9, 0, v17
	s_clause 0x3
	global_store_b64 v18, v[10:11], s[0:1]
	global_store_b64 v16, v[2:3], s[0:1]
	global_store_b64 v16, v[4:5], s[0:1] offset:256
	global_store_b64 v19, v[8:9], s[0:1] offset:256
	s_clause 0x1
	scratch_load_b32 v2, off, off offset:616 th:TH_LOAD_LU
	scratch_load_b32 v10, off, off offset:612 th:TH_LOAD_LU
	s_wait_dscnt 0x1
	v_lshrrev_b32_e32 v17, 16, v0
	v_lshrrev_b32_e32 v8, 16, v1
	v_cvt_f32_f16_e32 v9, v1
	v_cvt_f32_f16_e32 v0, v0
	s_delay_alu instid0(VALU_DEP_4) | instskip(SKIP_1) | instid1(VALU_DEP_2)
	v_cvt_f32_f16_e32 v5, v17
	v_add_nc_u32_e32 v17, 0x2400, v14
	v_add_f32_e32 v1, 0, v5
	v_cvt_f32_f16_e32 v5, v8
	v_add_f32_e32 v0, 0, v0
	s_wait_dscnt 0x0
	v_lshrrev_b32_e32 v8, 16, v12
	v_lshrrev_b32_e32 v11, 16, v13
	v_cvt_f32_f16_e32 v13, v13
	v_add_f32_e32 v5, 0, v5
	s_delay_alu instid0(VALU_DEP_3) | instskip(SKIP_3) | instid1(VALU_DEP_2)
	v_cvt_f32_f16_e32 v18, v11
	s_wait_loadcnt 0x1
	v_lshlrev_b32_e32 v4, 6, v2
	v_add3_u32 v2, 0, v20, v22
	v_add_lshl_u32 v16, v158, v4, 3
	ds_load_2addr_b32 v[2:3], v2 offset1:32
	v_add_f32_e32 v4, 0, v9
	v_cvt_f32_f16_e32 v9, v12
	v_cvt_f32_f16_e32 v12, v8
	s_wait_loadcnt 0x0
	v_lshlrev_b32_e32 v10, 6, v10
	s_delay_alu instid0(VALU_DEP_2) | instskip(NEXT) | instid1(VALU_DEP_2)
	v_dual_add_f32 v8, 0, v9 :: v_dual_add_f32 v9, 0, v12
	v_add_lshl_u32 v20, v158, v10, 3
	ds_load_2addr_b32 v[10:11], v17 offset0:144 offset1:176
	v_dual_add_f32 v12, 0, v13 :: v_dual_add_f32 v13, 0, v18
	s_clause 0x3
	global_store_b64 v19, v[6:7], s[0:1]
	global_store_b64 v16, v[0:1], s[0:1]
	global_store_b64 v16, v[4:5], s[0:1] offset:256
	global_store_b64 v20, v[12:13], s[0:1] offset:256
	v_add_nc_u32_e32 v1, 0x2800, v14
	v_add_nc_u32_e32 v18, 0x2c00, v14
	s_wait_dscnt 0x1
	v_lshrrev_b32_e32 v17, 16, v2
	v_lshrrev_b32_e32 v6, 16, v3
	v_cvt_f32_f16_e32 v0, v2
	v_cvt_f32_f16_e32 v7, v3
	ds_load_2addr_b32 v[2:3], v1 offset0:160 offset1:192
	v_cvt_f32_f16_e32 v5, v17
	s_delay_alu instid0(VALU_DEP_1) | instskip(SKIP_3) | instid1(VALU_DEP_3)
	v_dual_add_f32 v1, 0, v5 :: v_dual_lshlrev_b32 v4, 6, v199
	v_cvt_f32_f16_e32 v5, v6
	s_wait_dscnt 0x1
	v_lshrrev_b32_e32 v6, 16, v10
	v_add_lshl_u32 v16, v158, v4, 3
	s_delay_alu instid0(VALU_DEP_3) | instskip(NEXT) | instid1(VALU_DEP_3)
	v_dual_add_f32 v0, 0, v0 :: v_dual_add_f32 v5, 0, v5
	v_cvt_f32_f16_e32 v13, v6
	v_add_f32_e32 v4, 0, v7
	v_cvt_f32_f16_e32 v7, v10
	v_lshrrev_b32_e32 v10, 16, v11
	v_cvt_f32_f16_e32 v11, v11
	s_delay_alu instid0(VALU_DEP_3) | instskip(NEXT) | instid1(VALU_DEP_3)
	v_add_f32_e32 v6, 0, v7
	v_cvt_f32_f16_e32 v17, v10
	v_dual_add_f32 v7, 0, v13 :: v_dual_lshlrev_b32 v12, 6, v198
	s_delay_alu instid0(VALU_DEP_2) | instskip(NEXT) | instid1(VALU_DEP_2)
	v_dual_add_f32 v10, 0, v11 :: v_dual_add_f32 v11, 0, v17
	v_add_lshl_u32 v19, v158, v12, 3
	ds_load_2addr_b32 v[12:13], v18 offset0:176 offset1:208
	s_wait_dscnt 0x1
	v_lshrrev_b32_e32 v17, 16, v2
	s_clause 0x3
	global_store_b64 v20, v[8:9], s[0:1]
	global_store_b64 v16, v[0:1], s[0:1]
	global_store_b64 v16, v[4:5], s[0:1] offset:256
	global_store_b64 v19, v[10:11], s[0:1] offset:256
	v_mul_u32_u24_e32 v1, 0x110, v15
	v_lshrrev_b32_e32 v5, 16, v3
	v_cvt_f32_f16_e32 v0, v2
	v_cvt_f32_f16_e32 v4, v17
	;; [unrolled: 1-line block ×3, first 2 shown]
	v_add3_u32 v8, 0, v1, v22
	v_cvt_f32_f16_e32 v9, v5
	v_lshlrev_b32_e32 v10, 6, v196
	v_add_f32_e32 v1, 0, v4
	ds_load_2addr_b32 v[4:5], v8 offset1:32
	v_add_lshl_u32 v17, v158, v10, 3
	s_wait_dscnt 0x1
	v_lshrrev_b32_e32 v8, 16, v12
	v_cvt_f32_f16_e32 v11, v12
	v_cvt_f32_f16_e32 v12, v13
	s_delay_alu instid0(VALU_DEP_3) | instskip(SKIP_1) | instid1(VALU_DEP_3)
	v_cvt_f32_f16_e32 v16, v8
	v_lshlrev_b32_e32 v2, 6, v197
	v_add_f32_e32 v10, 0, v12
	v_add_f32_e32 v8, 0, v11
	s_delay_alu instid0(VALU_DEP_3) | instskip(SKIP_3) | instid1(VALU_DEP_2)
	v_add_lshl_u32 v15, v158, v2, 3
	v_dual_add_f32 v2, 0, v3 :: v_dual_add_f32 v3, 0, v9
	v_lshrrev_b32_e32 v9, 16, v13
	v_add_nc_u32_e32 v13, 0x3400, v14
	v_cvt_f32_f16_e32 v9, v9
	ds_load_2addr_b32 v[12:13], v13 offset0:208 offset1:240
	v_dual_add_f32 v0, 0, v0 :: v_dual_add_f32 v11, 0, v9
	s_clause 0x3
	global_store_b64 v19, v[6:7], s[0:1]
	global_store_b64 v15, v[0:1], s[0:1]
	global_store_b64 v15, v[2:3], s[0:1] offset:256
	global_store_b64 v17, v[10:11], s[0:1] offset:256
	s_wait_dscnt 0x1
	v_lshrrev_b32_e32 v0, 16, v4
	v_lshrrev_b32_e32 v1, 16, v5
	v_lshlrev_b32_e32 v6, 6, v195
	v_add_nc_u32_e32 v2, 0x3a00, v14
	v_cvt_f32_f16_e32 v3, v4
	v_cvt_f32_f16_e32 v4, v0
	;; [unrolled: 1-line block ×4, first 2 shown]
	ds_load_2addr_b32 v[0:1], v2 offset0:96 offset1:128
	v_dual_add_f32 v2, 0, v3 :: v_dual_add_f32 v3, 0, v4
	v_add_lshl_u32 v15, v158, v6, 3
	v_dual_add_f32 v4, 0, v5 :: v_dual_add_f32 v5, 0, v7
	s_wait_dscnt 0x1
	v_lshrrev_b32_e32 v6, 16, v12
	v_lshrrev_b32_e32 v7, 16, v13
	v_add_nc_u32_e32 v10, 0x3e00, v14
	v_cvt_f32_f16_e32 v11, v12
	v_add_f32_e32 v9, 0, v16
	v_cvt_f32_f16_e32 v12, v6
	v_cvt_f32_f16_e32 v14, v7
	ds_load_2addr_b32 v[6:7], v10 offset0:112 offset1:144
	v_lshlrev_b32_e32 v16, 6, v194
	v_cvt_f32_f16_e32 v13, v13
	v_dual_add_f32 v10, 0, v11 :: v_dual_add_f32 v11, 0, v12
	s_delay_alu instid0(VALU_DEP_3) | instskip(NEXT) | instid1(VALU_DEP_3)
	v_add_lshl_u32 v16, v158, v16, 3
	v_dual_add_f32 v12, 0, v13 :: v_dual_add_f32 v13, 0, v14
	s_wait_dscnt 0x1
	v_cvt_f32_f16_e32 v14, v0
	v_lshrrev_b32_e32 v0, 16, v0
	s_clause 0x3
	global_store_b64 v17, v[8:9], s[0:1]
	global_store_b64 v15, v[2:3], s[0:1]
	global_store_b64 v15, v[4:5], s[0:1] offset:256
	global_store_b64 v16, v[12:13], s[0:1] offset:256
	v_lshrrev_b32_e32 v2, 16, v1
	v_lshlrev_b32_e32 v4, 6, v193
	v_cvt_f32_f16_e32 v5, v1
	v_cvt_f32_f16_e32 v3, v0
	v_lshlrev_b32_e32 v12, 6, v192
	v_cvt_f32_f16_e32 v8, v2
	v_add_lshl_u32 v9, v158, v4, 3
	v_add_f32_e32 v2, 0, v5
	s_wait_dscnt 0x0
	v_lshrrev_b32_e32 v4, 16, v6
	v_lshrrev_b32_e32 v5, 16, v7
	v_add_f32_e32 v1, 0, v3
	v_add_f32_e32 v3, 0, v8
	v_cvt_f32_f16_e32 v6, v6
	v_cvt_f32_f16_e32 v8, v4
	;; [unrolled: 1-line block ×4, first 2 shown]
	v_add_f32_e32 v0, 0, v14
	s_delay_alu instid0(VALU_DEP_4) | instskip(SKIP_1) | instid1(VALU_DEP_4)
	v_dual_add_f32 v4, 0, v6 :: v_dual_add_f32 v5, 0, v8
	v_add_lshl_u32 v8, v158, v12, 3
	v_dual_add_f32 v6, 0, v7 :: v_dual_add_f32 v7, 0, v13
	s_clause 0x4
	global_store_b64 v16, v[10:11], s[0:1]
	global_store_b64 v9, v[2:3], s[0:1] offset:256
	global_store_b64 v8, v[4:5], s[0:1]
	global_store_b64 v9, v[0:1], s[0:1]
	global_store_b64 v8, v[6:7], s[0:1] offset:256
.LBB25_1206:
	s_nop 0
	s_sendmsg sendmsg(MSG_DEALLOC_VGPRS)
	s_endpgm
	.section	.rodata,"a",@progbits
	.p2align	6, 0x0
	.amdhsa_kernel _ZL18flash_attn_ext_f16ILi128ELi128ELi32ELi2ELb1ELb0EEvPKcS1_S1_S1_S1_PKiPfP15HIP_vector_typeIfLj2EEffffjfiS5_IjLj3EEiiiiiiiiiiiliiliiiiil
		.amdhsa_group_segment_fixed_size 0
		.amdhsa_private_segment_fixed_size 752
		.amdhsa_kernarg_size 464
		.amdhsa_user_sgpr_count 2
		.amdhsa_user_sgpr_dispatch_ptr 0
		.amdhsa_user_sgpr_queue_ptr 0
		.amdhsa_user_sgpr_kernarg_segment_ptr 1
		.amdhsa_user_sgpr_dispatch_id 0
		.amdhsa_user_sgpr_private_segment_size 0
		.amdhsa_wavefront_size32 1
		.amdhsa_uses_dynamic_stack 0
		.amdhsa_enable_private_segment 1
		.amdhsa_system_sgpr_workgroup_id_x 1
		.amdhsa_system_sgpr_workgroup_id_y 0
		.amdhsa_system_sgpr_workgroup_id_z 0
		.amdhsa_system_sgpr_workgroup_info 0
		.amdhsa_system_vgpr_workitem_id 1
		.amdhsa_next_free_vgpr 256
		.amdhsa_next_free_sgpr 105
		.amdhsa_reserve_vcc 1
		.amdhsa_float_round_mode_32 0
		.amdhsa_float_round_mode_16_64 0
		.amdhsa_float_denorm_mode_32 3
		.amdhsa_float_denorm_mode_16_64 3
		.amdhsa_fp16_overflow 0
		.amdhsa_workgroup_processor_mode 1
		.amdhsa_memory_ordered 1
		.amdhsa_forward_progress 1
		.amdhsa_inst_pref_size 255
		.amdhsa_round_robin_scheduling 0
		.amdhsa_exception_fp_ieee_invalid_op 0
		.amdhsa_exception_fp_denorm_src 0
		.amdhsa_exception_fp_ieee_div_zero 0
		.amdhsa_exception_fp_ieee_overflow 0
		.amdhsa_exception_fp_ieee_underflow 0
		.amdhsa_exception_fp_ieee_inexact 0
		.amdhsa_exception_int_div_zero 0
	.end_amdhsa_kernel
	.section	.text._ZL18flash_attn_ext_f16ILi128ELi128ELi32ELi2ELb1ELb0EEvPKcS1_S1_S1_S1_PKiPfP15HIP_vector_typeIfLj2EEffffjfiS5_IjLj3EEiiiiiiiiiiiliiliiiiil,"axG",@progbits,_ZL18flash_attn_ext_f16ILi128ELi128ELi32ELi2ELb1ELb0EEvPKcS1_S1_S1_S1_PKiPfP15HIP_vector_typeIfLj2EEffffjfiS5_IjLj3EEiiiiiiiiiiiliiliiiiil,comdat
.Lfunc_end25:
	.size	_ZL18flash_attn_ext_f16ILi128ELi128ELi32ELi2ELb1ELb0EEvPKcS1_S1_S1_S1_PKiPfP15HIP_vector_typeIfLj2EEffffjfiS5_IjLj3EEiiiiiiiiiiiliiliiiiil, .Lfunc_end25-_ZL18flash_attn_ext_f16ILi128ELi128ELi32ELi2ELb1ELb0EEvPKcS1_S1_S1_S1_PKiPfP15HIP_vector_typeIfLj2EEffffjfiS5_IjLj3EEiiiiiiiiiiiliiliiiiil
                                        ; -- End function
	.set _ZL18flash_attn_ext_f16ILi128ELi128ELi32ELi2ELb1ELb0EEvPKcS1_S1_S1_S1_PKiPfP15HIP_vector_typeIfLj2EEffffjfiS5_IjLj3EEiiiiiiiiiiiliiliiiiil.num_vgpr, 256
	.set _ZL18flash_attn_ext_f16ILi128ELi128ELi32ELi2ELb1ELb0EEvPKcS1_S1_S1_S1_PKiPfP15HIP_vector_typeIfLj2EEffffjfiS5_IjLj3EEiiiiiiiiiiiliiliiiiil.num_agpr, 0
	.set _ZL18flash_attn_ext_f16ILi128ELi128ELi32ELi2ELb1ELb0EEvPKcS1_S1_S1_S1_PKiPfP15HIP_vector_typeIfLj2EEffffjfiS5_IjLj3EEiiiiiiiiiiiliiliiiiil.numbered_sgpr, 105
	.set _ZL18flash_attn_ext_f16ILi128ELi128ELi32ELi2ELb1ELb0EEvPKcS1_S1_S1_S1_PKiPfP15HIP_vector_typeIfLj2EEffffjfiS5_IjLj3EEiiiiiiiiiiiliiliiiiil.num_named_barrier, 0
	.set _ZL18flash_attn_ext_f16ILi128ELi128ELi32ELi2ELb1ELb0EEvPKcS1_S1_S1_S1_PKiPfP15HIP_vector_typeIfLj2EEffffjfiS5_IjLj3EEiiiiiiiiiiiliiliiiiil.private_seg_size, 752
	.set _ZL18flash_attn_ext_f16ILi128ELi128ELi32ELi2ELb1ELb0EEvPKcS1_S1_S1_S1_PKiPfP15HIP_vector_typeIfLj2EEffffjfiS5_IjLj3EEiiiiiiiiiiiliiliiiiil.uses_vcc, 1
	.set _ZL18flash_attn_ext_f16ILi128ELi128ELi32ELi2ELb1ELb0EEvPKcS1_S1_S1_S1_PKiPfP15HIP_vector_typeIfLj2EEffffjfiS5_IjLj3EEiiiiiiiiiiiliiliiiiil.uses_flat_scratch, 1
	.set _ZL18flash_attn_ext_f16ILi128ELi128ELi32ELi2ELb1ELb0EEvPKcS1_S1_S1_S1_PKiPfP15HIP_vector_typeIfLj2EEffffjfiS5_IjLj3EEiiiiiiiiiiiliiliiiiil.has_dyn_sized_stack, 0
	.set _ZL18flash_attn_ext_f16ILi128ELi128ELi32ELi2ELb1ELb0EEvPKcS1_S1_S1_S1_PKiPfP15HIP_vector_typeIfLj2EEffffjfiS5_IjLj3EEiiiiiiiiiiiliiliiiiil.has_recursion, 0
	.set _ZL18flash_attn_ext_f16ILi128ELi128ELi32ELi2ELb1ELb0EEvPKcS1_S1_S1_S1_PKiPfP15HIP_vector_typeIfLj2EEffffjfiS5_IjLj3EEiiiiiiiiiiiliiliiiiil.has_indirect_call, 0
	.section	.AMDGPU.csdata,"",@progbits
; Kernel info:
; codeLenInByte = 164800
; TotalNumSgprs: 107
; NumVgprs: 256
; ScratchSize: 752
; MemoryBound: 0
; FloatMode: 240
; IeeeMode: 1
; LDSByteSize: 0 bytes/workgroup (compile time only)
; SGPRBlocks: 0
; VGPRBlocks: 31
; NumSGPRsForWavesPerEU: 107
; NumVGPRsForWavesPerEU: 256
; Occupancy: 5
; WaveLimiterHint : 1
; COMPUTE_PGM_RSRC2:SCRATCH_EN: 1
; COMPUTE_PGM_RSRC2:USER_SGPR: 2
; COMPUTE_PGM_RSRC2:TRAP_HANDLER: 0
; COMPUTE_PGM_RSRC2:TGID_X_EN: 1
; COMPUTE_PGM_RSRC2:TGID_Y_EN: 0
; COMPUTE_PGM_RSRC2:TGID_Z_EN: 0
; COMPUTE_PGM_RSRC2:TIDIG_COMP_CNT: 1
	.section	.text._ZL33flash_attn_stream_k_fixup_uniformILi128ELi32ELi2EEvPfPK15HIP_vector_typeIfLj2EEiiiiiiS1_IjLj3EES5_S5_,"axG",@progbits,_ZL33flash_attn_stream_k_fixup_uniformILi128ELi32ELi2EEvPfPK15HIP_vector_typeIfLj2EEiiiiiiS1_IjLj3EES5_S5_,comdat
	.globl	_ZL33flash_attn_stream_k_fixup_uniformILi128ELi32ELi2EEvPfPK15HIP_vector_typeIfLj2EEiiiiiiS1_IjLj3EES5_S5_ ; -- Begin function _ZL33flash_attn_stream_k_fixup_uniformILi128ELi32ELi2EEvPfPK15HIP_vector_typeIfLj2EEiiiiiiS1_IjLj3EES5_S5_
	.p2align	8
	.type	_ZL33flash_attn_stream_k_fixup_uniformILi128ELi32ELi2EEvPfPK15HIP_vector_typeIfLj2EEiiiiiiS1_IjLj3EES5_S5_,@function
_ZL33flash_attn_stream_k_fixup_uniformILi128ELi32ELi2EEvPfPK15HIP_vector_typeIfLj2EEiiiiiiS1_IjLj3EES5_S5_: ; @_ZL33flash_attn_stream_k_fixup_uniformILi128ELi32ELi2EEvPfPK15HIP_vector_typeIfLj2EEiiiiiiS1_IjLj3EES5_S5_
; %bb.0:
	s_clause 0x1
	s_load_b256 s[4:11], s[0:1], 0x1c
	s_load_b128 s[12:15], s[0:1], 0x3c
	s_wait_kmcnt 0x0
	s_mul_hi_u32 s2, s7, ttmp9
	s_delay_alu instid0(SALU_CYCLE_1) | instskip(NEXT) | instid1(SALU_CYCLE_1)
	s_add_co_i32 s2, ttmp9, s2
	s_lshr_b32 s2, s2, s8
	s_delay_alu instid0(SALU_CYCLE_1) | instskip(SKIP_2) | instid1(SALU_CYCLE_1)
	s_mul_i32 s3, s2, s9
	s_load_b64 s[8:9], s[0:1], 0x10
	s_sub_co_i32 s7, ttmp9, s3
	s_mul_hi_u32 s3, s7, s10
	s_delay_alu instid0(SALU_CYCLE_1) | instskip(NEXT) | instid1(SALU_CYCLE_1)
	s_add_co_i32 s3, s7, s3
	s_lshr_b32 s3, s3, s11
	s_delay_alu instid0(SALU_CYCLE_1) | instskip(NEXT) | instid1(SALU_CYCLE_1)
	s_mul_i32 s10, s3, s12
	s_sub_co_i32 s7, s7, s10
	s_delay_alu instid0(SALU_CYCLE_1) | instskip(NEXT) | instid1(SALU_CYCLE_1)
	s_mul_hi_u32 s10, s7, s13
	s_add_co_i32 s10, s7, s10
	s_delay_alu instid0(SALU_CYCLE_1) | instskip(NEXT) | instid1(SALU_CYCLE_1)
	s_lshr_b32 s12, s10, s14
	s_mul_i32 s10, s12, s15
	s_lshl_b32 s12, s12, 1
	s_sub_co_i32 s11, s7, s10
	s_and_b32 s7, ttmp7, 0xffff
	s_lshl_b32 s13, s11, 5
	s_lshr_b32 s10, ttmp7, 16
	s_add_co_i32 s13, s13, s7
	s_wait_kmcnt 0x0
	s_cmp_lt_i32 s13, s8
	s_cselect_b32 s13, -1, 0
	s_add_co_i32 s14, s12, s10
	s_delay_alu instid0(SALU_CYCLE_1) | instskip(SKIP_1) | instid1(SALU_CYCLE_1)
	s_cmp_lt_i32 s14, s5
	s_cselect_b32 s14, -1, 0
	s_and_b32 s13, s13, s14
	s_delay_alu instid0(SALU_CYCLE_1)
	s_and_not1_b32 vcc_lo, exec_lo, s13
	s_cbranch_vccnz .LBB26_6
; %bb.1:
	s_mul_i32 s2, s2, s8
	s_mul_i32 s5, s3, s5
	s_add_co_i32 s2, s2, s7
	s_delay_alu instid0(SALU_CYCLE_1) | instskip(NEXT) | instid1(SALU_CYCLE_1)
	s_mul_i32 s2, s2, s9
	s_add_co_i32 s8, s2, s10
	s_load_b128 s[0:3], s[0:1], 0x0
	s_add_co_i32 s5, s8, s5
	s_mul_i32 s8, s9, s11
	s_add_co_i32 s5, s5, s12
	s_lshl_b32 s8, s8, 12
	s_lshl_b32 s5, s5, 7
	s_delay_alu instid0(SALU_CYCLE_1)
	s_add_co_i32 s8, s8, s5
	s_lshl_b32 s5, s7, 1
	v_or_b32_e32 v1, s8, v0
	s_mul_i32 s8, s6, ttmp9
	s_wait_alu 0xfffe
	s_add_co_i32 s9, s8, s6
	s_wait_alu 0xfffe
	s_add_co_i32 s12, s9, -2
	v_ashrrev_i32_e32 v2, 31, v1
	s_delay_alu instid0(VALU_DEP_1) | instskip(SKIP_1) | instid1(VALU_DEP_1)
	v_lshlrev_b64_e32 v[1:2], 2, v[1:2]
	s_wait_kmcnt 0x0
	v_add_co_u32 v1, vcc_lo, s0, v1
	s_delay_alu instid0(VALU_DEP_1)
	v_add_co_ci_u32_e64 v2, null, s1, v2, vcc_lo
	s_add_co_i32 s0, s5, s10
	s_lshl_b32 s1, s9, 6
	global_load_b32 v5, v[1:2], off
	s_wait_alu 0xfffe
	s_add_co_i32 s0, s0, s1
	s_wait_alu 0xfffe
	s_sub_co_i32 s0, s0, 64
	s_wait_alu 0xfffe
	s_ashr_i32 s1, s0, 31
	s_wait_alu 0xfffe
	s_lshl_b64 s[0:1], s[0:1], 3
	s_cmp_lt_i32 s12, s8
	s_wait_alu 0xfffe
	s_add_nc_u64 s[0:1], s[2:3], s[0:1]
	s_load_b32 s11, s[0:1], 0x4
	s_cbranch_scc1 .LBB26_4
; %bb.2:
	s_load_b32 s0, s[0:1], 0x0
	s_add_co_i32 s13, ttmp9, 1
	s_lshl_b32 s12, s4, 8
	s_mul_i32 s1, s6, s13
	s_lshl_b32 s6, s7, 8
	s_lshl_b32 s7, s10, 7
	s_wait_alu 0xfffe
	s_lshl_b32 s14, s1, 13
	s_add_co_i32 s6, s7, s6
	s_lshl_b32 s1, s1, 6
	s_add_co_i32 s14, s6, s14
	s_wait_alu 0xfffe
	s_add_co_i32 s1, s10, s1
	v_or_b32_e32 v0, s14, v0
	s_lshl_b32 s4, s4, 6
	s_ashr_i32 s13, s12, 31
	s_wait_alu 0xfffe
	s_add_co_i32 s1, s1, s4
	s_wait_kmcnt 0x0
	v_dual_mov_b32 v6, s11 :: v_dual_add_nc_u32 v3, 0xffffc000, v0
	s_lshl_b64 s[6:7], s[12:13], 2
	s_wait_alu 0xfffe
	s_add_co_i32 s4, s1, s5
	s_add_nc_u64 s[6:7], s[2:3], s[6:7]
	s_add_co_i32 s1, s9, -1
	s_addk_co_i32 s4, 0xff80
.LBB26_3:                               ; =>This Inner Loop Header: Depth=1
	v_ashrrev_i32_e32 v4, 31, v3
	s_ashr_i32 s5, s4, 31
	v_mov_b32_e32 v10, v6
	s_lshl_b64 s[10:11], s[4:5], 3
	s_wait_loadcnt 0x0
	v_mov_b32_e32 v9, v5
	v_lshlrev_b64_e32 v[7:8], 2, v[3:4]
	s_wait_alu 0xfffe
	s_add_nc_u64 s[10:11], s[2:3], s[10:11]
	v_max_num_f32_e64 v4, s0, s0
	s_load_b64 s[10:11], s[10:11], 0x0
	v_add_nc_u32_e32 v3, 0xffffe000, v3
	v_add_co_u32 v7, vcc_lo, s6, v7
	s_wait_alu 0xfffd
	v_add_co_ci_u32_e64 v8, null, s7, v8, vcc_lo
	v_readfirstlane_b32 s5, v4
	global_load_b32 v0, v[7:8], off
	s_wait_kmcnt 0x0
	v_max_num_f32_e64 v4, s10, s10
	s_delay_alu instid0(VALU_DEP_1) | instskip(SKIP_1) | instid1(SALU_CYCLE_3)
	v_readfirstlane_b32 s9, v4
	s_max_num_f32 s5, s5, s9
	s_sub_f32 s0, s0, s5
	s_sub_f32 s9, s10, s5
	s_wait_alu 0xfffe
	s_delay_alu instid0(SALU_CYCLE_1) | instskip(NEXT) | instid1(SALU_CYCLE_1)
	s_mul_f32 s10, s0, 0x3fb8aa3b
	s_mul_f32 s12, s9, 0x3fb8aa3b
	s_wait_alu 0xfffe
	s_delay_alu instid0(SALU_CYCLE_1)
	s_xor_b32 s13, s10, 0x80000000
	s_rndne_f32 s14, s10
	s_fmamk_f32 s13, s0, 0x3fb8aa3b, s13
	s_cmp_nlt_f32 s0, 0xc2ce8ed0
	s_rndne_f32 s15, s12
	s_wait_alu 0xfffe
	s_sub_f32 s10, s10, s14
	s_fmamk_f32 s13, s0, 0x32a5705f, s13
	s_cvt_i32_f32 s14, s14
	s_cselect_b32 vcc_lo, -1, 0
	s_cmp_ngt_f32 s0, 0x42b17218
	s_wait_alu 0xfffe
	s_add_f32 s10, s10, s13
	s_sub_f32 s13, s12, s15
	s_wait_alu 0xfffe
	s_delay_alu instid0(SALU_CYCLE_1) | instskip(SKIP_1) | instid1(TRANS32_DEP_1)
	v_s_exp_f32 s10, s10
	s_wait_alu 0xf1ff
	v_ldexp_f32 v4, s10, s14
	s_cvt_i32_f32 s10, s15
	s_delay_alu instid0(VALU_DEP_1) | instskip(SKIP_3) | instid1(VALU_DEP_1)
	v_cndmask_b32_e32 v4, 0, v4, vcc_lo
	s_cselect_b32 vcc_lo, -1, 0
	s_cmp_ge_f32 s0, 0xc1a00000
	s_wait_alu 0xfffe
	v_cndmask_b32_e32 v4, 0x7f800000, v4, vcc_lo
	s_cselect_b32 vcc_lo, -1, 0
	s_xor_b32 s0, s12, 0x80000000
	s_cmp_nlt_f32 s9, 0xc2ce8ed0
	s_wait_alu 0xfffe
	s_fmamk_f32 s0, s9, 0x3fb8aa3b, s0
	s_wait_alu 0xfffe
	s_delay_alu instid0(SALU_CYCLE_2) | instskip(SKIP_1) | instid1(SALU_CYCLE_2)
	s_fmamk_f32 s0, s9, 0x32a5705f, s0
	s_wait_alu 0xfffe
	s_add_f32 s0, s13, s0
	s_wait_alu 0xfffe
	s_delay_alu instid0(SALU_CYCLE_2) | instskip(SKIP_1) | instid1(TRANS32_DEP_1)
	v_s_exp_f32 s0, s0
	s_wait_alu 0xf1ff
	v_ldexp_f32 v7, s0, s10
	s_cselect_b32 s0, -1, 0
	s_cmp_ngt_f32 s9, 0x42b17218
	s_wait_alu 0xfffe
	s_delay_alu instid0(VALU_DEP_1) | instskip(SKIP_3) | instid1(VALU_DEP_1)
	v_cndmask_b32_e64 v7, 0, v7, s0
	s_cselect_b32 s0, -1, 0
	s_cmp_ge_f32 s9, 0xc1a00000
	s_wait_alu 0xfffe
	v_cndmask_b32_e64 v7, 0x7f800000, v7, s0
	s_cselect_b32 s0, -1, 0
	s_add_co_i32 s1, s1, -1
	s_sub_co_i32 s4, s4, 64
	s_wait_alu 0xfffe
	s_cmp_le_i32 s1, s8
	v_cndmask_b32_e64 v7, 0, v7, s0
	s_mov_b32 s0, s5
	s_wait_loadcnt 0x0
	s_delay_alu instid0(VALU_DEP_1) | instskip(NEXT) | instid1(VALU_DEP_1)
	v_dual_mul_f32 v5, v0, v7 :: v_dual_cndmask_b32 v4, 0, v4
	v_dual_mul_f32 v8, s11, v7 :: v_dual_fmac_f32 v5, v9, v4
	s_delay_alu instid0(VALU_DEP_1) | instskip(NEXT) | instid1(VALU_DEP_1)
	v_mov_b32_e32 v6, v8
	v_fmac_f32_e32 v6, v10, v4
	s_cbranch_scc0 .LBB26_3
	s_branch .LBB26_5
.LBB26_4:
	s_wait_kmcnt 0x0
	v_mov_b32_e32 v6, s11
.LBB26_5:
	s_wait_loadcnt 0x0
	s_delay_alu instid0(VALU_DEP_1) | instskip(NEXT) | instid1(VALU_DEP_1)
	v_div_scale_f32 v0, null, v6, v6, v5
	v_rcp_f32_e32 v3, v0
	s_delay_alu instid0(TRANS32_DEP_1) | instskip(NEXT) | instid1(VALU_DEP_1)
	v_fma_f32 v4, -v0, v3, 1.0
	v_fmac_f32_e32 v3, v4, v3
	v_div_scale_f32 v4, vcc_lo, v5, v6, v5
	s_delay_alu instid0(VALU_DEP_1) | instskip(NEXT) | instid1(VALU_DEP_1)
	v_mul_f32_e32 v7, v4, v3
	v_fma_f32 v8, -v0, v7, v4
	s_delay_alu instid0(VALU_DEP_1) | instskip(NEXT) | instid1(VALU_DEP_1)
	v_fmac_f32_e32 v7, v8, v3
	v_fma_f32 v0, -v0, v7, v4
	s_wait_alu 0xfffd
	s_delay_alu instid0(VALU_DEP_1) | instskip(NEXT) | instid1(VALU_DEP_1)
	v_div_fmas_f32 v0, v0, v3, v7
	v_div_fixup_f32 v0, v0, v6, v5
	global_store_b32 v[1:2], v0, off
.LBB26_6:
	s_endpgm
	.section	.rodata,"a",@progbits
	.p2align	6, 0x0
	.amdhsa_kernel _ZL33flash_attn_stream_k_fixup_uniformILi128ELi32ELi2EEvPfPK15HIP_vector_typeIfLj2EEiiiiiiS1_IjLj3EES5_S5_
		.amdhsa_group_segment_fixed_size 0
		.amdhsa_private_segment_fixed_size 0
		.amdhsa_kernarg_size 76
		.amdhsa_user_sgpr_count 2
		.amdhsa_user_sgpr_dispatch_ptr 0
		.amdhsa_user_sgpr_queue_ptr 0
		.amdhsa_user_sgpr_kernarg_segment_ptr 1
		.amdhsa_user_sgpr_dispatch_id 0
		.amdhsa_user_sgpr_private_segment_size 0
		.amdhsa_wavefront_size32 1
		.amdhsa_uses_dynamic_stack 0
		.amdhsa_enable_private_segment 0
		.amdhsa_system_sgpr_workgroup_id_x 1
		.amdhsa_system_sgpr_workgroup_id_y 1
		.amdhsa_system_sgpr_workgroup_id_z 1
		.amdhsa_system_sgpr_workgroup_info 0
		.amdhsa_system_vgpr_workitem_id 0
		.amdhsa_next_free_vgpr 11
		.amdhsa_next_free_sgpr 16
		.amdhsa_reserve_vcc 1
		.amdhsa_float_round_mode_32 0
		.amdhsa_float_round_mode_16_64 0
		.amdhsa_float_denorm_mode_32 3
		.amdhsa_float_denorm_mode_16_64 3
		.amdhsa_fp16_overflow 0
		.amdhsa_workgroup_processor_mode 1
		.amdhsa_memory_ordered 1
		.amdhsa_forward_progress 1
		.amdhsa_inst_pref_size 9
		.amdhsa_round_robin_scheduling 0
		.amdhsa_exception_fp_ieee_invalid_op 0
		.amdhsa_exception_fp_denorm_src 0
		.amdhsa_exception_fp_ieee_div_zero 0
		.amdhsa_exception_fp_ieee_overflow 0
		.amdhsa_exception_fp_ieee_underflow 0
		.amdhsa_exception_fp_ieee_inexact 0
		.amdhsa_exception_int_div_zero 0
	.end_amdhsa_kernel
	.section	.text._ZL33flash_attn_stream_k_fixup_uniformILi128ELi32ELi2EEvPfPK15HIP_vector_typeIfLj2EEiiiiiiS1_IjLj3EES5_S5_,"axG",@progbits,_ZL33flash_attn_stream_k_fixup_uniformILi128ELi32ELi2EEvPfPK15HIP_vector_typeIfLj2EEiiiiiiS1_IjLj3EES5_S5_,comdat
.Lfunc_end26:
	.size	_ZL33flash_attn_stream_k_fixup_uniformILi128ELi32ELi2EEvPfPK15HIP_vector_typeIfLj2EEiiiiiiS1_IjLj3EES5_S5_, .Lfunc_end26-_ZL33flash_attn_stream_k_fixup_uniformILi128ELi32ELi2EEvPfPK15HIP_vector_typeIfLj2EEiiiiiiS1_IjLj3EES5_S5_
                                        ; -- End function
	.set _ZL33flash_attn_stream_k_fixup_uniformILi128ELi32ELi2EEvPfPK15HIP_vector_typeIfLj2EEiiiiiiS1_IjLj3EES5_S5_.num_vgpr, 11
	.set _ZL33flash_attn_stream_k_fixup_uniformILi128ELi32ELi2EEvPfPK15HIP_vector_typeIfLj2EEiiiiiiS1_IjLj3EES5_S5_.num_agpr, 0
	.set _ZL33flash_attn_stream_k_fixup_uniformILi128ELi32ELi2EEvPfPK15HIP_vector_typeIfLj2EEiiiiiiS1_IjLj3EES5_S5_.numbered_sgpr, 16
	.set _ZL33flash_attn_stream_k_fixup_uniformILi128ELi32ELi2EEvPfPK15HIP_vector_typeIfLj2EEiiiiiiS1_IjLj3EES5_S5_.num_named_barrier, 0
	.set _ZL33flash_attn_stream_k_fixup_uniformILi128ELi32ELi2EEvPfPK15HIP_vector_typeIfLj2EEiiiiiiS1_IjLj3EES5_S5_.private_seg_size, 0
	.set _ZL33flash_attn_stream_k_fixup_uniformILi128ELi32ELi2EEvPfPK15HIP_vector_typeIfLj2EEiiiiiiS1_IjLj3EES5_S5_.uses_vcc, 1
	.set _ZL33flash_attn_stream_k_fixup_uniformILi128ELi32ELi2EEvPfPK15HIP_vector_typeIfLj2EEiiiiiiS1_IjLj3EES5_S5_.uses_flat_scratch, 0
	.set _ZL33flash_attn_stream_k_fixup_uniformILi128ELi32ELi2EEvPfPK15HIP_vector_typeIfLj2EEiiiiiiS1_IjLj3EES5_S5_.has_dyn_sized_stack, 0
	.set _ZL33flash_attn_stream_k_fixup_uniformILi128ELi32ELi2EEvPfPK15HIP_vector_typeIfLj2EEiiiiiiS1_IjLj3EES5_S5_.has_recursion, 0
	.set _ZL33flash_attn_stream_k_fixup_uniformILi128ELi32ELi2EEvPfPK15HIP_vector_typeIfLj2EEiiiiiiS1_IjLj3EES5_S5_.has_indirect_call, 0
	.section	.AMDGPU.csdata,"",@progbits
; Kernel info:
; codeLenInByte = 1140
; TotalNumSgprs: 18
; NumVgprs: 11
; ScratchSize: 0
; MemoryBound: 0
; FloatMode: 240
; IeeeMode: 1
; LDSByteSize: 0 bytes/workgroup (compile time only)
; SGPRBlocks: 0
; VGPRBlocks: 1
; NumSGPRsForWavesPerEU: 18
; NumVGPRsForWavesPerEU: 11
; Occupancy: 16
; WaveLimiterHint : 0
; COMPUTE_PGM_RSRC2:SCRATCH_EN: 0
; COMPUTE_PGM_RSRC2:USER_SGPR: 2
; COMPUTE_PGM_RSRC2:TRAP_HANDLER: 0
; COMPUTE_PGM_RSRC2:TGID_X_EN: 1
; COMPUTE_PGM_RSRC2:TGID_Y_EN: 1
; COMPUTE_PGM_RSRC2:TGID_Z_EN: 1
; COMPUTE_PGM_RSRC2:TIDIG_COMP_CNT: 0
	.section	.text._ZL33flash_attn_stream_k_fixup_generalILi128ELi32ELi2EEvPfPK15HIP_vector_typeIfLj2EEiiiiS1_IjLj3EES5_S5_S5_,"axG",@progbits,_ZL33flash_attn_stream_k_fixup_generalILi128ELi32ELi2EEvPfPK15HIP_vector_typeIfLj2EEiiiiS1_IjLj3EES5_S5_S5_,comdat
	.globl	_ZL33flash_attn_stream_k_fixup_generalILi128ELi32ELi2EEvPfPK15HIP_vector_typeIfLj2EEiiiiS1_IjLj3EES5_S5_S5_ ; -- Begin function _ZL33flash_attn_stream_k_fixup_generalILi128ELi32ELi2EEvPfPK15HIP_vector_typeIfLj2EEiiiiS1_IjLj3EES5_S5_S5_
	.p2align	8
	.type	_ZL33flash_attn_stream_k_fixup_generalILi128ELi32ELi2EEvPfPK15HIP_vector_typeIfLj2EEiiiiS1_IjLj3EES5_S5_S5_,@function
_ZL33flash_attn_stream_k_fixup_generalILi128ELi32ELi2EEvPfPK15HIP_vector_typeIfLj2EEiiiiS1_IjLj3EES5_S5_S5_: ; @_ZL33flash_attn_stream_k_fixup_generalILi128ELi32ELi2EEvPfPK15HIP_vector_typeIfLj2EEiiiiS1_IjLj3EES5_S5_S5_
; %bb.0:
	s_clause 0x1
	s_load_b128 s[4:7], s[0:1], 0x10
	s_load_b32 s16, s[0:1], 0x50
	s_mov_b32 s2, ttmp9
	s_ashr_i32 s3, ttmp9, 31
	s_mov_b32 s17, 0
	s_delay_alu instid0(SALU_CYCLE_1) | instskip(SKIP_3) | instid1(SALU_CYCLE_1)
	s_mov_b32 s8, s17
	s_wait_kmcnt 0x0
	s_ashr_i32 s19, s7, 31
	s_mov_b32 s18, s7
	s_mul_u64 s[2:3], s[18:19], s[2:3]
	s_delay_alu instid0(SALU_CYCLE_1) | instskip(NEXT) | instid1(SALU_CYCLE_1)
	s_mov_b32 s9, s3
	s_cmp_lg_u64 s[8:9], 0
	s_cbranch_scc0 .LBB27_21
; %bb.1:
	s_add_nc_u64 s[8:9], s[16:17], 0
	s_mov_b32 s15, s17
	s_xor_b64 s[8:9], s[8:9], 0
	s_mov_b32 s23, s17
	s_cvt_f32_u32 s7, s8
	s_cvt_f32_u32 s10, s9
	s_sub_nc_u64 s[12:13], 0, s[8:9]
	s_delay_alu instid0(SALU_CYCLE_2) | instskip(NEXT) | instid1(SALU_CYCLE_3)
	s_fmamk_f32 s7, s10, 0x4f800000, s7
	v_s_rcp_f32 s7, s7
	s_delay_alu instid0(TRANS32_DEP_1) | instskip(SKIP_1) | instid1(SALU_CYCLE_2)
	s_mul_f32 s7, s7, 0x5f7ffffc
	s_wait_alu 0xfffe
	s_mul_f32 s10, s7, 0x2f800000
	s_delay_alu instid0(SALU_CYCLE_3) | instskip(NEXT) | instid1(SALU_CYCLE_3)
	s_trunc_f32 s10, s10
	s_fmamk_f32 s7, s10, 0xcf800000, s7
	s_cvt_u32_f32 s11, s10
	s_wait_alu 0xfffe
	s_delay_alu instid0(SALU_CYCLE_1) | instskip(NEXT) | instid1(SALU_CYCLE_3)
	s_cvt_u32_f32 s10, s7
	s_mul_u64 s[20:21], s[12:13], s[10:11]
	s_delay_alu instid0(SALU_CYCLE_1)
	s_mul_hi_u32 s25, s10, s21
	s_mul_i32 s24, s10, s21
	s_mul_hi_u32 s14, s10, s20
	s_mul_i32 s22, s11, s20
	s_add_nc_u64 s[14:15], s[14:15], s[24:25]
	s_mul_hi_u32 s7, s11, s20
	s_mul_hi_u32 s26, s11, s21
	s_add_co_u32 s14, s14, s22
	s_wait_alu 0xfffe
	s_add_co_ci_u32 s22, s15, s7
	s_mul_i32 s20, s11, s21
	s_add_co_ci_u32 s21, s26, 0
	s_delay_alu instid0(SALU_CYCLE_1)
	s_add_nc_u64 s[14:15], s[22:23], s[20:21]
	s_mov_b32 s21, s17
	s_add_co_u32 s10, s10, s14
	s_cselect_b32 s7, -1, 0
	s_wait_alu 0xfffe
	s_cmp_lg_u32 s7, 0
	s_add_co_ci_u32 s11, s11, s15
	s_mov_b32 s15, s17
	s_mul_u64 s[12:13], s[12:13], s[10:11]
	s_delay_alu instid0(SALU_CYCLE_1)
	s_mul_hi_u32 s23, s10, s13
	s_mul_i32 s22, s10, s13
	s_mul_hi_u32 s14, s10, s12
	s_mul_i32 s20, s11, s12
	s_add_nc_u64 s[14:15], s[14:15], s[22:23]
	s_mul_hi_u32 s7, s11, s12
	s_mul_hi_u32 s24, s11, s13
	s_mul_i32 s12, s11, s13
	s_add_co_u32 s13, s14, s20
	s_wait_alu 0xfffe
	s_add_co_ci_u32 s20, s15, s7
	s_add_co_ci_u32 s13, s24, 0
	s_mov_b32 s15, s17
	s_add_nc_u64 s[12:13], s[20:21], s[12:13]
	s_delay_alu instid0(SALU_CYCLE_1) | instskip(SKIP_1) | instid1(SALU_CYCLE_1)
	s_add_co_u32 s7, s10, s12
	s_cselect_b32 s10, -1, 0
	s_cmp_lg_u32 s10, 0
	s_add_co_ci_u32 s20, s11, s13
	s_ashr_i32 s10, s3, 31
	s_delay_alu instid0(SALU_CYCLE_1) | instskip(NEXT) | instid1(SALU_CYCLE_1)
	s_mov_b32 s11, s10
	s_add_nc_u64 s[12:13], s[2:3], s[10:11]
	s_delay_alu instid0(SALU_CYCLE_1) | instskip(NEXT) | instid1(SALU_CYCLE_1)
	s_xor_b64 s[12:13], s[12:13], s[10:11]
	s_mul_hi_u32 s23, s12, s20
	s_mul_i32 s22, s12, s20
	s_wait_alu 0xfffe
	s_mul_hi_u32 s14, s12, s7
	s_mul_hi_u32 s24, s13, s7
	s_mul_i32 s7, s13, s7
	s_add_nc_u64 s[14:15], s[14:15], s[22:23]
	s_mul_hi_u32 s3, s13, s20
	s_wait_alu 0xfffe
	s_add_co_u32 s7, s14, s7
	s_mul_i32 s22, s13, s20
	s_add_co_ci_u32 s20, s15, s24
	s_add_co_ci_u32 s23, s3, 0
	s_delay_alu instid0(SALU_CYCLE_1) | instskip(NEXT) | instid1(SALU_CYCLE_1)
	s_add_nc_u64 s[14:15], s[20:21], s[22:23]
	s_mul_u64 s[20:21], s[8:9], s[14:15]
	s_delay_alu instid0(SALU_CYCLE_1)
	s_sub_co_u32 s3, s12, s20
	s_cselect_b32 s7, -1, 0
	s_sub_co_i32 s12, s13, s21
	s_wait_alu 0xfffe
	s_cmp_lg_u32 s7, 0
	s_sub_co_ci_u32 s12, s12, s9
	s_sub_co_u32 s20, s3, s8
	s_cselect_b32 s22, -1, 0
	s_delay_alu instid0(SALU_CYCLE_1) | instskip(SKIP_2) | instid1(SALU_CYCLE_1)
	s_cmp_lg_u32 s22, 0
	s_add_nc_u64 s[22:23], s[14:15], 1
	s_sub_co_ci_u32 s12, s12, 0
	s_cmp_ge_u32 s12, s9
	s_cselect_b32 s24, -1, 0
	s_cmp_ge_u32 s20, s8
	s_cselect_b32 s20, -1, 0
	s_cmp_eq_u32 s12, s9
	s_cselect_b32 s12, s20, s24
	s_add_nc_u64 s[24:25], s[14:15], 2
	s_cmp_lg_u32 s12, 0
	s_cselect_b32 s12, s24, s22
	s_cselect_b32 s20, s25, s23
	s_cmp_lg_u32 s7, 0
	s_sub_co_ci_u32 s7, s13, s21
	s_wait_alu 0xfffe
	s_cmp_ge_u32 s7, s9
	s_cselect_b32 s13, -1, 0
	s_cmp_ge_u32 s3, s8
	s_cselect_b32 s3, -1, 0
	s_cmp_eq_u32 s7, s9
	s_cselect_b32 s3, s3, s13
	s_delay_alu instid0(SALU_CYCLE_1) | instskip(SKIP_4) | instid1(SALU_CYCLE_1)
	s_cmp_lg_u32 s3, 0
	s_mov_b32 s3, s17
	s_cselect_b32 s9, s20, s15
	s_cselect_b32 s8, s12, s14
	s_xor_b64 s[10:11], s[10:11], 0
	s_xor_b64 s[8:9], s[8:9], s[10:11]
	s_delay_alu instid0(SALU_CYCLE_1)
	s_sub_nc_u64 s[20:21], s[8:9], s[10:11]
	s_and_not1_b32 vcc_lo, exec_lo, s3
	s_cbranch_vccnz .LBB27_3
.LBB27_2:
	v_cvt_f32_u32_e32 v1, s16
	s_sub_co_i32 s7, 0, s16
	s_delay_alu instid0(VALU_DEP_1) | instskip(NEXT) | instid1(TRANS32_DEP_1)
	v_rcp_iflag_f32_e32 v1, v1
	v_mul_f32_e32 v1, 0x4f7ffffe, v1
	s_delay_alu instid0(VALU_DEP_1) | instskip(NEXT) | instid1(VALU_DEP_1)
	v_cvt_u32_f32_e32 v1, v1
	v_readfirstlane_b32 s3, v1
	s_wait_alu 0xfffe
	s_mul_i32 s7, s7, s3
	s_wait_alu 0xfffe
	s_mul_hi_u32 s7, s3, s7
	s_wait_alu 0xfffe
	s_add_co_i32 s3, s3, s7
	s_delay_alu instid0(SALU_CYCLE_1) | instskip(NEXT) | instid1(SALU_CYCLE_1)
	s_mul_hi_u32 s3, s2, s3
	s_mul_i32 s7, s3, s16
	s_wait_alu 0xfffe
	s_sub_co_i32 s2, s2, s7
	s_add_co_i32 s7, s3, 1
	s_sub_co_i32 s8, s2, s16
	s_cmp_ge_u32 s2, s16
	s_wait_alu 0xfffe
	s_cselect_b32 s3, s7, s3
	s_cselect_b32 s2, s8, s2
	s_add_co_i32 s7, s3, 1
	s_cmp_ge_u32 s2, s16
	s_wait_alu 0xfffe
	s_cselect_b32 s20, s7, s3
.LBB27_3:
	s_add_co_i32 s2, ttmp9, 1
	s_mov_b32 s8, 0
	s_ashr_i32 s3, s2, 31
	s_delay_alu instid0(SALU_CYCLE_1) | instskip(NEXT) | instid1(SALU_CYCLE_1)
	s_mul_u64 s[2:3], s[18:19], s[2:3]
	s_mov_b32 s9, s3
	s_delay_alu instid0(SALU_CYCLE_1)
	s_cmp_lg_u64 s[8:9], 0
	s_cbranch_scc0 .LBB27_22
; %bb.4:
	s_add_nc_u64 s[10:11], s[16:17], 0
	s_mov_b32 s23, s8
	s_xor_b64 s[10:11], s[10:11], 0
	s_mov_b32 s27, s8
	s_cvt_f32_u32 s7, s10
	s_cvt_f32_u32 s9, s11
	s_sub_nc_u64 s[14:15], 0, s[10:11]
	s_wait_alu 0xfffe
	s_delay_alu instid0(SALU_CYCLE_1) | instskip(SKIP_1) | instid1(SALU_CYCLE_2)
	s_fmamk_f32 s7, s9, 0x4f800000, s7
	s_wait_alu 0xfffe
	v_s_rcp_f32 s7, s7
	s_delay_alu instid0(TRANS32_DEP_1) | instskip(SKIP_1) | instid1(SALU_CYCLE_2)
	s_mul_f32 s7, s7, 0x5f7ffffc
	s_wait_alu 0xfffe
	s_mul_f32 s9, s7, 0x2f800000
	s_delay_alu instid0(SALU_CYCLE_3) | instskip(NEXT) | instid1(SALU_CYCLE_3)
	s_trunc_f32 s9, s9
	s_fmamk_f32 s7, s9, 0xcf800000, s7
	s_cvt_u32_f32 s13, s9
	s_wait_alu 0xfffe
	s_delay_alu instid0(SALU_CYCLE_1) | instskip(NEXT) | instid1(SALU_CYCLE_3)
	s_cvt_u32_f32 s12, s7
	s_mul_u64 s[24:25], s[14:15], s[12:13]
	s_delay_alu instid0(SALU_CYCLE_1)
	s_mul_hi_u32 s29, s12, s25
	s_mul_i32 s28, s12, s25
	s_mul_hi_u32 s22, s12, s24
	s_mul_i32 s9, s13, s24
	s_add_nc_u64 s[22:23], s[22:23], s[28:29]
	s_mul_hi_u32 s7, s13, s24
	s_mul_hi_u32 s21, s13, s25
	s_add_co_u32 s9, s22, s9
	s_wait_alu 0xfffe
	s_add_co_ci_u32 s26, s23, s7
	s_mul_i32 s24, s13, s25
	s_add_co_ci_u32 s25, s21, 0
	s_delay_alu instid0(SALU_CYCLE_1)
	s_add_nc_u64 s[22:23], s[26:27], s[24:25]
	s_mov_b32 s25, s8
	s_add_co_u32 s12, s12, s22
	s_cselect_b32 s7, -1, 0
	s_wait_alu 0xfffe
	s_cmp_lg_u32 s7, 0
	s_add_co_ci_u32 s13, s13, s23
	s_mov_b32 s23, s8
	s_mul_u64 s[14:15], s[14:15], s[12:13]
	s_delay_alu instid0(SALU_CYCLE_1)
	s_mul_hi_u32 s27, s12, s15
	s_mul_i32 s26, s12, s15
	s_mul_hi_u32 s22, s12, s14
	s_mul_i32 s9, s13, s14
	s_add_nc_u64 s[22:23], s[22:23], s[26:27]
	s_mul_hi_u32 s7, s13, s14
	s_mul_hi_u32 s21, s13, s15
	s_add_co_u32 s9, s22, s9
	s_wait_alu 0xfffe
	s_add_co_ci_u32 s24, s23, s7
	s_mul_i32 s14, s13, s15
	s_add_co_ci_u32 s15, s21, 0
	s_mov_b32 s23, s8
	s_add_nc_u64 s[14:15], s[24:25], s[14:15]
	s_delay_alu instid0(SALU_CYCLE_1) | instskip(SKIP_1) | instid1(SALU_CYCLE_1)
	s_add_co_u32 s7, s12, s14
	s_cselect_b32 s9, -1, 0
	s_cmp_lg_u32 s9, 0
	s_add_co_ci_u32 s9, s13, s15
	s_ashr_i32 s12, s3, 31
	s_delay_alu instid0(SALU_CYCLE_1) | instskip(NEXT) | instid1(SALU_CYCLE_1)
	s_mov_b32 s13, s12
	s_add_nc_u64 s[14:15], s[2:3], s[12:13]
	s_delay_alu instid0(SALU_CYCLE_1) | instskip(NEXT) | instid1(SALU_CYCLE_1)
	s_xor_b64 s[14:15], s[14:15], s[12:13]
	s_mul_hi_u32 s27, s14, s9
	s_mul_i32 s26, s14, s9
	s_wait_alu 0xfffe
	s_mul_hi_u32 s22, s14, s7
	s_mul_hi_u32 s21, s15, s7
	s_mul_i32 s7, s15, s7
	s_add_nc_u64 s[22:23], s[22:23], s[26:27]
	s_mul_hi_u32 s3, s15, s9
	s_wait_alu 0xfffe
	s_add_co_u32 s7, s22, s7
	s_add_co_ci_u32 s24, s23, s21
	s_mul_i32 s26, s15, s9
	s_add_co_ci_u32 s27, s3, 0
	s_delay_alu instid0(SALU_CYCLE_1) | instskip(NEXT) | instid1(SALU_CYCLE_1)
	s_add_nc_u64 s[22:23], s[24:25], s[26:27]
	s_mul_u64 s[24:25], s[10:11], s[22:23]
	s_add_nc_u64 s[26:27], s[22:23], 1
	s_sub_co_u32 s3, s14, s24
	s_cselect_b32 s7, -1, 0
	s_sub_co_i32 s9, s15, s25
	s_wait_alu 0xfffe
	s_cmp_lg_u32 s7, 0
	s_add_nc_u64 s[28:29], s[22:23], 2
	s_sub_co_ci_u32 s9, s9, s11
	s_sub_co_u32 s14, s3, s10
	s_cselect_b32 s21, -1, 0
	s_delay_alu instid0(SALU_CYCLE_1) | instskip(SKIP_1) | instid1(SALU_CYCLE_1)
	s_cmp_lg_u32 s21, 0
	s_sub_co_ci_u32 s9, s9, 0
	s_cmp_ge_u32 s9, s11
	s_cselect_b32 s21, -1, 0
	s_cmp_ge_u32 s14, s10
	s_cselect_b32 s14, -1, 0
	s_cmp_eq_u32 s9, s11
	s_cselect_b32 s9, s14, s21
	s_delay_alu instid0(SALU_CYCLE_1)
	s_cmp_lg_u32 s9, 0
	s_cselect_b32 s9, s28, s26
	s_cselect_b32 s14, s29, s27
	s_cmp_lg_u32 s7, 0
	s_sub_co_ci_u32 s7, s15, s25
	s_wait_alu 0xfffe
	s_cmp_ge_u32 s7, s11
	s_cselect_b32 s15, -1, 0
	s_cmp_ge_u32 s3, s10
	s_cselect_b32 s3, -1, 0
	s_cmp_eq_u32 s7, s11
	s_cselect_b32 s3, s3, s15
	s_delay_alu instid0(SALU_CYCLE_1) | instskip(SKIP_3) | instid1(SALU_CYCLE_1)
	s_cmp_lg_u32 s3, 0
	s_cselect_b32 s11, s14, s23
	s_cselect_b32 s10, s9, s22
	s_xor_b64 s[12:13], s[12:13], 0
	s_xor_b64 s[10:11], s[10:11], s[12:13]
	s_delay_alu instid0(SALU_CYCLE_1)
	s_sub_nc_u64 s[10:11], s[10:11], s[12:13]
	s_load_b96 s[12:14], s[0:1], 0x44
	s_and_not1_b32 vcc_lo, exec_lo, s8
	s_cbranch_vccnz .LBB27_6
.LBB27_5:
	v_cvt_f32_u32_e32 v1, s16
	s_sub_co_i32 s7, 0, s16
	s_delay_alu instid0(VALU_DEP_1) | instskip(NEXT) | instid1(TRANS32_DEP_1)
	v_rcp_iflag_f32_e32 v1, v1
	v_mul_f32_e32 v1, 0x4f7ffffe, v1
	s_delay_alu instid0(VALU_DEP_1) | instskip(NEXT) | instid1(VALU_DEP_1)
	v_cvt_u32_f32_e32 v1, v1
	v_readfirstlane_b32 s3, v1
	s_wait_alu 0xfffe
	s_mul_i32 s7, s7, s3
	s_wait_alu 0xfffe
	s_mul_hi_u32 s7, s3, s7
	s_wait_alu 0xfffe
	s_add_co_i32 s3, s3, s7
	s_delay_alu instid0(SALU_CYCLE_1) | instskip(NEXT) | instid1(SALU_CYCLE_1)
	s_mul_hi_u32 s3, s2, s3
	s_mul_i32 s7, s3, s16
	s_wait_alu 0xfffe
	s_sub_co_i32 s2, s2, s7
	s_add_co_i32 s7, s3, 1
	s_sub_co_i32 s8, s2, s16
	s_cmp_ge_u32 s2, s16
	s_wait_alu 0xfffe
	s_cselect_b32 s3, s7, s3
	s_cselect_b32 s2, s8, s2
	s_add_co_i32 s7, s3, 1
	s_cmp_ge_u32 s2, s16
	s_wait_alu 0xfffe
	s_cselect_b32 s10, s7, s3
.LBB27_6:
	s_mov_b32 s21, 0
	s_wait_kmcnt 0x0
	s_mov_b32 s22, s12
	s_mov_b32 s23, s21
	s_cmp_eq_u32 s20, s10
	s_mul_u64 s[2:3], s[20:21], s[22:23]
	s_cselect_b32 s7, -1, 0
	s_add_co_i32 s2, s3, s20
	s_mov_b32 s11, s21
	s_lshr_b32 s12, s2, s13
	s_mul_u64 s[2:3], s[10:11], s[22:23]
	s_mul_i32 s2, s12, s14
	s_delay_alu instid0(SALU_CYCLE_1) | instskip(SKIP_2) | instid1(SALU_CYCLE_1)
	s_cmp_eq_u32 s2, s20
	s_cselect_b32 s2, -1, 0
	s_add_co_i32 s3, s3, s10
	s_lshr_b32 s3, s3, s13
	s_delay_alu instid0(SALU_CYCLE_1)
	s_cmp_eq_u32 s12, s3
	s_mul_i32 s3, s3, s14
	s_cselect_b32 s8, -1, 0
	s_cmp_lg_u32 s3, s10
	s_cselect_b32 s3, -1, 0
	s_wait_alu 0xfffe
	s_or_b32 s2, s7, s2
	s_and_b32 s3, s8, s3
	s_delay_alu instid0(SALU_CYCLE_1) | instskip(NEXT) | instid1(SALU_CYCLE_1)
	s_or_b32 s2, s2, s3
	s_and_b32 vcc_lo, exec_lo, s2
	s_cbranch_vccnz .LBB27_24
; %bb.7:
	s_load_b256 s[24:31], s[0:1], 0x20
	s_mov_b32 s3, s21
	s_wait_kmcnt 0x0
	s_mov_b32 s2, s24
	s_delay_alu instid0(SALU_CYCLE_1) | instskip(NEXT) | instid1(SALU_CYCLE_1)
	s_mul_u64 s[2:3], s[20:21], s[2:3]
	s_add_co_i32 s2, s3, s20
	s_delay_alu instid0(SALU_CYCLE_1) | instskip(SKIP_2) | instid1(SALU_CYCLE_1)
	s_lshr_b32 s7, s2, s25
	s_load_b32 s2, s[0:1], 0x40
	s_mul_i32 s3, s7, s26
	s_sub_co_i32 s3, s20, s3
	s_delay_alu instid0(SALU_CYCLE_1) | instskip(NEXT) | instid1(SALU_CYCLE_1)
	s_mul_hi_u32 s8, s3, s27
	s_add_co_i32 s8, s3, s8
	s_delay_alu instid0(SALU_CYCLE_1) | instskip(NEXT) | instid1(SALU_CYCLE_1)
	s_lshr_b32 s8, s8, s28
	s_mul_i32 s9, s8, s29
	s_delay_alu instid0(SALU_CYCLE_1) | instskip(NEXT) | instid1(SALU_CYCLE_1)
	s_sub_co_i32 s9, s3, s9
	s_mul_hi_u32 s3, s9, s30
	s_delay_alu instid0(SALU_CYCLE_1) | instskip(NEXT) | instid1(SALU_CYCLE_1)
	s_add_co_i32 s3, s9, s3
	s_lshr_b32 s24, s3, s31
	s_mov_b32 s3, s21
	s_wait_kmcnt 0x0
	s_mul_i32 s2, s24, s2
	s_lshl_b32 s21, s24, 1
	s_sub_co_i32 s2, s9, s2
	s_delay_alu instid0(SALU_CYCLE_1) | instskip(SKIP_2) | instid1(SALU_CYCLE_1)
	s_mul_u64 s[10:11], s[2:3], s[22:23]
	s_lshr_b32 s3, ttmp7, 16
	s_add_co_i32 s2, s2, s11
	s_lshr_b32 s15, s2, s13
	s_and_b32 s2, ttmp7, 0xffff
	s_lshl_b32 s9, s15, 5
	s_delay_alu instid0(SALU_CYCLE_1) | instskip(NEXT) | instid1(SALU_CYCLE_1)
	s_add_co_i32 s9, s9, s2
	s_cmp_lt_i32 s9, s4
	s_cselect_b32 s9, -1, 0
	s_add_co_i32 s10, s21, s3
	s_delay_alu instid0(SALU_CYCLE_1) | instskip(SKIP_1) | instid1(SALU_CYCLE_1)
	s_cmp_lt_i32 s10, s6
	s_cselect_b32 s10, -1, 0
	s_and_b32 s9, s9, s10
	s_delay_alu instid0(SALU_CYCLE_1)
	s_and_not1_b32 vcc_lo, exec_lo, s9
	s_cbranch_vccnz .LBB27_24
; %bb.8:
	s_mul_i32 s4, s7, s4
	s_mul_i32 s6, s8, s6
	s_add_co_i32 s4, s4, s2
	s_load_b128 s[8:11], s[0:1], 0x0
	s_mul_i32 s4, s4, s5
	s_mul_i32 s1, s5, s15
	s_add_co_i32 s4, s4, s3
	s_lshl_b32 s1, s1, 12
	s_add_co_i32 s0, s4, s6
	s_lshl_b32 s15, s2, 1
	s_add_co_i32 s0, s0, s21
	s_add_co_i32 s15, s15, s3
	s_lshl_b32 s0, s0, 7
	v_cvt_f32_u32_e32 v4, s16
	s_add_co_i32 s1, s1, s0
	s_add_co_i32 s34, ttmp9, -1
	v_or_b32_e32 v1, s1, v0
	s_add_nc_u64 s[0:1], s[16:17], 0
	v_rcp_iflag_f32_e32 v4, v4
	s_wait_alu 0xfffe
	s_xor_b64 s[6:7], s[0:1], 0
	s_lshl_b32 s0, ttmp9, 6
	v_ashrrev_i32_e32 v2, 31, v1
	s_wait_alu 0xfffe
	s_cvt_f32_u32 s1, s6
	s_cvt_f32_u32 s2, s7
	s_add_co_i32 s0, s15, s0
	v_lshl_or_b32 v0, s15, 7, v0
	v_lshlrev_b64_e32 v[1:2], 2, v[1:2]
	s_wait_alu 0xfffe
	s_fmamk_f32 s2, s2, 0x4f800000, s1
	s_ashr_i32 s1, s0, 31
	s_sub_nc_u64 s[30:31], 0, s[6:7]
	s_wait_alu 0xfffe
	s_lshl_b64 s[0:1], s[0:1], 3
	v_s_rcp_f32 s2, s2
	s_wait_kmcnt 0x0
	v_add_co_u32 v1, vcc_lo, s8, v1
	s_delay_alu instid0(VALU_DEP_1)
	v_add_co_ci_u32_e64 v2, null, s9, v2, vcc_lo
	s_wait_alu 0xfffe
	s_add_nc_u64 s[0:1], s[10:11], s[0:1]
	s_mov_b32 s8, 0
	s_load_b64 s[26:27], s[0:1], 0x0
	global_load_b32 v3, v[1:2], off
	s_mul_f32 s2, s2, 0x5f7ffffc
	v_mul_f32_e32 v4, 0x4f7ffffe, v4
	s_lshl_b32 s0, s16, 8
	s_wait_alu 0xfffe
	s_mul_f32 s1, s2, 0x2f800000
	s_wait_alu 0xfffe
	s_delay_alu instid0(SALU_CYCLE_2)
	s_trunc_f32 s3, s1
	s_mov_b32 s1, s8
	s_wait_alu 0xfffe
	s_lshl_b64 s[0:1], s[0:1], 2
	s_fmamk_f32 s2, s3, 0xcf800000, s2
	s_cvt_u32_f32 s29, s3
	s_wait_alu 0xfffe
	s_add_nc_u64 s[24:25], s[10:11], s[0:1]
	s_cvt_u32_f32 s28, s2
	s_wait_kmcnt 0x0
	v_mov_b32_e32 v5, s27
	v_cvt_u32_f32_e32 v4, v4
.LBB27_9:                               ; =>This Inner Loop Header: Depth=1
	s_wait_alu 0xfffe
	s_ashr_i32 s35, s34, 31
	s_mov_b32 s2, -1
	s_wait_alu 0xfffe
	s_mul_u64 s[0:1], s[34:35], s[18:19]
                                        ; implicit-def: $sgpr38_sgpr39
	s_wait_alu 0xfffe
	s_mov_b32 s9, s1
	s_wait_alu 0xfffe
	s_cmp_lg_u64 s[8:9], 0
	s_cbranch_scc0 .LBB27_11
; %bb.10:                               ;   in Loop: Header=BB27_9 Depth=1
	s_mul_u64 s[2:3], s[30:31], s[28:29]
	s_mov_b32 s37, s8
	s_wait_alu 0xfffe
	s_mul_hi_u32 s5, s28, s3
	s_mul_i32 s4, s28, s3
	s_mul_hi_u32 s36, s28, s2
	s_mul_hi_u32 s9, s29, s2
	s_wait_alu 0xfffe
	s_add_nc_u64 s[4:5], s[36:37], s[4:5]
	s_mul_i32 s2, s29, s2
	s_mul_hi_u32 s17, s29, s3
	s_wait_alu 0xfffe
	s_add_co_u32 s2, s4, s2
	s_add_co_ci_u32 s2, s5, s9
	s_add_co_ci_u32 s5, s17, 0
	s_mul_i32 s4, s29, s3
	s_mov_b32 s3, s8
	s_mov_b32 s39, s8
	s_wait_alu 0xfffe
	s_add_nc_u64 s[2:3], s[2:3], s[4:5]
	s_wait_alu 0xfffe
	s_add_co_u32 s2, s28, s2
	s_cselect_b32 s4, -1, 0
	s_wait_alu 0xfffe
	s_cmp_lg_u32 s4, 0
	s_add_co_ci_u32 s3, s29, s3
	s_wait_alu 0xfffe
	s_mul_u64 s[4:5], s[30:31], s[2:3]
	s_wait_alu 0xfffe
	s_mul_hi_u32 s37, s2, s5
	s_mul_i32 s36, s2, s5
	s_mul_hi_u32 s38, s2, s4
	s_mul_hi_u32 s9, s3, s4
	s_mul_i32 s4, s3, s4
	s_wait_alu 0xfffe
	s_add_nc_u64 s[36:37], s[38:39], s[36:37]
	s_mul_hi_u32 s17, s3, s5
	s_wait_alu 0xfffe
	s_add_co_u32 s4, s36, s4
	s_add_co_ci_u32 s4, s37, s9
	s_add_co_ci_u32 s37, s17, 0
	s_mul_i32 s36, s3, s5
	s_mov_b32 s5, s8
	s_wait_alu 0xfffe
	s_add_nc_u64 s[4:5], s[4:5], s[36:37]
	s_mov_b32 s37, s8
	s_wait_alu 0xfffe
	s_add_co_u32 s9, s2, s4
	s_cselect_b32 s2, -1, 0
	s_wait_alu 0xfffe
	s_cmp_lg_u32 s2, 0
	s_add_co_ci_u32 s17, s3, s5
	s_ashr_i32 s2, s1, 31
	s_wait_alu 0xfffe
	s_mov_b32 s3, s2
	s_wait_alu 0xfffe
	s_add_nc_u64 s[4:5], s[0:1], s[2:3]
	s_wait_alu 0xfffe
	s_xor_b64 s[4:5], s[4:5], s[2:3]
	s_wait_alu 0xfffe
	s_mul_hi_u32 s39, s4, s17
	s_mul_i32 s38, s4, s17
	s_mul_hi_u32 s36, s4, s9
	s_mul_i32 s21, s5, s9
	s_wait_alu 0xfffe
	s_add_nc_u64 s[36:37], s[36:37], s[38:39]
	s_mul_hi_u32 s9, s5, s9
	s_mul_hi_u32 s1, s5, s17
	s_wait_alu 0xfffe
	s_add_co_u32 s21, s36, s21
	s_add_co_ci_u32 s36, s37, s9
	s_add_co_ci_u32 s39, s1, 0
	s_mul_i32 s38, s5, s17
	s_mov_b32 s37, s8
	s_wait_alu 0xfffe
	s_add_nc_u64 s[36:37], s[36:37], s[38:39]
	s_wait_alu 0xfffe
	s_mul_u64 s[38:39], s[6:7], s[36:37]
	s_add_nc_u64 s[40:41], s[36:37], 1
	s_sub_co_u32 s1, s4, s38
	s_cselect_b32 s4, -1, 0
	s_sub_co_i32 s9, s5, s39
	s_wait_alu 0xfffe
	s_cmp_lg_u32 s4, 0
	s_add_nc_u64 s[42:43], s[36:37], 2
	s_sub_co_ci_u32 s9, s9, s7
	s_sub_co_u32 s17, s1, s6
	s_cselect_b32 s21, -1, 0
	s_delay_alu instid0(SALU_CYCLE_1)
	s_cmp_lg_u32 s21, 0
	s_wait_alu 0xfffe
	s_sub_co_ci_u32 s9, s9, 0
	s_wait_alu 0xfffe
	s_cmp_ge_u32 s9, s7
	s_cselect_b32 s21, -1, 0
	s_cmp_ge_u32 s17, s6
	s_cselect_b32 s17, -1, 0
	s_cmp_eq_u32 s9, s7
	s_wait_alu 0xfffe
	s_cselect_b32 s9, s17, s21
	s_wait_alu 0xfffe
	s_cmp_lg_u32 s9, 0
	s_cselect_b32 s9, s42, s40
	s_cselect_b32 s17, s43, s41
	s_cmp_lg_u32 s4, 0
	s_sub_co_ci_u32 s4, s5, s39
	s_wait_alu 0xfffe
	s_cmp_ge_u32 s4, s7
	s_cselect_b32 s5, -1, 0
	s_cmp_ge_u32 s1, s6
	s_cselect_b32 s1, -1, 0
	s_cmp_eq_u32 s4, s7
	s_wait_alu 0xfffe
	s_cselect_b32 s1, s1, s5
	s_wait_alu 0xfffe
	s_cmp_lg_u32 s1, 0
	s_cselect_b32 s5, s17, s37
	s_cselect_b32 s4, s9, s36
	s_xor_b64 s[2:3], s[2:3], 0
	s_wait_alu 0xfffe
	s_xor_b64 s[4:5], s[4:5], s[2:3]
	s_wait_alu 0xfffe
	s_sub_nc_u64 s[38:39], s[4:5], s[2:3]
	s_mov_b32 s2, 0
.LBB27_11:                              ;   in Loop: Header=BB27_9 Depth=1
	s_wait_alu 0xfffe
	s_and_not1_b32 vcc_lo, exec_lo, s2
	s_wait_alu 0xfffe
	s_cbranch_vccnz .LBB27_13
; %bb.12:                               ;   in Loop: Header=BB27_9 Depth=1
	v_readfirstlane_b32 s1, v4
	s_sub_co_i32 s2, 0, s16
	s_wait_alu 0xfffe
	s_mul_i32 s2, s2, s1
	s_wait_alu 0xfffe
	s_mul_hi_u32 s2, s1, s2
	s_wait_alu 0xfffe
	s_add_co_i32 s1, s1, s2
	s_wait_alu 0xfffe
	s_mul_hi_u32 s1, s0, s1
	s_wait_alu 0xfffe
	s_mul_i32 s2, s1, s16
	s_wait_alu 0xfffe
	s_sub_co_i32 s0, s0, s2
	s_add_co_i32 s2, s1, 1
	s_wait_alu 0xfffe
	s_sub_co_i32 s3, s0, s16
	s_cmp_ge_u32 s0, s16
	s_cselect_b32 s1, s2, s1
	s_wait_alu 0xfffe
	s_cselect_b32 s0, s3, s0
	s_add_co_i32 s2, s1, 1
	s_wait_alu 0xfffe
	s_cmp_ge_u32 s0, s16
	s_cselect_b32 s38, s2, s1
.LBB27_13:                              ;   in Loop: Header=BB27_9 Depth=1
	v_readfirstlane_b32 s9, v0
	s_cmp_lg_u32 s20, s38
	s_mov_b32 s0, -1
                                        ; implicit-def: $sgpr21
                                        ; implicit-def: $vgpr6
                                        ; implicit-def: $vgpr7
                                        ; implicit-def: $sgpr17
                                        ; implicit-def: $sgpr27
	s_cbranch_scc1 .LBB27_16
; %bb.14:                               ;   in Loop: Header=BB27_9 Depth=1
	s_wait_alu 0xfffe
	s_and_not1_b32 vcc_lo, exec_lo, s0
	s_wait_alu 0xfffe
	s_cbranch_vccz .LBB27_19
.LBB27_15:                              ;   in Loop: Header=BB27_9 Depth=1
	s_and_not1_b32 vcc_lo, exec_lo, s21
	s_wait_alu 0xfffe
	s_cbranch_vccnz .LBB27_20
	s_branch .LBB27_23
.LBB27_16:                              ;   in Loop: Header=BB27_9 Depth=1
	s_add_co_i32 s0, s34, s16
	s_mov_b32 s1, s8
	s_wait_alu 0xfffe
	s_lshl_b32 s0, s0, 6
	v_max_num_f32_e64 v6, s26, s26
	s_wait_alu 0xfffe
	s_add_co_i32 s0, s0, s15
	s_mov_b32 s39, s8
	s_wait_alu 0xfffe
	s_lshl_b64 s[0:1], s[0:1], 3
	s_mul_u64 s[40:41], s[38:39], s[22:23]
	s_wait_alu 0xfffe
	s_add_nc_u64 s[0:1], s[10:11], s[0:1]
	s_mov_b32 s27, s20
	s_load_b64 s[36:37], s[0:1], 0x0
	v_readfirstlane_b32 s0, v6
	s_wait_kmcnt 0x0
	v_max_num_f32_e64 v7, s36, s36
	s_delay_alu instid0(VALU_DEP_1) | instskip(SKIP_2) | instid1(SALU_CYCLE_2)
	v_readfirstlane_b32 s1, v7
	s_max_num_f32 s9, s0, s1
	s_wait_alu 0xfffe
	s_sub_f32 s33, s26, s9
	s_sub_f32 s35, s36, s9
	s_wait_alu 0xfffe
	s_delay_alu instid0(SALU_CYCLE_1)
	s_cmp_nlt_f32 s33, 0xc2ce8ed0
	s_cselect_b32 s0, -1, 0
	s_cmp_ngt_f32 s33, 0x42b17218
	s_cselect_b32 s1, -1, 0
	s_cmp_ge_f32 s33, 0xc1a00000
	s_cselect_b32 s2, -1, 0
	s_cmp_nlt_f32 s35, 0xc2ce8ed0
	s_cselect_b32 s3, -1, 0
	s_cmp_ngt_f32 s35, 0x42b17218
	s_cselect_b32 s4, -1, 0
	s_cmp_ge_f32 s35, 0xc1a00000
	s_cselect_b32 s5, -1, 0
	s_add_co_i32 s17, s41, s38
	s_wait_alu 0xfffe
	s_lshr_b32 s17, s17, s13
	s_wait_alu 0xfffe
	s_mul_i32 s21, s17, s14
	s_delay_alu instid0(SALU_CYCLE_1)
	s_cmp_eq_u32 s21, s38
	s_cselect_b32 s21, -1, 0
	s_cmp_lt_u32 s17, s12
	s_cselect_b32 s17, -1, 0
	s_wait_alu 0xfffe
	s_or_b32 s17, s17, s21
	s_mov_b32 s21, -1
	s_wait_alu 0xfffe
	s_and_b32 vcc_lo, exec_lo, s17
	s_mov_b32 s17, s34
	s_wait_alu 0xfffe
	s_cbranch_vccnz .LBB27_18
; %bb.17:                               ;   in Loop: Header=BB27_9 Depth=1
	s_add_co_i32 s17, s34, -1
	s_mov_b32 s21, 0
	s_mov_b32 s27, s38
.LBB27_18:                              ;   in Loop: Header=BB27_9 Depth=1
	v_lshl_add_u32 v6, s34, 13, v0
	s_mul_f32 s36, s35, 0x3fb8aa3b
	s_mul_f32 s38, s33, 0x3fb8aa3b
	s_wait_alu 0xfffe
	s_delay_alu instid0(SALU_CYCLE_1)
	s_xor_b32 s39, s36, 0x80000000
	v_ashrrev_i32_e32 v7, 31, v6
	s_rndne_f32 s40, s36
	s_fmamk_f32 s39, s35, 0x3fb8aa3b, s39
	s_xor_b32 s41, s38, 0x80000000
	s_rndne_f32 s42, s38
	v_lshlrev_b64_e32 v[6:7], 2, v[6:7]
	s_sub_f32 s36, s36, s40
	s_fmamk_f32 s35, s35, 0x32a5705f, s39
	s_fmamk_f32 s39, s33, 0x3fb8aa3b, s41
	s_sub_f32 s38, s38, s42
	s_delay_alu instid0(VALU_DEP_1)
	v_add_co_u32 v6, vcc_lo, s24, v6
	s_wait_alu 0xfffd
	v_add_co_ci_u32_e64 v7, null, s25, v7, vcc_lo
	s_wait_alu 0xfffe
	s_add_f32 s35, s36, s35
	s_fmamk_f32 s33, s33, 0x32a5705f, s39
	s_cvt_i32_f32 s36, s40
	global_load_b32 v6, v[6:7], off
	s_wait_alu 0xfffe
	v_s_exp_f32 s35, s35
	s_add_f32 s33, s38, s33
	s_wait_alu 0xfffe
	s_delay_alu instid0(SALU_CYCLE_2) | instskip(NEXT) | instid1(TRANS32_DEP_2)
	v_s_exp_f32 s33, s33
	v_ldexp_f32 v7, s35, s36
	s_cvt_i32_f32 s35, s42
	s_wait_alu 0xf1fe
	s_delay_alu instid0(TRANS32_DEP_1) | instid1(SALU_CYCLE_2)
	v_ldexp_f32 v8, s33, s35
	s_delay_alu instid0(VALU_DEP_2) | instskip(NEXT) | instid1(VALU_DEP_2)
	v_cndmask_b32_e64 v7, 0, v7, s3
	v_cndmask_b32_e64 v8, 0, v8, s0
	s_delay_alu instid0(VALU_DEP_2) | instskip(NEXT) | instid1(VALU_DEP_2)
	v_cndmask_b32_e64 v7, 0x7f800000, v7, s4
	v_cndmask_b32_e64 v8, 0x7f800000, v8, s1
	;; [unrolled: 3-line block ×3, first 2 shown]
	s_wait_loadcnt 0x0
	s_delay_alu instid0(VALU_DEP_2) | instskip(SKIP_1) | instid1(VALU_DEP_1)
	v_mul_f32_e32 v6, v6, v7
	v_mul_f32_e32 v7, s37, v7
	v_fmac_f32_e32 v7, v5, v8
	s_delay_alu instid0(VALU_DEP_3)
	v_fmac_f32_e32 v6, v3, v8
	s_cbranch_execnz .LBB27_15
.LBB27_19:                              ;   in Loop: Header=BB27_9 Depth=1
	s_wait_loadcnt 0x0
	v_dual_mov_b32 v7, v5 :: v_dual_mov_b32 v6, v3
	s_add_co_i32 s17, s34, -1
	s_mov_b32 s27, s20
	s_mov_b32 s9, s26
	s_cbranch_execz .LBB27_23
.LBB27_20:                              ;   in Loop: Header=BB27_9 Depth=1
	v_mov_b32_e32 v5, v7
	s_wait_loadcnt 0x0
	v_mov_b32_e32 v3, v6
	s_wait_alu 0xfffe
	s_mov_b32 s20, s27
	s_mov_b32 s34, s17
	;; [unrolled: 1-line block ×3, first 2 shown]
	s_branch .LBB27_9
.LBB27_21:
                                        ; implicit-def: $sgpr20_sgpr21
	s_branch .LBB27_2
.LBB27_22:
                                        ; implicit-def: $sgpr10_sgpr11
	s_load_b96 s[12:14], s[0:1], 0x44
	s_branch .LBB27_5
.LBB27_23:
	v_div_scale_f32 v0, null, v7, v7, v6
	s_wait_loadcnt 0x0
	s_delay_alu instid0(VALU_DEP_1) | instskip(NEXT) | instid1(TRANS32_DEP_1)
	v_rcp_f32_e32 v3, v0
	v_fma_f32 v4, -v0, v3, 1.0
	s_delay_alu instid0(VALU_DEP_1) | instskip(SKIP_1) | instid1(VALU_DEP_1)
	v_fmac_f32_e32 v3, v4, v3
	v_div_scale_f32 v4, vcc_lo, v6, v7, v6
	v_mul_f32_e32 v5, v4, v3
	s_delay_alu instid0(VALU_DEP_1) | instskip(NEXT) | instid1(VALU_DEP_1)
	v_fma_f32 v8, -v0, v5, v4
	v_fmac_f32_e32 v5, v8, v3
	s_delay_alu instid0(VALU_DEP_1) | instskip(SKIP_1) | instid1(VALU_DEP_1)
	v_fma_f32 v0, -v0, v5, v4
	s_wait_alu 0xfffd
	v_div_fmas_f32 v0, v0, v3, v5
	s_delay_alu instid0(VALU_DEP_1)
	v_div_fixup_f32 v0, v0, v7, v6
	global_store_b32 v[1:2], v0, off
.LBB27_24:
	s_endpgm
	.section	.rodata,"a",@progbits
	.p2align	6, 0x0
	.amdhsa_kernel _ZL33flash_attn_stream_k_fixup_generalILi128ELi32ELi2EEvPfPK15HIP_vector_typeIfLj2EEiiiiS1_IjLj3EES5_S5_S5_
		.amdhsa_group_segment_fixed_size 0
		.amdhsa_private_segment_fixed_size 0
		.amdhsa_kernarg_size 336
		.amdhsa_user_sgpr_count 2
		.amdhsa_user_sgpr_dispatch_ptr 0
		.amdhsa_user_sgpr_queue_ptr 0
		.amdhsa_user_sgpr_kernarg_segment_ptr 1
		.amdhsa_user_sgpr_dispatch_id 0
		.amdhsa_user_sgpr_private_segment_size 0
		.amdhsa_wavefront_size32 1
		.amdhsa_uses_dynamic_stack 0
		.amdhsa_enable_private_segment 0
		.amdhsa_system_sgpr_workgroup_id_x 1
		.amdhsa_system_sgpr_workgroup_id_y 1
		.amdhsa_system_sgpr_workgroup_id_z 1
		.amdhsa_system_sgpr_workgroup_info 0
		.amdhsa_system_vgpr_workitem_id 0
		.amdhsa_next_free_vgpr 9
		.amdhsa_next_free_sgpr 44
		.amdhsa_reserve_vcc 1
		.amdhsa_float_round_mode_32 0
		.amdhsa_float_round_mode_16_64 0
		.amdhsa_float_denorm_mode_32 3
		.amdhsa_float_denorm_mode_16_64 3
		.amdhsa_fp16_overflow 0
		.amdhsa_workgroup_processor_mode 1
		.amdhsa_memory_ordered 1
		.amdhsa_forward_progress 1
		.amdhsa_inst_pref_size 28
		.amdhsa_round_robin_scheduling 0
		.amdhsa_exception_fp_ieee_invalid_op 0
		.amdhsa_exception_fp_denorm_src 0
		.amdhsa_exception_fp_ieee_div_zero 0
		.amdhsa_exception_fp_ieee_overflow 0
		.amdhsa_exception_fp_ieee_underflow 0
		.amdhsa_exception_fp_ieee_inexact 0
		.amdhsa_exception_int_div_zero 0
	.end_amdhsa_kernel
	.section	.text._ZL33flash_attn_stream_k_fixup_generalILi128ELi32ELi2EEvPfPK15HIP_vector_typeIfLj2EEiiiiS1_IjLj3EES5_S5_S5_,"axG",@progbits,_ZL33flash_attn_stream_k_fixup_generalILi128ELi32ELi2EEvPfPK15HIP_vector_typeIfLj2EEiiiiS1_IjLj3EES5_S5_S5_,comdat
.Lfunc_end27:
	.size	_ZL33flash_attn_stream_k_fixup_generalILi128ELi32ELi2EEvPfPK15HIP_vector_typeIfLj2EEiiiiS1_IjLj3EES5_S5_S5_, .Lfunc_end27-_ZL33flash_attn_stream_k_fixup_generalILi128ELi32ELi2EEvPfPK15HIP_vector_typeIfLj2EEiiiiS1_IjLj3EES5_S5_S5_
                                        ; -- End function
	.set _ZL33flash_attn_stream_k_fixup_generalILi128ELi32ELi2EEvPfPK15HIP_vector_typeIfLj2EEiiiiS1_IjLj3EES5_S5_S5_.num_vgpr, 9
	.set _ZL33flash_attn_stream_k_fixup_generalILi128ELi32ELi2EEvPfPK15HIP_vector_typeIfLj2EEiiiiS1_IjLj3EES5_S5_S5_.num_agpr, 0
	.set _ZL33flash_attn_stream_k_fixup_generalILi128ELi32ELi2EEvPfPK15HIP_vector_typeIfLj2EEiiiiS1_IjLj3EES5_S5_S5_.numbered_sgpr, 44
	.set _ZL33flash_attn_stream_k_fixup_generalILi128ELi32ELi2EEvPfPK15HIP_vector_typeIfLj2EEiiiiS1_IjLj3EES5_S5_S5_.num_named_barrier, 0
	.set _ZL33flash_attn_stream_k_fixup_generalILi128ELi32ELi2EEvPfPK15HIP_vector_typeIfLj2EEiiiiS1_IjLj3EES5_S5_S5_.private_seg_size, 0
	.set _ZL33flash_attn_stream_k_fixup_generalILi128ELi32ELi2EEvPfPK15HIP_vector_typeIfLj2EEiiiiS1_IjLj3EES5_S5_S5_.uses_vcc, 1
	.set _ZL33flash_attn_stream_k_fixup_generalILi128ELi32ELi2EEvPfPK15HIP_vector_typeIfLj2EEiiiiS1_IjLj3EES5_S5_S5_.uses_flat_scratch, 0
	.set _ZL33flash_attn_stream_k_fixup_generalILi128ELi32ELi2EEvPfPK15HIP_vector_typeIfLj2EEiiiiS1_IjLj3EES5_S5_S5_.has_dyn_sized_stack, 0
	.set _ZL33flash_attn_stream_k_fixup_generalILi128ELi32ELi2EEvPfPK15HIP_vector_typeIfLj2EEiiiiS1_IjLj3EES5_S5_S5_.has_recursion, 0
	.set _ZL33flash_attn_stream_k_fixup_generalILi128ELi32ELi2EEvPfPK15HIP_vector_typeIfLj2EEiiiiS1_IjLj3EES5_S5_S5_.has_indirect_call, 0
	.section	.AMDGPU.csdata,"",@progbits
; Kernel info:
; codeLenInByte = 3548
; TotalNumSgprs: 46
; NumVgprs: 9
; ScratchSize: 0
; MemoryBound: 0
; FloatMode: 240
; IeeeMode: 1
; LDSByteSize: 0 bytes/workgroup (compile time only)
; SGPRBlocks: 0
; VGPRBlocks: 1
; NumSGPRsForWavesPerEU: 46
; NumVGPRsForWavesPerEU: 9
; Occupancy: 16
; WaveLimiterHint : 0
; COMPUTE_PGM_RSRC2:SCRATCH_EN: 0
; COMPUTE_PGM_RSRC2:USER_SGPR: 2
; COMPUTE_PGM_RSRC2:TRAP_HANDLER: 0
; COMPUTE_PGM_RSRC2:TGID_X_EN: 1
; COMPUTE_PGM_RSRC2:TGID_Y_EN: 1
; COMPUTE_PGM_RSRC2:TGID_Z_EN: 1
; COMPUTE_PGM_RSRC2:TIDIG_COMP_CNT: 0
	.section	.text._ZL26flash_attn_combine_resultsILi128EEvPKfPK15HIP_vector_typeIfLj2EEPfi,"axG",@progbits,_ZL26flash_attn_combine_resultsILi128EEvPKfPK15HIP_vector_typeIfLj2EEPfi,comdat
	.globl	_ZL26flash_attn_combine_resultsILi128EEvPKfPK15HIP_vector_typeIfLj2EEPfi ; -- Begin function _ZL26flash_attn_combine_resultsILi128EEvPKfPK15HIP_vector_typeIfLj2EEPfi
	.p2align	8
	.type	_ZL26flash_attn_combine_resultsILi128EEvPKfPK15HIP_vector_typeIfLj2EEPfi,@function
_ZL26flash_attn_combine_resultsILi128EEvPKfPK15HIP_vector_typeIfLj2EEPfi: ; @_ZL26flash_attn_combine_resultsILi128EEvPKfPK15HIP_vector_typeIfLj2EEPfi
; %bb.0:
	s_clause 0x2
	s_load_b64 s[2:3], s[0:1], 0x20
	s_load_b96 s[8:10], s[0:1], 0x10
	s_load_b128 s[4:7], s[0:1], 0x0
	s_lshr_b32 s0, ttmp7, 16
	v_lshlrev_b32_e32 v5, 2, v0
	s_mov_b32 s12, exec_lo
	s_wait_kmcnt 0x0
	s_mul_i32 s0, s2, s0
	s_and_b32 s2, ttmp7, 0xffff
	s_add_co_i32 s0, s0, ttmp9
	s_lshl_b32 s1, s10, 1
	s_mul_i32 s11, s0, s3
	s_delay_alu instid0(SALU_CYCLE_1) | instskip(NEXT) | instid1(SALU_CYCLE_1)
	s_add_co_i32 s11, s11, s2
	s_mul_i32 s2, s11, s10
	v_cmpx_gt_i32_e64 s1, v0
	s_cbranch_execz .LBB28_3
; %bb.1:
	s_ashr_i32 s3, s2, 31
	v_dual_mov_b32 v4, v0 :: v_dual_add_nc_u32 v3, 0, v5
	s_lshl_b64 s[14:15], s[2:3], 3
	s_mov_b32 s3, 0
	s_add_nc_u64 s[6:7], s[6:7], s[14:15]
	s_delay_alu instid0(SALU_CYCLE_1)
	v_add_co_u32 v1, s0, s6, v5
	s_wait_alu 0xf1ff
	v_add_co_ci_u32_e64 v2, null, s7, 0, s0
.LBB28_2:                               ; =>This Inner Loop Header: Depth=1
	global_load_b32 v6, v[1:2], off
	v_add_nc_u32_e32 v4, 0x80, v4
	v_add_co_u32 v1, vcc_lo, 0x200, v1
	s_wait_alu 0xfffd
	v_add_co_ci_u32_e64 v2, null, 0, v2, vcc_lo
	s_delay_alu instid0(VALU_DEP_3)
	v_cmp_le_i32_e64 s0, s1, v4
	s_or_b32 s3, s0, s3
	s_wait_loadcnt 0x0
	ds_store_b32 v3, v6
	v_add_nc_u32_e32 v3, 0x200, v3
	s_and_not1_b32 exec_lo, exec_lo, s3
	s_cbranch_execnz .LBB28_2
.LBB28_3:
	s_or_b32 exec_lo, exec_lo, s12
	v_mov_b32_e32 v1, 0
	s_wait_dscnt 0x0
	s_barrier_signal -1
	s_barrier_wait -1
	global_inv scope:SCOPE_SE
	ds_load_b32 v6, v1
	s_cmp_lt_i32 s10, 2
	s_cbranch_scc1 .LBB28_11
; %bb.4:
	s_add_co_i32 s1, s10, -2
	s_add_co_i32 s0, s10, -1
	s_wait_alu 0xfffe
	s_cmp_lt_u32 s1, 7
	s_cbranch_scc1 .LBB28_8
; %bb.5:
	s_mov_b32 s3, 0
	s_add_co_i32 s1, 0, 8
	s_and_b32 s6, s0, -8
.LBB28_6:                               ; =>This Inner Loop Header: Depth=1
	s_wait_alu 0xfffe
	v_mov_b32_e32 v9, s1
	s_mov_b32 s7, s3
	s_add_co_i32 s3, s3, 8
	s_add_co_i32 s1, s1, 64
	s_cmp_eq_u32 s6, s3
	ds_load_2addr_b32 v[1:2], v9 offset1:2
	ds_load_2addr_b32 v[3:4], v9 offset0:4 offset1:6
	ds_load_2addr_b32 v[7:8], v9 offset0:8 offset1:10
	ds_load_2addr_b32 v[9:10], v9 offset0:12 offset1:14
	s_wait_dscnt 0x3
	v_max3_num_f32 v1, v6, v1, v2
	s_wait_dscnt 0x2
	s_delay_alu instid0(VALU_DEP_1) | instskip(SKIP_1) | instid1(VALU_DEP_1)
	v_max3_num_f32 v1, v1, v3, v4
	s_wait_dscnt 0x1
	v_max3_num_f32 v1, v1, v7, v8
	s_wait_dscnt 0x0
	s_delay_alu instid0(VALU_DEP_1)
	v_max3_num_f32 v6, v1, v9, v10
	s_cbranch_scc0 .LBB28_6
; %bb.7:
	s_wait_alu 0xfffe
	s_add_co_i32 s1, s7, 9
	s_and_b32 s0, s0, 7
	s_wait_alu 0xfffe
	s_cmp_eq_u32 s0, 0
	s_cbranch_scc0 .LBB28_9
	s_branch .LBB28_11
.LBB28_8:
	s_mov_b32 s1, 1
	s_and_b32 s0, s0, 7
	s_wait_alu 0xfffe
	s_cmp_eq_u32 s0, 0
	s_cbranch_scc1 .LBB28_11
.LBB28_9:
	s_lshl_b32 s1, s1, 3
	s_wait_alu 0xfffe
	s_add_co_i32 s1, s1, 0
.LBB28_10:                              ; =>This Inner Loop Header: Depth=1
	s_wait_dscnt 0x0
	s_wait_alu 0xfffe
	s_delay_alu instid0(VALU_DEP_1)
	v_dual_mov_b32 v1, s1 :: v_dual_max_num_f32 v2, v6, v6
	s_add_co_i32 s0, s0, -1
	s_add_co_i32 s1, s1, 8
	s_wait_alu 0xfffe
	s_cmp_lg_u32 s0, 0
	ds_load_b32 v1, v1
	s_wait_dscnt 0x0
	v_max_num_f32_e32 v1, v1, v1
	s_delay_alu instid0(VALU_DEP_1)
	v_max_num_f32_e32 v6, v2, v1
	s_cbranch_scc1 .LBB28_10
.LBB28_11:
	s_cmp_lt_i32 s10, 1
	s_cbranch_scc1 .LBB28_16
; %bb.12:
	s_lshl_b32 s0, s2, 7
	s_wait_alu 0xfffe
	s_ashr_i32 s1, s0, 31
	s_wait_alu 0xfffe
	s_lshl_b64 s[0:1], s[0:1], 2
	s_cmp_lt_u32 s10, 8
	s_wait_alu 0xfffe
	s_add_nc_u64 s[6:7], s[4:5], s[0:1]
	s_cbranch_scc1 .LBB28_17
; %bb.13:
	v_or_b32_e32 v1, 0x380, v0
	v_dual_mov_b32 v4, 0 :: v_dual_mov_b32 v7, 0
	v_mov_b32_e32 v8, 0
	s_and_b32 s12, s10, 0x7ffffff8
	s_mov_b32 s13, 0
	s_mov_b32 s14, 0
.LBB28_14:                              ; =>This Inner Loop Header: Depth=1
	v_dual_mov_b32 v2, v4 :: v_dual_add_nc_u32 v3, 0xfffffc80, v1
	v_mov_b32_e32 v21, s14
	s_add_co_i32 s13, s13, 8
	s_add_co_i32 s14, s14, 64
	s_delay_alu instid0(VALU_DEP_2) | instskip(SKIP_3) | instid1(VALU_DEP_2)
	v_lshlrev_b64_e32 v[9:10], 2, v[3:4]
	v_add_nc_u32_e32 v3, 0xfffffd00, v1
	v_lshlrev_b64_e32 v[11:12], 2, v[1:2]
	s_cmp_eq_u32 s12, s13
	v_lshlrev_b64_e32 v[13:14], 2, v[3:4]
	s_wait_alu 0xfffe
	v_add_co_u32 v9, vcc_lo, s6, v9
	s_wait_alu 0xfffd
	v_add_co_ci_u32_e64 v10, null, s7, v10, vcc_lo
	v_add_nc_u32_e32 v3, 0xfffffd80, v1
	v_add_co_u32 v13, vcc_lo, s6, v13
	global_load_b32 v25, v[9:10], off
	s_wait_alu 0xfffd
	v_add_co_ci_u32_e64 v14, null, s7, v14, vcc_lo
	v_lshlrev_b64_e32 v[15:16], 2, v[3:4]
	v_add_nc_u32_e32 v3, 0xfffffe00, v1
	global_load_b32 v26, v[13:14], off
	v_add_co_u32 v13, vcc_lo, s6, v15
	s_wait_alu 0xfffd
	v_add_co_ci_u32_e64 v14, null, s7, v16, vcc_lo
	v_lshlrev_b64_e32 v[9:10], 2, v[3:4]
	v_add_nc_u32_e32 v3, 0xfffffe80, v1
	global_load_b32 v27, v[13:14], off
	v_add_co_u32 v9, vcc_lo, s6, v9
	v_lshlrev_b64_e32 v[15:16], 2, v[3:4]
	v_add_nc_u32_e32 v3, 0xffffff00, v1
	s_wait_alu 0xfffd
	v_add_co_ci_u32_e64 v10, null, s7, v10, vcc_lo
	global_load_b32 v28, v[9:10], off
	v_lshlrev_b64_e32 v[13:14], 2, v[3:4]
	v_add_nc_u32_e32 v3, 0xffffff80, v1
	v_add_co_u32 v9, vcc_lo, s6, v15
	s_wait_alu 0xfffd
	v_add_co_ci_u32_e64 v10, null, s7, v16, vcc_lo
	s_delay_alu instid0(VALU_DEP_4)
	v_add_co_u32 v13, vcc_lo, s6, v13
	v_lshlrev_b64_e32 v[2:3], 2, v[3:4]
	s_wait_alu 0xfffd
	v_add_co_ci_u32_e64 v14, null, s7, v14, vcc_lo
	s_clause 0x1
	global_load_b32 v29, v[9:10], off
	global_load_b32 v30, v[13:14], off
	v_add_co_u32 v2, vcc_lo, s6, v2
	s_wait_alu 0xfffd
	v_add_co_ci_u32_e64 v3, null, s7, v3, vcc_lo
	v_add_co_u32 v9, vcc_lo, s6, v11
	s_wait_alu 0xfffd
	v_add_co_ci_u32_e64 v10, null, s7, v12, vcc_lo
	s_clause 0x1
	global_load_b32 v2, v[2:3], off
	global_load_b32 v3, v[9:10], off
	ds_load_2addr_b64 v[9:12], v21 offset1:1
	ds_load_2addr_b64 v[13:16], v21 offset0:2 offset1:3
	ds_load_2addr_b64 v[17:20], v21 offset0:4 offset1:5
	;; [unrolled: 1-line block ×3, first 2 shown]
	v_add_nc_u32_e32 v1, 0x400, v1
	s_wait_dscnt 0x1
	v_sub_f32_e32 v19, v19, v6
	v_sub_f32_e32 v11, v11, v6
	s_wait_dscnt 0x0
	v_sub_f32_e32 v23, v23, v6
	s_delay_alu instid0(VALU_DEP_3) | instskip(NEXT) | instid1(VALU_DEP_3)
	v_dual_sub_f32 v13, v13, v6 :: v_dual_mul_f32 v36, 0x3fb8aa3b, v19
	v_mul_f32_e32 v32, 0x3fb8aa3b, v11
	s_delay_alu instid0(VALU_DEP_2) | instskip(SKIP_1) | instid1(VALU_DEP_4)
	v_dual_mul_f32 v38, 0x3fb8aa3b, v23 :: v_dual_mul_f32 v33, 0x3fb8aa3b, v13
	v_cmp_ngt_f32_e32 vcc_lo, 0xc2ce8ed0, v13
	v_xor_b32_e32 v49, 0x80000000, v36
	s_delay_alu instid0(VALU_DEP_4) | instskip(SKIP_4) | instid1(VALU_DEP_4)
	v_xor_b32_e32 v41, 0x80000000, v32
	v_rndne_f32_e32 v42, v32
	v_xor_b32_e32 v43, 0x80000000, v33
	v_rndne_f32_e32 v44, v33
	v_rndne_f32_e32 v50, v36
	v_dual_fmac_f32 v41, 0x3fb8aa3b, v11 :: v_dual_sub_f32 v32, v32, v42
	s_delay_alu instid0(VALU_DEP_4) | instskip(NEXT) | instid1(VALU_DEP_4)
	v_fmac_f32_e32 v43, 0x3fb8aa3b, v13
	v_sub_f32_e32 v33, v33, v44
	v_cvt_i32_f32_e32 v42, v42
	s_delay_alu instid0(VALU_DEP_4) | instskip(SKIP_3) | instid1(VALU_DEP_4)
	v_fmac_f32_e32 v41, 0x32a5705f, v11
	v_sub_f32_e32 v15, v15, v6
	v_fmac_f32_e32 v43, 0x32a5705f, v13
	v_cvt_i32_f32_e32 v44, v44
	v_dual_fmac_f32 v49, 0x3fb8aa3b, v19 :: v_dual_add_f32 v32, v32, v41
	s_delay_alu instid0(VALU_DEP_4) | instskip(NEXT) | instid1(VALU_DEP_4)
	v_dual_sub_f32 v9, v9, v6 :: v_dual_mul_f32 v34, 0x3fb8aa3b, v15
	v_add_f32_e32 v33, v33, v43
	v_cmp_ngt_f32_e64 s0, 0xc2ce8ed0, v15
	s_delay_alu instid0(VALU_DEP_4) | instskip(NEXT) | instid1(VALU_DEP_3)
	v_exp_f32_e32 v32, v32
	v_mul_f32_e32 v31, 0x3fb8aa3b, v9
	v_xor_b32_e32 v45, 0x80000000, v34
	v_rndne_f32_e32 v46, v34
	v_exp_f32_e32 v33, v33
	v_cmp_ngt_f32_e64 s5, 0xc2ce8ed0, v9
	v_xor_b32_e32 v39, 0x80000000, v31
	v_rndne_f32_e32 v40, v31
	v_dual_fmac_f32 v45, 0x3fb8aa3b, v15 :: v_dual_sub_f32 v34, v34, v46
	s_delay_alu instid0(TRANS32_DEP_2) | instskip(NEXT) | instid1(VALU_DEP_4)
	v_ldexp_f32 v32, v32, v42
	v_fmac_f32_e32 v39, 0x3fb8aa3b, v9
	s_delay_alu instid0(VALU_DEP_4)
	v_sub_f32_e32 v31, v31, v40
	v_cvt_i32_f32_e32 v40, v40
	v_fmac_f32_e32 v45, 0x32a5705f, v15
	v_sub_f32_e32 v17, v17, v6
	v_fmac_f32_e32 v39, 0x32a5705f, v9
	v_ldexp_f32 v33, v33, v44
	v_cvt_i32_f32_e32 v46, v46
	v_add_f32_e32 v34, v34, v45
	s_delay_alu instid0(VALU_DEP_4) | instskip(SKIP_2) | instid1(VALU_DEP_4)
	v_dual_sub_f32 v36, v36, v50 :: v_dual_add_f32 v31, v31, v39
	v_fmac_f32_e32 v49, 0x32a5705f, v19
	v_xor_b32_e32 v53, 0x80000000, v38
	v_exp_f32_e32 v34, v34
	v_cvt_i32_f32_e32 v50, v50
	v_exp_f32_e32 v31, v31
	v_add_f32_e32 v36, v36, v49
	v_cmp_ngt_f32_e64 s1, 0xc2ce8ed0, v17
	v_rndne_f32_e32 v54, v38
	v_cmp_ngt_f32_e64 s2, 0xc2ce8ed0, v19
	s_delay_alu instid0(VALU_DEP_4) | instskip(NEXT) | instid1(TRANS32_DEP_3)
	v_exp_f32_e32 v36, v36
	v_ldexp_f32 v34, v34, v46
	s_delay_alu instid0(VALU_DEP_3) | instskip(NEXT) | instid1(TRANS32_DEP_2)
	v_sub_f32_e32 v38, v38, v54
	v_ldexp_f32 v31, v31, v40
	v_cvt_i32_f32_e32 v54, v54
	s_wait_alu 0xf1ff
	s_delay_alu instid0(VALU_DEP_2) | instskip(SKIP_1) | instid1(TRANS32_DEP_1)
	v_cndmask_b32_e64 v31, 0, v31, s5
	v_cmp_ngt_f32_e64 s5, 0xc2ce8ed0, v11
	v_ldexp_f32 v36, v36, v50
	s_wait_alu 0xf1ff
	s_delay_alu instid0(VALU_DEP_2) | instskip(SKIP_2) | instid1(VALU_DEP_1)
	v_cndmask_b32_e64 v32, 0, v32, s5
	v_cmp_nlt_f32_e64 s5, 0x42b17218, v9
	s_wait_alu 0xf1ff
	v_cndmask_b32_e64 v9, 0x7f800000, v31, s5
	s_wait_alu 0xfffd
	v_cndmask_b32_e32 v31, 0, v33, vcc_lo
	v_cmp_nlt_f32_e32 vcc_lo, 0x42b17218, v11
	s_wait_alu 0xfffd
	v_dual_fmac_f32 v8, v9, v10 :: v_dual_cndmask_b32 v11, 0x7f800000, v32
	v_cmp_nlt_f32_e32 vcc_lo, 0x42b17218, v13
	s_delay_alu instid0(VALU_DEP_2)
	v_fmac_f32_e32 v8, v11, v12
	s_wait_alu 0xfffd
	v_cndmask_b32_e32 v10, 0x7f800000, v31, vcc_lo
	v_cmp_nlt_f32_e32 vcc_lo, 0x42b17218, v15
	v_fmac_f32_e32 v53, 0x3fb8aa3b, v23
	v_cmp_ngt_f32_e64 s4, 0xc2ce8ed0, v23
	s_delay_alu instid0(VALU_DEP_2) | instskip(NEXT) | instid1(VALU_DEP_1)
	v_dual_fmac_f32 v8, v10, v14 :: v_dual_fmac_f32 v53, 0x32a5705f, v23
	v_dual_sub_f32 v21, v21, v6 :: v_dual_add_f32 v38, v38, v53
	s_delay_alu instid0(VALU_DEP_1) | instskip(NEXT) | instid1(VALU_DEP_2)
	v_cmp_ngt_f32_e64 s3, 0xc2ce8ed0, v21
	v_exp_f32_e32 v38, v38
	s_delay_alu instid0(TRANS32_DEP_1) | instskip(SKIP_4) | instid1(VALU_DEP_1)
	v_ldexp_f32 v38, v38, v54
	s_wait_loadcnt 0x7
	v_fmac_f32_e32 v7, v25, v9
	v_cndmask_b32_e64 v9, 0, v34, s0
	s_wait_alu 0xfffd
	v_cndmask_b32_e32 v9, 0x7f800000, v9, vcc_lo
	s_wait_loadcnt 0x6
	v_fmac_f32_e32 v7, v26, v11
	v_cmp_nlt_f32_e32 vcc_lo, 0x42b17218, v17
	s_delay_alu instid0(VALU_DEP_3) | instskip(SKIP_1) | instid1(VALU_DEP_3)
	v_dual_fmac_f32 v8, v9, v16 :: v_dual_mul_f32 v35, 0x3fb8aa3b, v17
	s_wait_loadcnt 0x5
	v_fmac_f32_e32 v7, v27, v10
	s_delay_alu instid0(VALU_DEP_2) | instskip(SKIP_2) | instid1(VALU_DEP_3)
	v_xor_b32_e32 v47, 0x80000000, v35
	v_rndne_f32_e32 v48, v35
	v_cndmask_b32_e64 v10, 0, v36, s2
	v_fmac_f32_e32 v47, 0x3fb8aa3b, v17
	s_delay_alu instid0(VALU_DEP_3) | instskip(SKIP_1) | instid1(VALU_DEP_3)
	v_sub_f32_e32 v35, v35, v48
	v_cvt_i32_f32_e32 v48, v48
	v_fmac_f32_e32 v47, 0x32a5705f, v17
	s_wait_loadcnt 0x4
	v_fmac_f32_e32 v7, v28, v9
	s_delay_alu instid0(VALU_DEP_2) | instskip(NEXT) | instid1(VALU_DEP_1)
	v_add_f32_e32 v35, v35, v47
	v_exp_f32_e32 v35, v35
	s_delay_alu instid0(TRANS32_DEP_1) | instskip(NEXT) | instid1(VALU_DEP_1)
	v_ldexp_f32 v35, v35, v48
	v_cndmask_b32_e64 v11, 0, v35, s1
	s_wait_alu 0xfffd
	s_delay_alu instid0(VALU_DEP_1) | instskip(SKIP_1) | instid1(VALU_DEP_2)
	v_cndmask_b32_e32 v11, 0x7f800000, v11, vcc_lo
	v_cmp_nlt_f32_e32 vcc_lo, 0x42b17218, v19
	v_fmac_f32_e32 v8, v11, v18
	s_wait_alu 0xfffd
	v_cndmask_b32_e32 v10, 0x7f800000, v10, vcc_lo
	v_mul_f32_e32 v37, 0x3fb8aa3b, v21
	s_wait_loadcnt 0x3
	v_fmac_f32_e32 v7, v29, v11
	v_cmp_nlt_f32_e32 vcc_lo, 0x42b17218, v21
	s_wait_alu 0xf1ff
	v_cndmask_b32_e64 v11, 0, v38, s4
	v_fmac_f32_e32 v8, v10, v20
	v_xor_b32_e32 v51, 0x80000000, v37
	v_rndne_f32_e32 v52, v37
	s_wait_loadcnt 0x2
	v_fmac_f32_e32 v7, v30, v10
	s_delay_alu instid0(VALU_DEP_3) | instskip(NEXT) | instid1(VALU_DEP_3)
	v_fmac_f32_e32 v51, 0x3fb8aa3b, v21
	v_sub_f32_e32 v37, v37, v52
	v_cvt_i32_f32_e32 v52, v52
	s_delay_alu instid0(VALU_DEP_3) | instskip(NEXT) | instid1(VALU_DEP_1)
	v_fmac_f32_e32 v51, 0x32a5705f, v21
	v_add_f32_e32 v37, v37, v51
	s_delay_alu instid0(VALU_DEP_1) | instskip(NEXT) | instid1(TRANS32_DEP_1)
	v_exp_f32_e32 v37, v37
	v_ldexp_f32 v37, v37, v52
	s_delay_alu instid0(VALU_DEP_1) | instskip(SKIP_1) | instid1(VALU_DEP_1)
	v_cndmask_b32_e64 v9, 0, v37, s3
	s_wait_alu 0xfffd
	v_cndmask_b32_e32 v9, 0x7f800000, v9, vcc_lo
	v_cmp_nlt_f32_e32 vcc_lo, 0x42b17218, v23
	s_delay_alu instid0(VALU_DEP_2) | instskip(SKIP_4) | instid1(VALU_DEP_1)
	v_fmac_f32_e32 v8, v9, v22
	s_wait_loadcnt 0x1
	s_wait_alu 0xfffd
	v_dual_cndmask_b32 v10, 0x7f800000, v11 :: v_dual_fmac_f32 v7, v2, v9
	s_wait_loadcnt 0x0
	v_dual_fmac_f32 v8, v10, v24 :: v_dual_fmac_f32 v7, v3, v10
	s_cbranch_scc0 .LBB28_14
; %bb.15:
	s_and_b32 s0, s10, 7
	s_wait_alu 0xfffe
	s_cmp_eq_u32 s0, 0
	s_cbranch_scc0 .LBB28_18
	s_branch .LBB28_20
.LBB28_16:
	v_mov_b32_e32 v0, 0x7fc00000
	s_branch .LBB28_21
.LBB28_17:
	v_dual_mov_b32 v7, 0 :: v_dual_mov_b32 v8, 0
	s_mov_b32 s12, 0
	s_and_b32 s0, s10, 7
	s_wait_alu 0xfffe
	s_cmp_eq_u32 s0, 0
	s_cbranch_scc1 .LBB28_20
.LBB28_18:
	v_lshl_or_b32 v0, s12, 7, v0
	v_mov_b32_e32 v1, 0
	s_lshl_b32 s1, s12, 3
	s_wait_alu 0xfffe
	s_add_co_i32 s1, s1, 0
.LBB28_19:                              ; =>This Inner Loop Header: Depth=1
	s_delay_alu instid0(VALU_DEP_1) | instskip(SKIP_2) | instid1(VALU_DEP_2)
	v_lshlrev_b64_e32 v[2:3], 2, v[0:1]
	s_add_co_i32 s0, s0, -1
	v_add_nc_u32_e32 v0, 0x80, v0
	v_add_co_u32 v2, vcc_lo, s6, v2
	s_wait_alu 0xfffd
	s_delay_alu instid0(VALU_DEP_3)
	v_add_co_ci_u32_e64 v3, null, s7, v3, vcc_lo
	global_load_b32 v4, v[2:3], off
	s_wait_alu 0xfffe
	v_mov_b32_e32 v2, s1
	s_add_co_i32 s1, s1, 8
	s_cmp_lg_u32 s0, 0
	ds_load_b64 v[2:3], v2
	s_wait_dscnt 0x0
	v_sub_f32_e32 v2, v2, v6
	s_delay_alu instid0(VALU_DEP_1) | instskip(SKIP_1) | instid1(VALU_DEP_2)
	v_mul_f32_e32 v9, 0x3fb8aa3b, v2
	v_cmp_ngt_f32_e32 vcc_lo, 0xc2ce8ed0, v2
	v_xor_b32_e32 v10, 0x80000000, v9
	v_rndne_f32_e32 v11, v9
	s_delay_alu instid0(VALU_DEP_1) | instskip(NEXT) | instid1(VALU_DEP_1)
	v_dual_fmac_f32 v10, 0x3fb8aa3b, v2 :: v_dual_sub_f32 v9, v9, v11
	v_fmac_f32_e32 v10, 0x32a5705f, v2
	s_delay_alu instid0(VALU_DEP_1) | instskip(SKIP_1) | instid1(VALU_DEP_2)
	v_add_f32_e32 v9, v9, v10
	v_cvt_i32_f32_e32 v10, v11
	v_exp_f32_e32 v9, v9
	s_delay_alu instid0(TRANS32_DEP_1) | instskip(SKIP_1) | instid1(VALU_DEP_1)
	v_ldexp_f32 v9, v9, v10
	s_wait_alu 0xfffd
	v_cndmask_b32_e32 v9, 0, v9, vcc_lo
	v_cmp_nlt_f32_e32 vcc_lo, 0x42b17218, v2
	s_wait_alu 0xfffd
	s_delay_alu instid0(VALU_DEP_2) | instskip(SKIP_1) | instid1(VALU_DEP_1)
	v_cndmask_b32_e32 v2, 0x7f800000, v9, vcc_lo
	s_wait_loadcnt 0x0
	v_dual_fmac_f32 v8, v2, v3 :: v_dual_fmac_f32 v7, v4, v2
	s_cbranch_scc1 .LBB28_19
.LBB28_20:
	s_delay_alu instid0(VALU_DEP_1) | instskip(NEXT) | instid1(VALU_DEP_1)
	v_div_scale_f32 v0, null, v8, v8, v7
	v_rcp_f32_e32 v1, v0
	s_delay_alu instid0(TRANS32_DEP_1) | instskip(NEXT) | instid1(VALU_DEP_1)
	v_fma_f32 v2, -v0, v1, 1.0
	v_fmac_f32_e32 v1, v2, v1
	v_div_scale_f32 v2, vcc_lo, v7, v8, v7
	s_delay_alu instid0(VALU_DEP_1) | instskip(NEXT) | instid1(VALU_DEP_1)
	v_mul_f32_e32 v3, v2, v1
	v_fma_f32 v4, -v0, v3, v2
	s_delay_alu instid0(VALU_DEP_1) | instskip(NEXT) | instid1(VALU_DEP_1)
	v_fmac_f32_e32 v3, v4, v1
	v_fma_f32 v0, -v0, v3, v2
	s_wait_alu 0xfffd
	s_delay_alu instid0(VALU_DEP_1) | instskip(NEXT) | instid1(VALU_DEP_1)
	v_div_fmas_f32 v0, v0, v1, v3
	v_div_fixup_f32 v0, v0, v8, v7
.LBB28_21:
	s_lshl_b32 s0, s11, 7
	s_wait_alu 0xfffe
	s_ashr_i32 s1, s0, 31
	s_wait_alu 0xfffe
	s_lshl_b64 s[0:1], s[0:1], 2
	s_wait_alu 0xfffe
	s_add_nc_u64 s[0:1], s[8:9], s[0:1]
	global_store_b32 v5, v0, s[0:1]
	s_endpgm
	.section	.rodata,"a",@progbits
	.p2align	6, 0x0
	.amdhsa_kernel _ZL26flash_attn_combine_resultsILi128EEvPKfPK15HIP_vector_typeIfLj2EEPfi
		.amdhsa_group_segment_fixed_size 0
		.amdhsa_private_segment_fixed_size 0
		.amdhsa_kernarg_size 288
		.amdhsa_user_sgpr_count 2
		.amdhsa_user_sgpr_dispatch_ptr 0
		.amdhsa_user_sgpr_queue_ptr 0
		.amdhsa_user_sgpr_kernarg_segment_ptr 1
		.amdhsa_user_sgpr_dispatch_id 0
		.amdhsa_user_sgpr_private_segment_size 0
		.amdhsa_wavefront_size32 1
		.amdhsa_uses_dynamic_stack 0
		.amdhsa_enable_private_segment 0
		.amdhsa_system_sgpr_workgroup_id_x 1
		.amdhsa_system_sgpr_workgroup_id_y 1
		.amdhsa_system_sgpr_workgroup_id_z 1
		.amdhsa_system_sgpr_workgroup_info 0
		.amdhsa_system_vgpr_workitem_id 0
		.amdhsa_next_free_vgpr 55
		.amdhsa_next_free_sgpr 16
		.amdhsa_reserve_vcc 1
		.amdhsa_float_round_mode_32 0
		.amdhsa_float_round_mode_16_64 0
		.amdhsa_float_denorm_mode_32 3
		.amdhsa_float_denorm_mode_16_64 3
		.amdhsa_fp16_overflow 0
		.amdhsa_workgroup_processor_mode 1
		.amdhsa_memory_ordered 1
		.amdhsa_forward_progress 1
		.amdhsa_inst_pref_size 21
		.amdhsa_round_robin_scheduling 0
		.amdhsa_exception_fp_ieee_invalid_op 0
		.amdhsa_exception_fp_denorm_src 0
		.amdhsa_exception_fp_ieee_div_zero 0
		.amdhsa_exception_fp_ieee_overflow 0
		.amdhsa_exception_fp_ieee_underflow 0
		.amdhsa_exception_fp_ieee_inexact 0
		.amdhsa_exception_int_div_zero 0
	.end_amdhsa_kernel
	.section	.text._ZL26flash_attn_combine_resultsILi128EEvPKfPK15HIP_vector_typeIfLj2EEPfi,"axG",@progbits,_ZL26flash_attn_combine_resultsILi128EEvPKfPK15HIP_vector_typeIfLj2EEPfi,comdat
.Lfunc_end28:
	.size	_ZL26flash_attn_combine_resultsILi128EEvPKfPK15HIP_vector_typeIfLj2EEPfi, .Lfunc_end28-_ZL26flash_attn_combine_resultsILi128EEvPKfPK15HIP_vector_typeIfLj2EEPfi
                                        ; -- End function
	.set _ZL26flash_attn_combine_resultsILi128EEvPKfPK15HIP_vector_typeIfLj2EEPfi.num_vgpr, 55
	.set _ZL26flash_attn_combine_resultsILi128EEvPKfPK15HIP_vector_typeIfLj2EEPfi.num_agpr, 0
	.set _ZL26flash_attn_combine_resultsILi128EEvPKfPK15HIP_vector_typeIfLj2EEPfi.numbered_sgpr, 16
	.set _ZL26flash_attn_combine_resultsILi128EEvPKfPK15HIP_vector_typeIfLj2EEPfi.num_named_barrier, 0
	.set _ZL26flash_attn_combine_resultsILi128EEvPKfPK15HIP_vector_typeIfLj2EEPfi.private_seg_size, 0
	.set _ZL26flash_attn_combine_resultsILi128EEvPKfPK15HIP_vector_typeIfLj2EEPfi.uses_vcc, 1
	.set _ZL26flash_attn_combine_resultsILi128EEvPKfPK15HIP_vector_typeIfLj2EEPfi.uses_flat_scratch, 0
	.set _ZL26flash_attn_combine_resultsILi128EEvPKfPK15HIP_vector_typeIfLj2EEPfi.has_dyn_sized_stack, 0
	.set _ZL26flash_attn_combine_resultsILi128EEvPKfPK15HIP_vector_typeIfLj2EEPfi.has_recursion, 0
	.set _ZL26flash_attn_combine_resultsILi128EEvPKfPK15HIP_vector_typeIfLj2EEPfi.has_indirect_call, 0
	.section	.AMDGPU.csdata,"",@progbits
; Kernel info:
; codeLenInByte = 2564
; TotalNumSgprs: 18
; NumVgprs: 55
; ScratchSize: 0
; MemoryBound: 0
; FloatMode: 240
; IeeeMode: 1
; LDSByteSize: 0 bytes/workgroup (compile time only)
; SGPRBlocks: 0
; VGPRBlocks: 6
; NumSGPRsForWavesPerEU: 18
; NumVGPRsForWavesPerEU: 55
; Occupancy: 16
; WaveLimiterHint : 0
; COMPUTE_PGM_RSRC2:SCRATCH_EN: 0
; COMPUTE_PGM_RSRC2:USER_SGPR: 2
; COMPUTE_PGM_RSRC2:TRAP_HANDLER: 0
; COMPUTE_PGM_RSRC2:TGID_X_EN: 1
; COMPUTE_PGM_RSRC2:TGID_Y_EN: 1
; COMPUTE_PGM_RSRC2:TGID_Z_EN: 1
; COMPUTE_PGM_RSRC2:TIDIG_COMP_CNT: 0
	.section	.text._ZL18flash_attn_ext_f16ILi256ELi256ELi32ELi2ELb0ELb0EEvPKcS1_S1_S1_S1_PKiPfP15HIP_vector_typeIfLj2EEffffjfiS5_IjLj3EEiiiiiiiiiiiliiliiiiil,"axG",@progbits,_ZL18flash_attn_ext_f16ILi256ELi256ELi32ELi2ELb0ELb0EEvPKcS1_S1_S1_S1_PKiPfP15HIP_vector_typeIfLj2EEffffjfiS5_IjLj3EEiiiiiiiiiiiliiliiiiil,comdat
	.globl	_ZL18flash_attn_ext_f16ILi256ELi256ELi32ELi2ELb0ELb0EEvPKcS1_S1_S1_S1_PKiPfP15HIP_vector_typeIfLj2EEffffjfiS5_IjLj3EEiiiiiiiiiiiliiliiiiil ; -- Begin function _ZL18flash_attn_ext_f16ILi256ELi256ELi32ELi2ELb0ELb0EEvPKcS1_S1_S1_S1_PKiPfP15HIP_vector_typeIfLj2EEffffjfiS5_IjLj3EEiiiiiiiiiiiliiliiiiil
	.p2align	8
	.type	_ZL18flash_attn_ext_f16ILi256ELi256ELi32ELi2ELb0ELb0EEvPKcS1_S1_S1_S1_PKiPfP15HIP_vector_typeIfLj2EEffffjfiS5_IjLj3EEiiiiiiiiiiiliiliiiiil,@function
_ZL18flash_attn_ext_f16ILi256ELi256ELi32ELi2ELb0ELb0EEvPKcS1_S1_S1_S1_PKiPfP15HIP_vector_typeIfLj2EEffffjfiS5_IjLj3EEiiiiiiiiiiiliiliiiiil: ; @_ZL18flash_attn_ext_f16ILi256ELi256ELi32ELi2ELb0ELb0EEvPKcS1_S1_S1_S1_PKiPfP15HIP_vector_typeIfLj2EEffffjfiS5_IjLj3EEiiiiiiiiiiiliiliiiiil
; %bb.0:
	v_mov_b32_e32 v0, 0x6e3
	s_add_nc_u64 s[8:9], s[0:1], 0xd0
	s_getpc_b64 s[0:1]
	s_sext_i32_i16 s1, s1
	s_add_co_u32 s0, s0, _ZL14no_device_codePKciS0_iS0_@rel32@lo+8
	s_add_co_ci_u32 s1, s1, _ZL14no_device_codePKciS0_iS0_@rel32@hi+16
	s_mov_b32 s32, 0
	s_swappc_b64 s[30:31], s[0:1]
	.section	.rodata,"a",@progbits
	.p2align	6, 0x0
	.amdhsa_kernel _ZL18flash_attn_ext_f16ILi256ELi256ELi32ELi2ELb0ELb0EEvPKcS1_S1_S1_S1_PKiPfP15HIP_vector_typeIfLj2EEffffjfiS5_IjLj3EEiiiiiiiiiiiliiliiiiil
		.amdhsa_group_segment_fixed_size 0
		.amdhsa_private_segment_fixed_size 16
		.amdhsa_kernarg_size 464
		.amdhsa_user_sgpr_count 2
		.amdhsa_user_sgpr_dispatch_ptr 0
		.amdhsa_user_sgpr_queue_ptr 0
		.amdhsa_user_sgpr_kernarg_segment_ptr 1
		.amdhsa_user_sgpr_dispatch_id 0
		.amdhsa_user_sgpr_private_segment_size 0
		.amdhsa_wavefront_size32 1
		.amdhsa_uses_dynamic_stack 0
		.amdhsa_enable_private_segment 1
		.amdhsa_system_sgpr_workgroup_id_x 1
		.amdhsa_system_sgpr_workgroup_id_y 0
		.amdhsa_system_sgpr_workgroup_id_z 0
		.amdhsa_system_sgpr_workgroup_info 0
		.amdhsa_system_vgpr_workitem_id 0
		.amdhsa_next_free_vgpr 40
		.amdhsa_next_free_sgpr 34
		.amdhsa_reserve_vcc 1
		.amdhsa_float_round_mode_32 0
		.amdhsa_float_round_mode_16_64 0
		.amdhsa_float_denorm_mode_32 3
		.amdhsa_float_denorm_mode_16_64 3
		.amdhsa_fp16_overflow 0
		.amdhsa_workgroup_processor_mode 1
		.amdhsa_memory_ordered 1
		.amdhsa_forward_progress 1
		.amdhsa_inst_pref_size 1
		.amdhsa_round_robin_scheduling 0
		.amdhsa_exception_fp_ieee_invalid_op 0
		.amdhsa_exception_fp_denorm_src 0
		.amdhsa_exception_fp_ieee_div_zero 0
		.amdhsa_exception_fp_ieee_overflow 0
		.amdhsa_exception_fp_ieee_underflow 0
		.amdhsa_exception_fp_ieee_inexact 0
		.amdhsa_exception_int_div_zero 0
	.end_amdhsa_kernel
	.section	.text._ZL18flash_attn_ext_f16ILi256ELi256ELi32ELi2ELb0ELb0EEvPKcS1_S1_S1_S1_PKiPfP15HIP_vector_typeIfLj2EEffffjfiS5_IjLj3EEiiiiiiiiiiiliiliiiiil,"axG",@progbits,_ZL18flash_attn_ext_f16ILi256ELi256ELi32ELi2ELb0ELb0EEvPKcS1_S1_S1_S1_PKiPfP15HIP_vector_typeIfLj2EEffffjfiS5_IjLj3EEiiiiiiiiiiiliiliiiiil,comdat
.Lfunc_end29:
	.size	_ZL18flash_attn_ext_f16ILi256ELi256ELi32ELi2ELb0ELb0EEvPKcS1_S1_S1_S1_PKiPfP15HIP_vector_typeIfLj2EEffffjfiS5_IjLj3EEiiiiiiiiiiiliiliiiiil, .Lfunc_end29-_ZL18flash_attn_ext_f16ILi256ELi256ELi32ELi2ELb0ELb0EEvPKcS1_S1_S1_S1_PKiPfP15HIP_vector_typeIfLj2EEffffjfiS5_IjLj3EEiiiiiiiiiiiliiliiiiil
                                        ; -- End function
	.set _ZL18flash_attn_ext_f16ILi256ELi256ELi32ELi2ELb0ELb0EEvPKcS1_S1_S1_S1_PKiPfP15HIP_vector_typeIfLj2EEffffjfiS5_IjLj3EEiiiiiiiiiiiliiliiiiil.num_vgpr, max(1, .L_ZL14no_device_codePKciS0_iS0_.num_vgpr)
	.set _ZL18flash_attn_ext_f16ILi256ELi256ELi32ELi2ELb0ELb0EEvPKcS1_S1_S1_S1_PKiPfP15HIP_vector_typeIfLj2EEffffjfiS5_IjLj3EEiiiiiiiiiiiliiliiiiil.num_agpr, max(0, .L_ZL14no_device_codePKciS0_iS0_.num_agpr)
	.set _ZL18flash_attn_ext_f16ILi256ELi256ELi32ELi2ELb0ELb0EEvPKcS1_S1_S1_S1_PKiPfP15HIP_vector_typeIfLj2EEffffjfiS5_IjLj3EEiiiiiiiiiiiliiliiiiil.numbered_sgpr, max(33, .L_ZL14no_device_codePKciS0_iS0_.numbered_sgpr)
	.set _ZL18flash_attn_ext_f16ILi256ELi256ELi32ELi2ELb0ELb0EEvPKcS1_S1_S1_S1_PKiPfP15HIP_vector_typeIfLj2EEffffjfiS5_IjLj3EEiiiiiiiiiiiliiliiiiil.num_named_barrier, max(0, .L_ZL14no_device_codePKciS0_iS0_.num_named_barrier)
	.set _ZL18flash_attn_ext_f16ILi256ELi256ELi32ELi2ELb0ELb0EEvPKcS1_S1_S1_S1_PKiPfP15HIP_vector_typeIfLj2EEffffjfiS5_IjLj3EEiiiiiiiiiiiliiliiiiil.private_seg_size, 0+max(.L_ZL14no_device_codePKciS0_iS0_.private_seg_size)
	.set _ZL18flash_attn_ext_f16ILi256ELi256ELi32ELi2ELb0ELb0EEvPKcS1_S1_S1_S1_PKiPfP15HIP_vector_typeIfLj2EEffffjfiS5_IjLj3EEiiiiiiiiiiiliiliiiiil.uses_vcc, or(1, .L_ZL14no_device_codePKciS0_iS0_.uses_vcc)
	.set _ZL18flash_attn_ext_f16ILi256ELi256ELi32ELi2ELb0ELb0EEvPKcS1_S1_S1_S1_PKiPfP15HIP_vector_typeIfLj2EEffffjfiS5_IjLj3EEiiiiiiiiiiiliiliiiiil.uses_flat_scratch, or(0, .L_ZL14no_device_codePKciS0_iS0_.uses_flat_scratch)
	.set _ZL18flash_attn_ext_f16ILi256ELi256ELi32ELi2ELb0ELb0EEvPKcS1_S1_S1_S1_PKiPfP15HIP_vector_typeIfLj2EEffffjfiS5_IjLj3EEiiiiiiiiiiiliiliiiiil.has_dyn_sized_stack, or(0, .L_ZL14no_device_codePKciS0_iS0_.has_dyn_sized_stack)
	.set _ZL18flash_attn_ext_f16ILi256ELi256ELi32ELi2ELb0ELb0EEvPKcS1_S1_S1_S1_PKiPfP15HIP_vector_typeIfLj2EEffffjfiS5_IjLj3EEiiiiiiiiiiiliiliiiiil.has_recursion, or(0, .L_ZL14no_device_codePKciS0_iS0_.has_recursion)
	.set _ZL18flash_attn_ext_f16ILi256ELi256ELi32ELi2ELb0ELb0EEvPKcS1_S1_S1_S1_PKiPfP15HIP_vector_typeIfLj2EEffffjfiS5_IjLj3EEiiiiiiiiiiiliiliiiiil.has_indirect_call, or(0, .L_ZL14no_device_codePKciS0_iS0_.has_indirect_call)
	.section	.AMDGPU.csdata,"",@progbits
; Kernel info:
; codeLenInByte = 48
; TotalNumSgprs: 36
; NumVgprs: 40
; ScratchSize: 16
; MemoryBound: 0
; FloatMode: 240
; IeeeMode: 1
; LDSByteSize: 0 bytes/workgroup (compile time only)
; SGPRBlocks: 0
; VGPRBlocks: 4
; NumSGPRsForWavesPerEU: 36
; NumVGPRsForWavesPerEU: 40
; Occupancy: 16
; WaveLimiterHint : 1
; COMPUTE_PGM_RSRC2:SCRATCH_EN: 1
; COMPUTE_PGM_RSRC2:USER_SGPR: 2
; COMPUTE_PGM_RSRC2:TRAP_HANDLER: 0
; COMPUTE_PGM_RSRC2:TGID_X_EN: 1
; COMPUTE_PGM_RSRC2:TGID_Y_EN: 0
; COMPUTE_PGM_RSRC2:TGID_Z_EN: 0
; COMPUTE_PGM_RSRC2:TIDIG_COMP_CNT: 0
	.section	.text._ZL18flash_attn_ext_f16ILi256ELi256ELi32ELi2ELb1ELb0EEvPKcS1_S1_S1_S1_PKiPfP15HIP_vector_typeIfLj2EEffffjfiS5_IjLj3EEiiiiiiiiiiiliiliiiiil,"axG",@progbits,_ZL18flash_attn_ext_f16ILi256ELi256ELi32ELi2ELb1ELb0EEvPKcS1_S1_S1_S1_PKiPfP15HIP_vector_typeIfLj2EEffffjfiS5_IjLj3EEiiiiiiiiiiiliiliiiiil,comdat
	.globl	_ZL18flash_attn_ext_f16ILi256ELi256ELi32ELi2ELb1ELb0EEvPKcS1_S1_S1_S1_PKiPfP15HIP_vector_typeIfLj2EEffffjfiS5_IjLj3EEiiiiiiiiiiiliiliiiiil ; -- Begin function _ZL18flash_attn_ext_f16ILi256ELi256ELi32ELi2ELb1ELb0EEvPKcS1_S1_S1_S1_PKiPfP15HIP_vector_typeIfLj2EEffffjfiS5_IjLj3EEiiiiiiiiiiiliiliiiiil
	.p2align	8
	.type	_ZL18flash_attn_ext_f16ILi256ELi256ELi32ELi2ELb1ELb0EEvPKcS1_S1_S1_S1_PKiPfP15HIP_vector_typeIfLj2EEffffjfiS5_IjLj3EEiiiiiiiiiiiliiliiiiil,@function
_ZL18flash_attn_ext_f16ILi256ELi256ELi32ELi2ELb1ELb0EEvPKcS1_S1_S1_S1_PKiPfP15HIP_vector_typeIfLj2EEffffjfiS5_IjLj3EEiiiiiiiiiiiliiliiiiil: ; @_ZL18flash_attn_ext_f16ILi256ELi256ELi32ELi2ELb1ELb0EEvPKcS1_S1_S1_S1_PKiPfP15HIP_vector_typeIfLj2EEffffjfiS5_IjLj3EEiiiiiiiiiiiliiliiiiil
; %bb.0:
	v_mov_b32_e32 v0, 0x6e3
	s_add_nc_u64 s[8:9], s[0:1], 0xd0
	s_getpc_b64 s[0:1]
	s_sext_i32_i16 s1, s1
	s_add_co_u32 s0, s0, _ZL14no_device_codePKciS0_iS0_@rel32@lo+8
	s_add_co_ci_u32 s1, s1, _ZL14no_device_codePKciS0_iS0_@rel32@hi+16
	s_mov_b32 s32, 0
	s_swappc_b64 s[30:31], s[0:1]
	.section	.rodata,"a",@progbits
	.p2align	6, 0x0
	.amdhsa_kernel _ZL18flash_attn_ext_f16ILi256ELi256ELi32ELi2ELb1ELb0EEvPKcS1_S1_S1_S1_PKiPfP15HIP_vector_typeIfLj2EEffffjfiS5_IjLj3EEiiiiiiiiiiiliiliiiiil
		.amdhsa_group_segment_fixed_size 0
		.amdhsa_private_segment_fixed_size 16
		.amdhsa_kernarg_size 464
		.amdhsa_user_sgpr_count 2
		.amdhsa_user_sgpr_dispatch_ptr 0
		.amdhsa_user_sgpr_queue_ptr 0
		.amdhsa_user_sgpr_kernarg_segment_ptr 1
		.amdhsa_user_sgpr_dispatch_id 0
		.amdhsa_user_sgpr_private_segment_size 0
		.amdhsa_wavefront_size32 1
		.amdhsa_uses_dynamic_stack 0
		.amdhsa_enable_private_segment 1
		.amdhsa_system_sgpr_workgroup_id_x 1
		.amdhsa_system_sgpr_workgroup_id_y 0
		.amdhsa_system_sgpr_workgroup_id_z 0
		.amdhsa_system_sgpr_workgroup_info 0
		.amdhsa_system_vgpr_workitem_id 0
		.amdhsa_next_free_vgpr 40
		.amdhsa_next_free_sgpr 34
		.amdhsa_reserve_vcc 1
		.amdhsa_float_round_mode_32 0
		.amdhsa_float_round_mode_16_64 0
		.amdhsa_float_denorm_mode_32 3
		.amdhsa_float_denorm_mode_16_64 3
		.amdhsa_fp16_overflow 0
		.amdhsa_workgroup_processor_mode 1
		.amdhsa_memory_ordered 1
		.amdhsa_forward_progress 1
		.amdhsa_inst_pref_size 1
		.amdhsa_round_robin_scheduling 0
		.amdhsa_exception_fp_ieee_invalid_op 0
		.amdhsa_exception_fp_denorm_src 0
		.amdhsa_exception_fp_ieee_div_zero 0
		.amdhsa_exception_fp_ieee_overflow 0
		.amdhsa_exception_fp_ieee_underflow 0
		.amdhsa_exception_fp_ieee_inexact 0
		.amdhsa_exception_int_div_zero 0
	.end_amdhsa_kernel
	.section	.text._ZL18flash_attn_ext_f16ILi256ELi256ELi32ELi2ELb1ELb0EEvPKcS1_S1_S1_S1_PKiPfP15HIP_vector_typeIfLj2EEffffjfiS5_IjLj3EEiiiiiiiiiiiliiliiiiil,"axG",@progbits,_ZL18flash_attn_ext_f16ILi256ELi256ELi32ELi2ELb1ELb0EEvPKcS1_S1_S1_S1_PKiPfP15HIP_vector_typeIfLj2EEffffjfiS5_IjLj3EEiiiiiiiiiiiliiliiiiil,comdat
.Lfunc_end30:
	.size	_ZL18flash_attn_ext_f16ILi256ELi256ELi32ELi2ELb1ELb0EEvPKcS1_S1_S1_S1_PKiPfP15HIP_vector_typeIfLj2EEffffjfiS5_IjLj3EEiiiiiiiiiiiliiliiiiil, .Lfunc_end30-_ZL18flash_attn_ext_f16ILi256ELi256ELi32ELi2ELb1ELb0EEvPKcS1_S1_S1_S1_PKiPfP15HIP_vector_typeIfLj2EEffffjfiS5_IjLj3EEiiiiiiiiiiiliiliiiiil
                                        ; -- End function
	.set _ZL18flash_attn_ext_f16ILi256ELi256ELi32ELi2ELb1ELb0EEvPKcS1_S1_S1_S1_PKiPfP15HIP_vector_typeIfLj2EEffffjfiS5_IjLj3EEiiiiiiiiiiiliiliiiiil.num_vgpr, max(1, .L_ZL14no_device_codePKciS0_iS0_.num_vgpr)
	.set _ZL18flash_attn_ext_f16ILi256ELi256ELi32ELi2ELb1ELb0EEvPKcS1_S1_S1_S1_PKiPfP15HIP_vector_typeIfLj2EEffffjfiS5_IjLj3EEiiiiiiiiiiiliiliiiiil.num_agpr, max(0, .L_ZL14no_device_codePKciS0_iS0_.num_agpr)
	.set _ZL18flash_attn_ext_f16ILi256ELi256ELi32ELi2ELb1ELb0EEvPKcS1_S1_S1_S1_PKiPfP15HIP_vector_typeIfLj2EEffffjfiS5_IjLj3EEiiiiiiiiiiiliiliiiiil.numbered_sgpr, max(33, .L_ZL14no_device_codePKciS0_iS0_.numbered_sgpr)
	.set _ZL18flash_attn_ext_f16ILi256ELi256ELi32ELi2ELb1ELb0EEvPKcS1_S1_S1_S1_PKiPfP15HIP_vector_typeIfLj2EEffffjfiS5_IjLj3EEiiiiiiiiiiiliiliiiiil.num_named_barrier, max(0, .L_ZL14no_device_codePKciS0_iS0_.num_named_barrier)
	.set _ZL18flash_attn_ext_f16ILi256ELi256ELi32ELi2ELb1ELb0EEvPKcS1_S1_S1_S1_PKiPfP15HIP_vector_typeIfLj2EEffffjfiS5_IjLj3EEiiiiiiiiiiiliiliiiiil.private_seg_size, 0+max(.L_ZL14no_device_codePKciS0_iS0_.private_seg_size)
	.set _ZL18flash_attn_ext_f16ILi256ELi256ELi32ELi2ELb1ELb0EEvPKcS1_S1_S1_S1_PKiPfP15HIP_vector_typeIfLj2EEffffjfiS5_IjLj3EEiiiiiiiiiiiliiliiiiil.uses_vcc, or(1, .L_ZL14no_device_codePKciS0_iS0_.uses_vcc)
	.set _ZL18flash_attn_ext_f16ILi256ELi256ELi32ELi2ELb1ELb0EEvPKcS1_S1_S1_S1_PKiPfP15HIP_vector_typeIfLj2EEffffjfiS5_IjLj3EEiiiiiiiiiiiliiliiiiil.uses_flat_scratch, or(0, .L_ZL14no_device_codePKciS0_iS0_.uses_flat_scratch)
	.set _ZL18flash_attn_ext_f16ILi256ELi256ELi32ELi2ELb1ELb0EEvPKcS1_S1_S1_S1_PKiPfP15HIP_vector_typeIfLj2EEffffjfiS5_IjLj3EEiiiiiiiiiiiliiliiiiil.has_dyn_sized_stack, or(0, .L_ZL14no_device_codePKciS0_iS0_.has_dyn_sized_stack)
	.set _ZL18flash_attn_ext_f16ILi256ELi256ELi32ELi2ELb1ELb0EEvPKcS1_S1_S1_S1_PKiPfP15HIP_vector_typeIfLj2EEffffjfiS5_IjLj3EEiiiiiiiiiiiliiliiiiil.has_recursion, or(0, .L_ZL14no_device_codePKciS0_iS0_.has_recursion)
	.set _ZL18flash_attn_ext_f16ILi256ELi256ELi32ELi2ELb1ELb0EEvPKcS1_S1_S1_S1_PKiPfP15HIP_vector_typeIfLj2EEffffjfiS5_IjLj3EEiiiiiiiiiiiliiliiiiil.has_indirect_call, or(0, .L_ZL14no_device_codePKciS0_iS0_.has_indirect_call)
	.section	.AMDGPU.csdata,"",@progbits
; Kernel info:
; codeLenInByte = 48
; TotalNumSgprs: 36
; NumVgprs: 40
; ScratchSize: 16
; MemoryBound: 0
; FloatMode: 240
; IeeeMode: 1
; LDSByteSize: 0 bytes/workgroup (compile time only)
; SGPRBlocks: 0
; VGPRBlocks: 4
; NumSGPRsForWavesPerEU: 36
; NumVGPRsForWavesPerEU: 40
; Occupancy: 16
; WaveLimiterHint : 1
; COMPUTE_PGM_RSRC2:SCRATCH_EN: 1
; COMPUTE_PGM_RSRC2:USER_SGPR: 2
; COMPUTE_PGM_RSRC2:TRAP_HANDLER: 0
; COMPUTE_PGM_RSRC2:TGID_X_EN: 1
; COMPUTE_PGM_RSRC2:TGID_Y_EN: 0
; COMPUTE_PGM_RSRC2:TGID_Z_EN: 0
; COMPUTE_PGM_RSRC2:TIDIG_COMP_CNT: 0
	.section	.text._ZL33flash_attn_stream_k_fixup_uniformILi256ELi32ELi2EEvPfPK15HIP_vector_typeIfLj2EEiiiiiiS1_IjLj3EES5_S5_,"axG",@progbits,_ZL33flash_attn_stream_k_fixup_uniformILi256ELi32ELi2EEvPfPK15HIP_vector_typeIfLj2EEiiiiiiS1_IjLj3EES5_S5_,comdat
	.globl	_ZL33flash_attn_stream_k_fixup_uniformILi256ELi32ELi2EEvPfPK15HIP_vector_typeIfLj2EEiiiiiiS1_IjLj3EES5_S5_ ; -- Begin function _ZL33flash_attn_stream_k_fixup_uniformILi256ELi32ELi2EEvPfPK15HIP_vector_typeIfLj2EEiiiiiiS1_IjLj3EES5_S5_
	.p2align	8
	.type	_ZL33flash_attn_stream_k_fixup_uniformILi256ELi32ELi2EEvPfPK15HIP_vector_typeIfLj2EEiiiiiiS1_IjLj3EES5_S5_,@function
_ZL33flash_attn_stream_k_fixup_uniformILi256ELi32ELi2EEvPfPK15HIP_vector_typeIfLj2EEiiiiiiS1_IjLj3EES5_S5_: ; @_ZL33flash_attn_stream_k_fixup_uniformILi256ELi32ELi2EEvPfPK15HIP_vector_typeIfLj2EEiiiiiiS1_IjLj3EES5_S5_
; %bb.0:
	s_clause 0x1
	s_load_b256 s[4:11], s[0:1], 0x1c
	s_load_b128 s[12:15], s[0:1], 0x3c
	s_wait_kmcnt 0x0
	s_mul_hi_u32 s2, s7, ttmp9
	s_delay_alu instid0(SALU_CYCLE_1) | instskip(NEXT) | instid1(SALU_CYCLE_1)
	s_add_co_i32 s2, ttmp9, s2
	s_lshr_b32 s2, s2, s8
	s_delay_alu instid0(SALU_CYCLE_1) | instskip(SKIP_2) | instid1(SALU_CYCLE_1)
	s_mul_i32 s3, s2, s9
	s_load_b64 s[8:9], s[0:1], 0x10
	s_sub_co_i32 s7, ttmp9, s3
	s_mul_hi_u32 s3, s7, s10
	s_delay_alu instid0(SALU_CYCLE_1) | instskip(NEXT) | instid1(SALU_CYCLE_1)
	s_add_co_i32 s3, s7, s3
	s_lshr_b32 s3, s3, s11
	s_delay_alu instid0(SALU_CYCLE_1) | instskip(NEXT) | instid1(SALU_CYCLE_1)
	s_mul_i32 s10, s3, s12
	s_sub_co_i32 s7, s7, s10
	s_delay_alu instid0(SALU_CYCLE_1) | instskip(NEXT) | instid1(SALU_CYCLE_1)
	s_mul_hi_u32 s10, s7, s13
	s_add_co_i32 s10, s7, s10
	s_delay_alu instid0(SALU_CYCLE_1) | instskip(NEXT) | instid1(SALU_CYCLE_1)
	s_lshr_b32 s12, s10, s14
	s_mul_i32 s10, s12, s15
	s_lshl_b32 s12, s12, 1
	s_sub_co_i32 s11, s7, s10
	s_and_b32 s7, ttmp7, 0xffff
	s_lshl_b32 s13, s11, 5
	s_lshr_b32 s10, ttmp7, 16
	s_add_co_i32 s13, s13, s7
	s_wait_kmcnt 0x0
	s_cmp_lt_i32 s13, s8
	s_cselect_b32 s13, -1, 0
	s_add_co_i32 s14, s12, s10
	s_delay_alu instid0(SALU_CYCLE_1) | instskip(SKIP_1) | instid1(SALU_CYCLE_1)
	s_cmp_lt_i32 s14, s5
	s_cselect_b32 s14, -1, 0
	s_and_b32 s13, s13, s14
	s_delay_alu instid0(SALU_CYCLE_1)
	s_and_not1_b32 vcc_lo, exec_lo, s13
	s_cbranch_vccnz .LBB31_6
; %bb.1:
	s_mul_i32 s2, s2, s8
	s_mul_i32 s5, s3, s5
	s_add_co_i32 s2, s2, s7
	s_delay_alu instid0(SALU_CYCLE_1) | instskip(NEXT) | instid1(SALU_CYCLE_1)
	s_mul_i32 s2, s2, s9
	s_add_co_i32 s8, s2, s10
	s_load_b128 s[0:3], s[0:1], 0x0
	s_add_co_i32 s5, s8, s5
	s_mul_i32 s8, s9, s11
	s_add_co_i32 s5, s5, s12
	s_lshl_b32 s8, s8, 13
	s_lshl_b32 s5, s5, 8
	s_delay_alu instid0(SALU_CYCLE_1)
	s_add_co_i32 s8, s8, s5
	s_lshl_b32 s5, s7, 1
	v_or_b32_e32 v1, s8, v0
	s_mul_i32 s8, s6, ttmp9
	s_wait_alu 0xfffe
	s_add_co_i32 s9, s8, s6
	s_wait_alu 0xfffe
	s_add_co_i32 s12, s9, -2
	v_ashrrev_i32_e32 v2, 31, v1
	s_delay_alu instid0(VALU_DEP_1) | instskip(SKIP_1) | instid1(VALU_DEP_1)
	v_lshlrev_b64_e32 v[1:2], 2, v[1:2]
	s_wait_kmcnt 0x0
	v_add_co_u32 v1, vcc_lo, s0, v1
	s_delay_alu instid0(VALU_DEP_1)
	v_add_co_ci_u32_e64 v2, null, s1, v2, vcc_lo
	s_add_co_i32 s0, s5, s10
	s_lshl_b32 s1, s9, 6
	global_load_b32 v5, v[1:2], off
	s_wait_alu 0xfffe
	s_add_co_i32 s0, s0, s1
	s_wait_alu 0xfffe
	s_sub_co_i32 s0, s0, 64
	s_wait_alu 0xfffe
	s_ashr_i32 s1, s0, 31
	s_wait_alu 0xfffe
	s_lshl_b64 s[0:1], s[0:1], 3
	s_cmp_lt_i32 s12, s8
	s_wait_alu 0xfffe
	s_add_nc_u64 s[0:1], s[2:3], s[0:1]
	s_load_b32 s11, s[0:1], 0x4
	s_cbranch_scc1 .LBB31_4
; %bb.2:
	s_load_b32 s0, s[0:1], 0x0
	s_add_co_i32 s13, ttmp9, 1
	s_lshl_b32 s12, s4, 8
	s_mul_i32 s1, s6, s13
	s_lshl_b32 s6, s7, 9
	s_lshl_b32 s7, s10, 8
	s_wait_alu 0xfffe
	s_lshl_b32 s14, s1, 14
	s_add_co_i32 s6, s7, s6
	s_lshl_b32 s1, s1, 6
	s_add_co_i32 s14, s6, s14
	s_wait_alu 0xfffe
	s_add_co_i32 s1, s10, s1
	v_or_b32_e32 v0, s14, v0
	s_lshl_b32 s4, s4, 6
	s_ashr_i32 s13, s12, 31
	s_wait_alu 0xfffe
	s_add_co_i32 s1, s1, s4
	s_wait_kmcnt 0x0
	v_dual_mov_b32 v6, s11 :: v_dual_add_nc_u32 v3, 0xffff8000, v0
	s_lshl_b64 s[6:7], s[12:13], 2
	s_wait_alu 0xfffe
	s_add_co_i32 s4, s1, s5
	s_add_nc_u64 s[6:7], s[2:3], s[6:7]
	s_add_co_i32 s1, s9, -1
	s_addk_co_i32 s4, 0xff80
.LBB31_3:                               ; =>This Inner Loop Header: Depth=1
	v_ashrrev_i32_e32 v4, 31, v3
	s_ashr_i32 s5, s4, 31
	v_mov_b32_e32 v10, v6
	s_lshl_b64 s[10:11], s[4:5], 3
	s_wait_loadcnt 0x0
	v_mov_b32_e32 v9, v5
	v_lshlrev_b64_e32 v[7:8], 2, v[3:4]
	s_wait_alu 0xfffe
	s_add_nc_u64 s[10:11], s[2:3], s[10:11]
	v_max_num_f32_e64 v4, s0, s0
	s_load_b64 s[10:11], s[10:11], 0x0
	v_add_nc_u32_e32 v3, 0xffffc000, v3
	v_add_co_u32 v7, vcc_lo, s6, v7
	s_wait_alu 0xfffd
	v_add_co_ci_u32_e64 v8, null, s7, v8, vcc_lo
	v_readfirstlane_b32 s5, v4
	global_load_b32 v0, v[7:8], off
	s_wait_kmcnt 0x0
	v_max_num_f32_e64 v4, s10, s10
	s_delay_alu instid0(VALU_DEP_1) | instskip(SKIP_1) | instid1(SALU_CYCLE_3)
	v_readfirstlane_b32 s9, v4
	s_max_num_f32 s5, s5, s9
	s_sub_f32 s0, s0, s5
	s_sub_f32 s9, s10, s5
	s_wait_alu 0xfffe
	s_delay_alu instid0(SALU_CYCLE_1) | instskip(NEXT) | instid1(SALU_CYCLE_1)
	s_mul_f32 s10, s0, 0x3fb8aa3b
	s_mul_f32 s12, s9, 0x3fb8aa3b
	s_wait_alu 0xfffe
	s_delay_alu instid0(SALU_CYCLE_1)
	s_xor_b32 s13, s10, 0x80000000
	s_rndne_f32 s14, s10
	s_fmamk_f32 s13, s0, 0x3fb8aa3b, s13
	s_cmp_nlt_f32 s0, 0xc2ce8ed0
	s_rndne_f32 s15, s12
	s_wait_alu 0xfffe
	s_sub_f32 s10, s10, s14
	s_fmamk_f32 s13, s0, 0x32a5705f, s13
	s_cvt_i32_f32 s14, s14
	s_cselect_b32 vcc_lo, -1, 0
	s_cmp_ngt_f32 s0, 0x42b17218
	s_wait_alu 0xfffe
	s_add_f32 s10, s10, s13
	s_sub_f32 s13, s12, s15
	s_wait_alu 0xfffe
	s_delay_alu instid0(SALU_CYCLE_1) | instskip(SKIP_1) | instid1(TRANS32_DEP_1)
	v_s_exp_f32 s10, s10
	s_wait_alu 0xf1ff
	v_ldexp_f32 v4, s10, s14
	s_cvt_i32_f32 s10, s15
	s_delay_alu instid0(VALU_DEP_1) | instskip(SKIP_3) | instid1(VALU_DEP_1)
	v_cndmask_b32_e32 v4, 0, v4, vcc_lo
	s_cselect_b32 vcc_lo, -1, 0
	s_cmp_ge_f32 s0, 0xc1a00000
	s_wait_alu 0xfffe
	v_cndmask_b32_e32 v4, 0x7f800000, v4, vcc_lo
	s_cselect_b32 vcc_lo, -1, 0
	s_xor_b32 s0, s12, 0x80000000
	s_cmp_nlt_f32 s9, 0xc2ce8ed0
	s_wait_alu 0xfffe
	s_fmamk_f32 s0, s9, 0x3fb8aa3b, s0
	s_wait_alu 0xfffe
	s_delay_alu instid0(SALU_CYCLE_2) | instskip(SKIP_1) | instid1(SALU_CYCLE_2)
	s_fmamk_f32 s0, s9, 0x32a5705f, s0
	s_wait_alu 0xfffe
	s_add_f32 s0, s13, s0
	s_wait_alu 0xfffe
	s_delay_alu instid0(SALU_CYCLE_2) | instskip(SKIP_1) | instid1(TRANS32_DEP_1)
	v_s_exp_f32 s0, s0
	s_wait_alu 0xf1ff
	v_ldexp_f32 v7, s0, s10
	s_cselect_b32 s0, -1, 0
	s_cmp_ngt_f32 s9, 0x42b17218
	s_wait_alu 0xfffe
	s_delay_alu instid0(VALU_DEP_1) | instskip(SKIP_3) | instid1(VALU_DEP_1)
	v_cndmask_b32_e64 v7, 0, v7, s0
	s_cselect_b32 s0, -1, 0
	s_cmp_ge_f32 s9, 0xc1a00000
	s_wait_alu 0xfffe
	v_cndmask_b32_e64 v7, 0x7f800000, v7, s0
	s_cselect_b32 s0, -1, 0
	s_add_co_i32 s1, s1, -1
	s_sub_co_i32 s4, s4, 64
	s_wait_alu 0xfffe
	s_cmp_le_i32 s1, s8
	v_cndmask_b32_e64 v7, 0, v7, s0
	s_mov_b32 s0, s5
	s_wait_loadcnt 0x0
	s_delay_alu instid0(VALU_DEP_1) | instskip(NEXT) | instid1(VALU_DEP_1)
	v_dual_mul_f32 v5, v0, v7 :: v_dual_cndmask_b32 v4, 0, v4
	v_dual_mul_f32 v8, s11, v7 :: v_dual_fmac_f32 v5, v9, v4
	s_delay_alu instid0(VALU_DEP_1) | instskip(NEXT) | instid1(VALU_DEP_1)
	v_mov_b32_e32 v6, v8
	v_fmac_f32_e32 v6, v10, v4
	s_cbranch_scc0 .LBB31_3
	s_branch .LBB31_5
.LBB31_4:
	s_wait_kmcnt 0x0
	v_mov_b32_e32 v6, s11
.LBB31_5:
	s_wait_loadcnt 0x0
	s_delay_alu instid0(VALU_DEP_1) | instskip(NEXT) | instid1(VALU_DEP_1)
	v_div_scale_f32 v0, null, v6, v6, v5
	v_rcp_f32_e32 v3, v0
	s_delay_alu instid0(TRANS32_DEP_1) | instskip(NEXT) | instid1(VALU_DEP_1)
	v_fma_f32 v4, -v0, v3, 1.0
	v_fmac_f32_e32 v3, v4, v3
	v_div_scale_f32 v4, vcc_lo, v5, v6, v5
	s_delay_alu instid0(VALU_DEP_1) | instskip(NEXT) | instid1(VALU_DEP_1)
	v_mul_f32_e32 v7, v4, v3
	v_fma_f32 v8, -v0, v7, v4
	s_delay_alu instid0(VALU_DEP_1) | instskip(NEXT) | instid1(VALU_DEP_1)
	v_fmac_f32_e32 v7, v8, v3
	v_fma_f32 v0, -v0, v7, v4
	s_wait_alu 0xfffd
	s_delay_alu instid0(VALU_DEP_1) | instskip(NEXT) | instid1(VALU_DEP_1)
	v_div_fmas_f32 v0, v0, v3, v7
	v_div_fixup_f32 v0, v0, v6, v5
	global_store_b32 v[1:2], v0, off
.LBB31_6:
	s_endpgm
	.section	.rodata,"a",@progbits
	.p2align	6, 0x0
	.amdhsa_kernel _ZL33flash_attn_stream_k_fixup_uniformILi256ELi32ELi2EEvPfPK15HIP_vector_typeIfLj2EEiiiiiiS1_IjLj3EES5_S5_
		.amdhsa_group_segment_fixed_size 0
		.amdhsa_private_segment_fixed_size 0
		.amdhsa_kernarg_size 76
		.amdhsa_user_sgpr_count 2
		.amdhsa_user_sgpr_dispatch_ptr 0
		.amdhsa_user_sgpr_queue_ptr 0
		.amdhsa_user_sgpr_kernarg_segment_ptr 1
		.amdhsa_user_sgpr_dispatch_id 0
		.amdhsa_user_sgpr_private_segment_size 0
		.amdhsa_wavefront_size32 1
		.amdhsa_uses_dynamic_stack 0
		.amdhsa_enable_private_segment 0
		.amdhsa_system_sgpr_workgroup_id_x 1
		.amdhsa_system_sgpr_workgroup_id_y 1
		.amdhsa_system_sgpr_workgroup_id_z 1
		.amdhsa_system_sgpr_workgroup_info 0
		.amdhsa_system_vgpr_workitem_id 0
		.amdhsa_next_free_vgpr 11
		.amdhsa_next_free_sgpr 16
		.amdhsa_reserve_vcc 1
		.amdhsa_float_round_mode_32 0
		.amdhsa_float_round_mode_16_64 0
		.amdhsa_float_denorm_mode_32 3
		.amdhsa_float_denorm_mode_16_64 3
		.amdhsa_fp16_overflow 0
		.amdhsa_workgroup_processor_mode 1
		.amdhsa_memory_ordered 1
		.amdhsa_forward_progress 1
		.amdhsa_inst_pref_size 9
		.amdhsa_round_robin_scheduling 0
		.amdhsa_exception_fp_ieee_invalid_op 0
		.amdhsa_exception_fp_denorm_src 0
		.amdhsa_exception_fp_ieee_div_zero 0
		.amdhsa_exception_fp_ieee_overflow 0
		.amdhsa_exception_fp_ieee_underflow 0
		.amdhsa_exception_fp_ieee_inexact 0
		.amdhsa_exception_int_div_zero 0
	.end_amdhsa_kernel
	.section	.text._ZL33flash_attn_stream_k_fixup_uniformILi256ELi32ELi2EEvPfPK15HIP_vector_typeIfLj2EEiiiiiiS1_IjLj3EES5_S5_,"axG",@progbits,_ZL33flash_attn_stream_k_fixup_uniformILi256ELi32ELi2EEvPfPK15HIP_vector_typeIfLj2EEiiiiiiS1_IjLj3EES5_S5_,comdat
.Lfunc_end31:
	.size	_ZL33flash_attn_stream_k_fixup_uniformILi256ELi32ELi2EEvPfPK15HIP_vector_typeIfLj2EEiiiiiiS1_IjLj3EES5_S5_, .Lfunc_end31-_ZL33flash_attn_stream_k_fixup_uniformILi256ELi32ELi2EEvPfPK15HIP_vector_typeIfLj2EEiiiiiiS1_IjLj3EES5_S5_
                                        ; -- End function
	.set _ZL33flash_attn_stream_k_fixup_uniformILi256ELi32ELi2EEvPfPK15HIP_vector_typeIfLj2EEiiiiiiS1_IjLj3EES5_S5_.num_vgpr, 11
	.set _ZL33flash_attn_stream_k_fixup_uniformILi256ELi32ELi2EEvPfPK15HIP_vector_typeIfLj2EEiiiiiiS1_IjLj3EES5_S5_.num_agpr, 0
	.set _ZL33flash_attn_stream_k_fixup_uniformILi256ELi32ELi2EEvPfPK15HIP_vector_typeIfLj2EEiiiiiiS1_IjLj3EES5_S5_.numbered_sgpr, 16
	.set _ZL33flash_attn_stream_k_fixup_uniformILi256ELi32ELi2EEvPfPK15HIP_vector_typeIfLj2EEiiiiiiS1_IjLj3EES5_S5_.num_named_barrier, 0
	.set _ZL33flash_attn_stream_k_fixup_uniformILi256ELi32ELi2EEvPfPK15HIP_vector_typeIfLj2EEiiiiiiS1_IjLj3EES5_S5_.private_seg_size, 0
	.set _ZL33flash_attn_stream_k_fixup_uniformILi256ELi32ELi2EEvPfPK15HIP_vector_typeIfLj2EEiiiiiiS1_IjLj3EES5_S5_.uses_vcc, 1
	.set _ZL33flash_attn_stream_k_fixup_uniformILi256ELi32ELi2EEvPfPK15HIP_vector_typeIfLj2EEiiiiiiS1_IjLj3EES5_S5_.uses_flat_scratch, 0
	.set _ZL33flash_attn_stream_k_fixup_uniformILi256ELi32ELi2EEvPfPK15HIP_vector_typeIfLj2EEiiiiiiS1_IjLj3EES5_S5_.has_dyn_sized_stack, 0
	.set _ZL33flash_attn_stream_k_fixup_uniformILi256ELi32ELi2EEvPfPK15HIP_vector_typeIfLj2EEiiiiiiS1_IjLj3EES5_S5_.has_recursion, 0
	.set _ZL33flash_attn_stream_k_fixup_uniformILi256ELi32ELi2EEvPfPK15HIP_vector_typeIfLj2EEiiiiiiS1_IjLj3EES5_S5_.has_indirect_call, 0
	.section	.AMDGPU.csdata,"",@progbits
; Kernel info:
; codeLenInByte = 1140
; TotalNumSgprs: 18
; NumVgprs: 11
; ScratchSize: 0
; MemoryBound: 0
; FloatMode: 240
; IeeeMode: 1
; LDSByteSize: 0 bytes/workgroup (compile time only)
; SGPRBlocks: 0
; VGPRBlocks: 1
; NumSGPRsForWavesPerEU: 18
; NumVGPRsForWavesPerEU: 11
; Occupancy: 16
; WaveLimiterHint : 0
; COMPUTE_PGM_RSRC2:SCRATCH_EN: 0
; COMPUTE_PGM_RSRC2:USER_SGPR: 2
; COMPUTE_PGM_RSRC2:TRAP_HANDLER: 0
; COMPUTE_PGM_RSRC2:TGID_X_EN: 1
; COMPUTE_PGM_RSRC2:TGID_Y_EN: 1
; COMPUTE_PGM_RSRC2:TGID_Z_EN: 1
; COMPUTE_PGM_RSRC2:TIDIG_COMP_CNT: 0
	.section	.text._ZL33flash_attn_stream_k_fixup_generalILi256ELi32ELi2EEvPfPK15HIP_vector_typeIfLj2EEiiiiS1_IjLj3EES5_S5_S5_,"axG",@progbits,_ZL33flash_attn_stream_k_fixup_generalILi256ELi32ELi2EEvPfPK15HIP_vector_typeIfLj2EEiiiiS1_IjLj3EES5_S5_S5_,comdat
	.globl	_ZL33flash_attn_stream_k_fixup_generalILi256ELi32ELi2EEvPfPK15HIP_vector_typeIfLj2EEiiiiS1_IjLj3EES5_S5_S5_ ; -- Begin function _ZL33flash_attn_stream_k_fixup_generalILi256ELi32ELi2EEvPfPK15HIP_vector_typeIfLj2EEiiiiS1_IjLj3EES5_S5_S5_
	.p2align	8
	.type	_ZL33flash_attn_stream_k_fixup_generalILi256ELi32ELi2EEvPfPK15HIP_vector_typeIfLj2EEiiiiS1_IjLj3EES5_S5_S5_,@function
_ZL33flash_attn_stream_k_fixup_generalILi256ELi32ELi2EEvPfPK15HIP_vector_typeIfLj2EEiiiiS1_IjLj3EES5_S5_S5_: ; @_ZL33flash_attn_stream_k_fixup_generalILi256ELi32ELi2EEvPfPK15HIP_vector_typeIfLj2EEiiiiS1_IjLj3EES5_S5_S5_
; %bb.0:
	s_clause 0x1
	s_load_b128 s[4:7], s[0:1], 0x10
	s_load_b32 s16, s[0:1], 0x50
	s_mov_b32 s2, ttmp9
	s_ashr_i32 s3, ttmp9, 31
	s_mov_b32 s17, 0
	s_delay_alu instid0(SALU_CYCLE_1) | instskip(SKIP_3) | instid1(SALU_CYCLE_1)
	s_mov_b32 s8, s17
	s_wait_kmcnt 0x0
	s_ashr_i32 s19, s7, 31
	s_mov_b32 s18, s7
	s_mul_u64 s[2:3], s[18:19], s[2:3]
	s_delay_alu instid0(SALU_CYCLE_1) | instskip(NEXT) | instid1(SALU_CYCLE_1)
	s_mov_b32 s9, s3
	s_cmp_lg_u64 s[8:9], 0
	s_cbranch_scc0 .LBB32_21
; %bb.1:
	s_add_nc_u64 s[8:9], s[16:17], 0
	s_mov_b32 s15, s17
	s_xor_b64 s[8:9], s[8:9], 0
	s_mov_b32 s23, s17
	s_cvt_f32_u32 s7, s8
	s_cvt_f32_u32 s10, s9
	s_sub_nc_u64 s[12:13], 0, s[8:9]
	s_delay_alu instid0(SALU_CYCLE_2) | instskip(NEXT) | instid1(SALU_CYCLE_3)
	s_fmamk_f32 s7, s10, 0x4f800000, s7
	v_s_rcp_f32 s7, s7
	s_delay_alu instid0(TRANS32_DEP_1) | instskip(SKIP_1) | instid1(SALU_CYCLE_2)
	s_mul_f32 s7, s7, 0x5f7ffffc
	s_wait_alu 0xfffe
	s_mul_f32 s10, s7, 0x2f800000
	s_delay_alu instid0(SALU_CYCLE_3) | instskip(NEXT) | instid1(SALU_CYCLE_3)
	s_trunc_f32 s10, s10
	s_fmamk_f32 s7, s10, 0xcf800000, s7
	s_cvt_u32_f32 s11, s10
	s_wait_alu 0xfffe
	s_delay_alu instid0(SALU_CYCLE_1) | instskip(NEXT) | instid1(SALU_CYCLE_3)
	s_cvt_u32_f32 s10, s7
	s_mul_u64 s[20:21], s[12:13], s[10:11]
	s_delay_alu instid0(SALU_CYCLE_1)
	s_mul_hi_u32 s25, s10, s21
	s_mul_i32 s24, s10, s21
	s_mul_hi_u32 s14, s10, s20
	s_mul_i32 s22, s11, s20
	s_add_nc_u64 s[14:15], s[14:15], s[24:25]
	s_mul_hi_u32 s7, s11, s20
	s_mul_hi_u32 s26, s11, s21
	s_add_co_u32 s14, s14, s22
	s_wait_alu 0xfffe
	s_add_co_ci_u32 s22, s15, s7
	s_mul_i32 s20, s11, s21
	s_add_co_ci_u32 s21, s26, 0
	s_delay_alu instid0(SALU_CYCLE_1)
	s_add_nc_u64 s[14:15], s[22:23], s[20:21]
	s_mov_b32 s21, s17
	s_add_co_u32 s10, s10, s14
	s_cselect_b32 s7, -1, 0
	s_wait_alu 0xfffe
	s_cmp_lg_u32 s7, 0
	s_add_co_ci_u32 s11, s11, s15
	s_mov_b32 s15, s17
	s_mul_u64 s[12:13], s[12:13], s[10:11]
	s_delay_alu instid0(SALU_CYCLE_1)
	s_mul_hi_u32 s23, s10, s13
	s_mul_i32 s22, s10, s13
	s_mul_hi_u32 s14, s10, s12
	s_mul_i32 s20, s11, s12
	s_add_nc_u64 s[14:15], s[14:15], s[22:23]
	s_mul_hi_u32 s7, s11, s12
	s_mul_hi_u32 s24, s11, s13
	s_mul_i32 s12, s11, s13
	s_add_co_u32 s13, s14, s20
	s_wait_alu 0xfffe
	s_add_co_ci_u32 s20, s15, s7
	s_add_co_ci_u32 s13, s24, 0
	s_mov_b32 s15, s17
	s_add_nc_u64 s[12:13], s[20:21], s[12:13]
	s_delay_alu instid0(SALU_CYCLE_1) | instskip(SKIP_1) | instid1(SALU_CYCLE_1)
	s_add_co_u32 s7, s10, s12
	s_cselect_b32 s10, -1, 0
	s_cmp_lg_u32 s10, 0
	s_add_co_ci_u32 s20, s11, s13
	s_ashr_i32 s10, s3, 31
	s_delay_alu instid0(SALU_CYCLE_1) | instskip(NEXT) | instid1(SALU_CYCLE_1)
	s_mov_b32 s11, s10
	s_add_nc_u64 s[12:13], s[2:3], s[10:11]
	s_delay_alu instid0(SALU_CYCLE_1) | instskip(NEXT) | instid1(SALU_CYCLE_1)
	s_xor_b64 s[12:13], s[12:13], s[10:11]
	s_mul_hi_u32 s23, s12, s20
	s_mul_i32 s22, s12, s20
	s_wait_alu 0xfffe
	s_mul_hi_u32 s14, s12, s7
	s_mul_hi_u32 s24, s13, s7
	s_mul_i32 s7, s13, s7
	s_add_nc_u64 s[14:15], s[14:15], s[22:23]
	s_mul_hi_u32 s3, s13, s20
	s_wait_alu 0xfffe
	s_add_co_u32 s7, s14, s7
	s_mul_i32 s22, s13, s20
	s_add_co_ci_u32 s20, s15, s24
	s_add_co_ci_u32 s23, s3, 0
	s_delay_alu instid0(SALU_CYCLE_1) | instskip(NEXT) | instid1(SALU_CYCLE_1)
	s_add_nc_u64 s[14:15], s[20:21], s[22:23]
	s_mul_u64 s[20:21], s[8:9], s[14:15]
	s_delay_alu instid0(SALU_CYCLE_1)
	s_sub_co_u32 s3, s12, s20
	s_cselect_b32 s7, -1, 0
	s_sub_co_i32 s12, s13, s21
	s_wait_alu 0xfffe
	s_cmp_lg_u32 s7, 0
	s_sub_co_ci_u32 s12, s12, s9
	s_sub_co_u32 s20, s3, s8
	s_cselect_b32 s22, -1, 0
	s_delay_alu instid0(SALU_CYCLE_1) | instskip(SKIP_2) | instid1(SALU_CYCLE_1)
	s_cmp_lg_u32 s22, 0
	s_add_nc_u64 s[22:23], s[14:15], 1
	s_sub_co_ci_u32 s12, s12, 0
	s_cmp_ge_u32 s12, s9
	s_cselect_b32 s24, -1, 0
	s_cmp_ge_u32 s20, s8
	s_cselect_b32 s20, -1, 0
	s_cmp_eq_u32 s12, s9
	s_cselect_b32 s12, s20, s24
	s_add_nc_u64 s[24:25], s[14:15], 2
	s_cmp_lg_u32 s12, 0
	s_cselect_b32 s12, s24, s22
	s_cselect_b32 s20, s25, s23
	s_cmp_lg_u32 s7, 0
	s_sub_co_ci_u32 s7, s13, s21
	s_wait_alu 0xfffe
	s_cmp_ge_u32 s7, s9
	s_cselect_b32 s13, -1, 0
	s_cmp_ge_u32 s3, s8
	s_cselect_b32 s3, -1, 0
	s_cmp_eq_u32 s7, s9
	s_cselect_b32 s3, s3, s13
	s_delay_alu instid0(SALU_CYCLE_1) | instskip(SKIP_4) | instid1(SALU_CYCLE_1)
	s_cmp_lg_u32 s3, 0
	s_mov_b32 s3, s17
	s_cselect_b32 s9, s20, s15
	s_cselect_b32 s8, s12, s14
	s_xor_b64 s[10:11], s[10:11], 0
	s_xor_b64 s[8:9], s[8:9], s[10:11]
	s_delay_alu instid0(SALU_CYCLE_1)
	s_sub_nc_u64 s[20:21], s[8:9], s[10:11]
	s_and_not1_b32 vcc_lo, exec_lo, s3
	s_cbranch_vccnz .LBB32_3
.LBB32_2:
	v_cvt_f32_u32_e32 v1, s16
	s_sub_co_i32 s7, 0, s16
	s_delay_alu instid0(VALU_DEP_1) | instskip(NEXT) | instid1(TRANS32_DEP_1)
	v_rcp_iflag_f32_e32 v1, v1
	v_mul_f32_e32 v1, 0x4f7ffffe, v1
	s_delay_alu instid0(VALU_DEP_1) | instskip(NEXT) | instid1(VALU_DEP_1)
	v_cvt_u32_f32_e32 v1, v1
	v_readfirstlane_b32 s3, v1
	s_wait_alu 0xfffe
	s_mul_i32 s7, s7, s3
	s_wait_alu 0xfffe
	s_mul_hi_u32 s7, s3, s7
	s_wait_alu 0xfffe
	s_add_co_i32 s3, s3, s7
	s_delay_alu instid0(SALU_CYCLE_1) | instskip(NEXT) | instid1(SALU_CYCLE_1)
	s_mul_hi_u32 s3, s2, s3
	s_mul_i32 s7, s3, s16
	s_wait_alu 0xfffe
	s_sub_co_i32 s2, s2, s7
	s_add_co_i32 s7, s3, 1
	s_sub_co_i32 s8, s2, s16
	s_cmp_ge_u32 s2, s16
	s_wait_alu 0xfffe
	s_cselect_b32 s3, s7, s3
	s_cselect_b32 s2, s8, s2
	s_add_co_i32 s7, s3, 1
	s_cmp_ge_u32 s2, s16
	s_wait_alu 0xfffe
	s_cselect_b32 s20, s7, s3
.LBB32_3:
	s_add_co_i32 s2, ttmp9, 1
	s_mov_b32 s8, 0
	s_ashr_i32 s3, s2, 31
	s_delay_alu instid0(SALU_CYCLE_1) | instskip(NEXT) | instid1(SALU_CYCLE_1)
	s_mul_u64 s[2:3], s[18:19], s[2:3]
	s_mov_b32 s9, s3
	s_delay_alu instid0(SALU_CYCLE_1)
	s_cmp_lg_u64 s[8:9], 0
	s_cbranch_scc0 .LBB32_22
; %bb.4:
	s_add_nc_u64 s[10:11], s[16:17], 0
	s_mov_b32 s23, s8
	s_xor_b64 s[10:11], s[10:11], 0
	s_mov_b32 s27, s8
	s_cvt_f32_u32 s7, s10
	s_cvt_f32_u32 s9, s11
	s_sub_nc_u64 s[14:15], 0, s[10:11]
	s_wait_alu 0xfffe
	s_delay_alu instid0(SALU_CYCLE_1) | instskip(SKIP_1) | instid1(SALU_CYCLE_2)
	s_fmamk_f32 s7, s9, 0x4f800000, s7
	s_wait_alu 0xfffe
	v_s_rcp_f32 s7, s7
	s_delay_alu instid0(TRANS32_DEP_1) | instskip(SKIP_1) | instid1(SALU_CYCLE_2)
	s_mul_f32 s7, s7, 0x5f7ffffc
	s_wait_alu 0xfffe
	s_mul_f32 s9, s7, 0x2f800000
	s_delay_alu instid0(SALU_CYCLE_3) | instskip(NEXT) | instid1(SALU_CYCLE_3)
	s_trunc_f32 s9, s9
	s_fmamk_f32 s7, s9, 0xcf800000, s7
	s_cvt_u32_f32 s13, s9
	s_wait_alu 0xfffe
	s_delay_alu instid0(SALU_CYCLE_1) | instskip(NEXT) | instid1(SALU_CYCLE_3)
	s_cvt_u32_f32 s12, s7
	s_mul_u64 s[24:25], s[14:15], s[12:13]
	s_delay_alu instid0(SALU_CYCLE_1)
	s_mul_hi_u32 s29, s12, s25
	s_mul_i32 s28, s12, s25
	s_mul_hi_u32 s22, s12, s24
	s_mul_i32 s9, s13, s24
	s_add_nc_u64 s[22:23], s[22:23], s[28:29]
	s_mul_hi_u32 s7, s13, s24
	s_mul_hi_u32 s21, s13, s25
	s_add_co_u32 s9, s22, s9
	s_wait_alu 0xfffe
	s_add_co_ci_u32 s26, s23, s7
	s_mul_i32 s24, s13, s25
	s_add_co_ci_u32 s25, s21, 0
	s_delay_alu instid0(SALU_CYCLE_1)
	s_add_nc_u64 s[22:23], s[26:27], s[24:25]
	s_mov_b32 s25, s8
	s_add_co_u32 s12, s12, s22
	s_cselect_b32 s7, -1, 0
	s_wait_alu 0xfffe
	s_cmp_lg_u32 s7, 0
	s_add_co_ci_u32 s13, s13, s23
	s_mov_b32 s23, s8
	s_mul_u64 s[14:15], s[14:15], s[12:13]
	s_delay_alu instid0(SALU_CYCLE_1)
	s_mul_hi_u32 s27, s12, s15
	s_mul_i32 s26, s12, s15
	s_mul_hi_u32 s22, s12, s14
	s_mul_i32 s9, s13, s14
	s_add_nc_u64 s[22:23], s[22:23], s[26:27]
	s_mul_hi_u32 s7, s13, s14
	s_mul_hi_u32 s21, s13, s15
	s_add_co_u32 s9, s22, s9
	s_wait_alu 0xfffe
	s_add_co_ci_u32 s24, s23, s7
	s_mul_i32 s14, s13, s15
	s_add_co_ci_u32 s15, s21, 0
	s_mov_b32 s23, s8
	s_add_nc_u64 s[14:15], s[24:25], s[14:15]
	s_delay_alu instid0(SALU_CYCLE_1) | instskip(SKIP_1) | instid1(SALU_CYCLE_1)
	s_add_co_u32 s7, s12, s14
	s_cselect_b32 s9, -1, 0
	s_cmp_lg_u32 s9, 0
	s_add_co_ci_u32 s9, s13, s15
	s_ashr_i32 s12, s3, 31
	s_delay_alu instid0(SALU_CYCLE_1) | instskip(NEXT) | instid1(SALU_CYCLE_1)
	s_mov_b32 s13, s12
	s_add_nc_u64 s[14:15], s[2:3], s[12:13]
	s_delay_alu instid0(SALU_CYCLE_1) | instskip(NEXT) | instid1(SALU_CYCLE_1)
	s_xor_b64 s[14:15], s[14:15], s[12:13]
	s_mul_hi_u32 s27, s14, s9
	s_mul_i32 s26, s14, s9
	s_wait_alu 0xfffe
	s_mul_hi_u32 s22, s14, s7
	s_mul_hi_u32 s21, s15, s7
	s_mul_i32 s7, s15, s7
	s_add_nc_u64 s[22:23], s[22:23], s[26:27]
	s_mul_hi_u32 s3, s15, s9
	s_wait_alu 0xfffe
	s_add_co_u32 s7, s22, s7
	s_add_co_ci_u32 s24, s23, s21
	s_mul_i32 s26, s15, s9
	s_add_co_ci_u32 s27, s3, 0
	s_delay_alu instid0(SALU_CYCLE_1) | instskip(NEXT) | instid1(SALU_CYCLE_1)
	s_add_nc_u64 s[22:23], s[24:25], s[26:27]
	s_mul_u64 s[24:25], s[10:11], s[22:23]
	s_add_nc_u64 s[26:27], s[22:23], 1
	s_sub_co_u32 s3, s14, s24
	s_cselect_b32 s7, -1, 0
	s_sub_co_i32 s9, s15, s25
	s_wait_alu 0xfffe
	s_cmp_lg_u32 s7, 0
	s_add_nc_u64 s[28:29], s[22:23], 2
	s_sub_co_ci_u32 s9, s9, s11
	s_sub_co_u32 s14, s3, s10
	s_cselect_b32 s21, -1, 0
	s_delay_alu instid0(SALU_CYCLE_1) | instskip(SKIP_1) | instid1(SALU_CYCLE_1)
	s_cmp_lg_u32 s21, 0
	s_sub_co_ci_u32 s9, s9, 0
	s_cmp_ge_u32 s9, s11
	s_cselect_b32 s21, -1, 0
	s_cmp_ge_u32 s14, s10
	s_cselect_b32 s14, -1, 0
	s_cmp_eq_u32 s9, s11
	s_cselect_b32 s9, s14, s21
	s_delay_alu instid0(SALU_CYCLE_1)
	s_cmp_lg_u32 s9, 0
	s_cselect_b32 s9, s28, s26
	s_cselect_b32 s14, s29, s27
	s_cmp_lg_u32 s7, 0
	s_sub_co_ci_u32 s7, s15, s25
	s_wait_alu 0xfffe
	s_cmp_ge_u32 s7, s11
	s_cselect_b32 s15, -1, 0
	s_cmp_ge_u32 s3, s10
	s_cselect_b32 s3, -1, 0
	s_cmp_eq_u32 s7, s11
	s_cselect_b32 s3, s3, s15
	s_delay_alu instid0(SALU_CYCLE_1) | instskip(SKIP_3) | instid1(SALU_CYCLE_1)
	s_cmp_lg_u32 s3, 0
	s_cselect_b32 s11, s14, s23
	s_cselect_b32 s10, s9, s22
	s_xor_b64 s[12:13], s[12:13], 0
	s_xor_b64 s[10:11], s[10:11], s[12:13]
	s_delay_alu instid0(SALU_CYCLE_1)
	s_sub_nc_u64 s[10:11], s[10:11], s[12:13]
	s_load_b96 s[12:14], s[0:1], 0x44
	s_and_not1_b32 vcc_lo, exec_lo, s8
	s_cbranch_vccnz .LBB32_6
.LBB32_5:
	v_cvt_f32_u32_e32 v1, s16
	s_sub_co_i32 s7, 0, s16
	s_delay_alu instid0(VALU_DEP_1) | instskip(NEXT) | instid1(TRANS32_DEP_1)
	v_rcp_iflag_f32_e32 v1, v1
	v_mul_f32_e32 v1, 0x4f7ffffe, v1
	s_delay_alu instid0(VALU_DEP_1) | instskip(NEXT) | instid1(VALU_DEP_1)
	v_cvt_u32_f32_e32 v1, v1
	v_readfirstlane_b32 s3, v1
	s_wait_alu 0xfffe
	s_mul_i32 s7, s7, s3
	s_wait_alu 0xfffe
	s_mul_hi_u32 s7, s3, s7
	s_wait_alu 0xfffe
	s_add_co_i32 s3, s3, s7
	s_delay_alu instid0(SALU_CYCLE_1) | instskip(NEXT) | instid1(SALU_CYCLE_1)
	s_mul_hi_u32 s3, s2, s3
	s_mul_i32 s7, s3, s16
	s_wait_alu 0xfffe
	s_sub_co_i32 s2, s2, s7
	s_add_co_i32 s7, s3, 1
	s_sub_co_i32 s8, s2, s16
	s_cmp_ge_u32 s2, s16
	s_wait_alu 0xfffe
	s_cselect_b32 s3, s7, s3
	s_cselect_b32 s2, s8, s2
	s_add_co_i32 s7, s3, 1
	s_cmp_ge_u32 s2, s16
	s_wait_alu 0xfffe
	s_cselect_b32 s10, s7, s3
.LBB32_6:
	s_mov_b32 s21, 0
	s_wait_kmcnt 0x0
	s_mov_b32 s22, s12
	s_mov_b32 s23, s21
	s_cmp_eq_u32 s20, s10
	s_mul_u64 s[2:3], s[20:21], s[22:23]
	s_cselect_b32 s7, -1, 0
	s_add_co_i32 s2, s3, s20
	s_mov_b32 s11, s21
	s_lshr_b32 s12, s2, s13
	s_mul_u64 s[2:3], s[10:11], s[22:23]
	s_mul_i32 s2, s12, s14
	s_delay_alu instid0(SALU_CYCLE_1) | instskip(SKIP_2) | instid1(SALU_CYCLE_1)
	s_cmp_eq_u32 s2, s20
	s_cselect_b32 s2, -1, 0
	s_add_co_i32 s3, s3, s10
	s_lshr_b32 s3, s3, s13
	s_delay_alu instid0(SALU_CYCLE_1)
	s_cmp_eq_u32 s12, s3
	s_mul_i32 s3, s3, s14
	s_cselect_b32 s8, -1, 0
	s_cmp_lg_u32 s3, s10
	s_cselect_b32 s3, -1, 0
	s_wait_alu 0xfffe
	s_or_b32 s2, s7, s2
	s_and_b32 s3, s8, s3
	s_delay_alu instid0(SALU_CYCLE_1) | instskip(NEXT) | instid1(SALU_CYCLE_1)
	s_or_b32 s2, s2, s3
	s_and_b32 vcc_lo, exec_lo, s2
	s_cbranch_vccnz .LBB32_24
; %bb.7:
	s_load_b256 s[24:31], s[0:1], 0x20
	s_mov_b32 s3, s21
	s_wait_kmcnt 0x0
	s_mov_b32 s2, s24
	s_delay_alu instid0(SALU_CYCLE_1) | instskip(NEXT) | instid1(SALU_CYCLE_1)
	s_mul_u64 s[2:3], s[20:21], s[2:3]
	s_add_co_i32 s2, s3, s20
	s_delay_alu instid0(SALU_CYCLE_1) | instskip(SKIP_2) | instid1(SALU_CYCLE_1)
	s_lshr_b32 s7, s2, s25
	s_load_b32 s2, s[0:1], 0x40
	s_mul_i32 s3, s7, s26
	s_sub_co_i32 s3, s20, s3
	s_delay_alu instid0(SALU_CYCLE_1) | instskip(NEXT) | instid1(SALU_CYCLE_1)
	s_mul_hi_u32 s8, s3, s27
	s_add_co_i32 s8, s3, s8
	s_delay_alu instid0(SALU_CYCLE_1) | instskip(NEXT) | instid1(SALU_CYCLE_1)
	s_lshr_b32 s8, s8, s28
	s_mul_i32 s9, s8, s29
	s_delay_alu instid0(SALU_CYCLE_1) | instskip(NEXT) | instid1(SALU_CYCLE_1)
	s_sub_co_i32 s9, s3, s9
	s_mul_hi_u32 s3, s9, s30
	s_delay_alu instid0(SALU_CYCLE_1) | instskip(NEXT) | instid1(SALU_CYCLE_1)
	s_add_co_i32 s3, s9, s3
	s_lshr_b32 s24, s3, s31
	s_mov_b32 s3, s21
	s_wait_kmcnt 0x0
	s_mul_i32 s2, s24, s2
	s_lshl_b32 s21, s24, 1
	s_sub_co_i32 s2, s9, s2
	s_delay_alu instid0(SALU_CYCLE_1) | instskip(SKIP_2) | instid1(SALU_CYCLE_1)
	s_mul_u64 s[10:11], s[2:3], s[22:23]
	s_lshr_b32 s3, ttmp7, 16
	s_add_co_i32 s2, s2, s11
	s_lshr_b32 s15, s2, s13
	s_and_b32 s2, ttmp7, 0xffff
	s_lshl_b32 s9, s15, 5
	s_delay_alu instid0(SALU_CYCLE_1) | instskip(NEXT) | instid1(SALU_CYCLE_1)
	s_add_co_i32 s9, s9, s2
	s_cmp_lt_i32 s9, s4
	s_cselect_b32 s9, -1, 0
	s_add_co_i32 s10, s21, s3
	s_delay_alu instid0(SALU_CYCLE_1) | instskip(SKIP_1) | instid1(SALU_CYCLE_1)
	s_cmp_lt_i32 s10, s6
	s_cselect_b32 s10, -1, 0
	s_and_b32 s9, s9, s10
	s_delay_alu instid0(SALU_CYCLE_1)
	s_and_not1_b32 vcc_lo, exec_lo, s9
	s_cbranch_vccnz .LBB32_24
; %bb.8:
	s_mul_i32 s4, s7, s4
	s_mul_i32 s6, s8, s6
	s_add_co_i32 s4, s4, s2
	s_load_b128 s[8:11], s[0:1], 0x0
	s_mul_i32 s4, s4, s5
	s_mul_i32 s1, s5, s15
	s_add_co_i32 s4, s4, s3
	s_lshl_b32 s1, s1, 13
	s_add_co_i32 s0, s4, s6
	s_lshl_b32 s15, s2, 1
	s_add_co_i32 s0, s0, s21
	s_add_co_i32 s15, s15, s3
	s_lshl_b32 s0, s0, 8
	v_cvt_f32_u32_e32 v4, s16
	s_add_co_i32 s1, s1, s0
	s_add_co_i32 s34, ttmp9, -1
	v_or_b32_e32 v1, s1, v0
	s_add_nc_u64 s[0:1], s[16:17], 0
	v_rcp_iflag_f32_e32 v4, v4
	s_wait_alu 0xfffe
	s_xor_b64 s[6:7], s[0:1], 0
	s_lshl_b32 s0, ttmp9, 6
	v_ashrrev_i32_e32 v2, 31, v1
	s_wait_alu 0xfffe
	s_cvt_f32_u32 s1, s6
	s_cvt_f32_u32 s2, s7
	s_add_co_i32 s0, s15, s0
	v_lshl_or_b32 v0, s15, 8, v0
	v_lshlrev_b64_e32 v[1:2], 2, v[1:2]
	s_wait_alu 0xfffe
	s_fmamk_f32 s2, s2, 0x4f800000, s1
	s_ashr_i32 s1, s0, 31
	s_sub_nc_u64 s[30:31], 0, s[6:7]
	s_wait_alu 0xfffe
	s_lshl_b64 s[0:1], s[0:1], 3
	v_s_rcp_f32 s2, s2
	s_wait_kmcnt 0x0
	v_add_co_u32 v1, vcc_lo, s8, v1
	s_delay_alu instid0(VALU_DEP_1)
	v_add_co_ci_u32_e64 v2, null, s9, v2, vcc_lo
	s_wait_alu 0xfffe
	s_add_nc_u64 s[0:1], s[10:11], s[0:1]
	s_mov_b32 s8, 0
	s_load_b64 s[26:27], s[0:1], 0x0
	global_load_b32 v3, v[1:2], off
	s_mul_f32 s2, s2, 0x5f7ffffc
	v_mul_f32_e32 v4, 0x4f7ffffe, v4
	s_lshl_b32 s0, s16, 8
	s_wait_alu 0xfffe
	s_mul_f32 s1, s2, 0x2f800000
	s_wait_alu 0xfffe
	s_delay_alu instid0(SALU_CYCLE_2)
	s_trunc_f32 s3, s1
	s_mov_b32 s1, s8
	s_wait_alu 0xfffe
	s_lshl_b64 s[0:1], s[0:1], 2
	s_fmamk_f32 s2, s3, 0xcf800000, s2
	s_cvt_u32_f32 s29, s3
	s_wait_alu 0xfffe
	s_add_nc_u64 s[24:25], s[10:11], s[0:1]
	s_cvt_u32_f32 s28, s2
	s_wait_kmcnt 0x0
	v_mov_b32_e32 v5, s27
	v_cvt_u32_f32_e32 v4, v4
.LBB32_9:                               ; =>This Inner Loop Header: Depth=1
	s_wait_alu 0xfffe
	s_ashr_i32 s35, s34, 31
	s_mov_b32 s2, -1
	s_wait_alu 0xfffe
	s_mul_u64 s[0:1], s[34:35], s[18:19]
                                        ; implicit-def: $sgpr38_sgpr39
	s_wait_alu 0xfffe
	s_mov_b32 s9, s1
	s_wait_alu 0xfffe
	s_cmp_lg_u64 s[8:9], 0
	s_cbranch_scc0 .LBB32_11
; %bb.10:                               ;   in Loop: Header=BB32_9 Depth=1
	s_mul_u64 s[2:3], s[30:31], s[28:29]
	s_mov_b32 s37, s8
	s_wait_alu 0xfffe
	s_mul_hi_u32 s5, s28, s3
	s_mul_i32 s4, s28, s3
	s_mul_hi_u32 s36, s28, s2
	s_mul_hi_u32 s9, s29, s2
	s_wait_alu 0xfffe
	s_add_nc_u64 s[4:5], s[36:37], s[4:5]
	s_mul_i32 s2, s29, s2
	s_mul_hi_u32 s17, s29, s3
	s_wait_alu 0xfffe
	s_add_co_u32 s2, s4, s2
	s_add_co_ci_u32 s2, s5, s9
	s_add_co_ci_u32 s5, s17, 0
	s_mul_i32 s4, s29, s3
	s_mov_b32 s3, s8
	s_mov_b32 s39, s8
	s_wait_alu 0xfffe
	s_add_nc_u64 s[2:3], s[2:3], s[4:5]
	s_wait_alu 0xfffe
	s_add_co_u32 s2, s28, s2
	s_cselect_b32 s4, -1, 0
	s_wait_alu 0xfffe
	s_cmp_lg_u32 s4, 0
	s_add_co_ci_u32 s3, s29, s3
	s_wait_alu 0xfffe
	s_mul_u64 s[4:5], s[30:31], s[2:3]
	s_wait_alu 0xfffe
	s_mul_hi_u32 s37, s2, s5
	s_mul_i32 s36, s2, s5
	s_mul_hi_u32 s38, s2, s4
	s_mul_hi_u32 s9, s3, s4
	s_mul_i32 s4, s3, s4
	s_wait_alu 0xfffe
	s_add_nc_u64 s[36:37], s[38:39], s[36:37]
	s_mul_hi_u32 s17, s3, s5
	s_wait_alu 0xfffe
	s_add_co_u32 s4, s36, s4
	s_add_co_ci_u32 s4, s37, s9
	s_add_co_ci_u32 s37, s17, 0
	s_mul_i32 s36, s3, s5
	s_mov_b32 s5, s8
	s_wait_alu 0xfffe
	s_add_nc_u64 s[4:5], s[4:5], s[36:37]
	s_mov_b32 s37, s8
	s_wait_alu 0xfffe
	s_add_co_u32 s9, s2, s4
	s_cselect_b32 s2, -1, 0
	s_wait_alu 0xfffe
	s_cmp_lg_u32 s2, 0
	s_add_co_ci_u32 s17, s3, s5
	s_ashr_i32 s2, s1, 31
	s_wait_alu 0xfffe
	s_mov_b32 s3, s2
	s_wait_alu 0xfffe
	s_add_nc_u64 s[4:5], s[0:1], s[2:3]
	s_wait_alu 0xfffe
	s_xor_b64 s[4:5], s[4:5], s[2:3]
	s_wait_alu 0xfffe
	s_mul_hi_u32 s39, s4, s17
	s_mul_i32 s38, s4, s17
	s_mul_hi_u32 s36, s4, s9
	s_mul_i32 s21, s5, s9
	s_wait_alu 0xfffe
	s_add_nc_u64 s[36:37], s[36:37], s[38:39]
	s_mul_hi_u32 s9, s5, s9
	s_mul_hi_u32 s1, s5, s17
	s_wait_alu 0xfffe
	s_add_co_u32 s21, s36, s21
	s_add_co_ci_u32 s36, s37, s9
	s_add_co_ci_u32 s39, s1, 0
	s_mul_i32 s38, s5, s17
	s_mov_b32 s37, s8
	s_wait_alu 0xfffe
	s_add_nc_u64 s[36:37], s[36:37], s[38:39]
	s_wait_alu 0xfffe
	s_mul_u64 s[38:39], s[6:7], s[36:37]
	s_add_nc_u64 s[40:41], s[36:37], 1
	s_sub_co_u32 s1, s4, s38
	s_cselect_b32 s4, -1, 0
	s_sub_co_i32 s9, s5, s39
	s_wait_alu 0xfffe
	s_cmp_lg_u32 s4, 0
	s_add_nc_u64 s[42:43], s[36:37], 2
	s_sub_co_ci_u32 s9, s9, s7
	s_sub_co_u32 s17, s1, s6
	s_cselect_b32 s21, -1, 0
	s_delay_alu instid0(SALU_CYCLE_1)
	s_cmp_lg_u32 s21, 0
	s_wait_alu 0xfffe
	s_sub_co_ci_u32 s9, s9, 0
	s_wait_alu 0xfffe
	s_cmp_ge_u32 s9, s7
	s_cselect_b32 s21, -1, 0
	s_cmp_ge_u32 s17, s6
	s_cselect_b32 s17, -1, 0
	s_cmp_eq_u32 s9, s7
	s_wait_alu 0xfffe
	s_cselect_b32 s9, s17, s21
	s_wait_alu 0xfffe
	s_cmp_lg_u32 s9, 0
	s_cselect_b32 s9, s42, s40
	s_cselect_b32 s17, s43, s41
	s_cmp_lg_u32 s4, 0
	s_sub_co_ci_u32 s4, s5, s39
	s_wait_alu 0xfffe
	s_cmp_ge_u32 s4, s7
	s_cselect_b32 s5, -1, 0
	s_cmp_ge_u32 s1, s6
	s_cselect_b32 s1, -1, 0
	s_cmp_eq_u32 s4, s7
	s_wait_alu 0xfffe
	s_cselect_b32 s1, s1, s5
	s_wait_alu 0xfffe
	s_cmp_lg_u32 s1, 0
	s_cselect_b32 s5, s17, s37
	s_cselect_b32 s4, s9, s36
	s_xor_b64 s[2:3], s[2:3], 0
	s_wait_alu 0xfffe
	s_xor_b64 s[4:5], s[4:5], s[2:3]
	s_wait_alu 0xfffe
	s_sub_nc_u64 s[38:39], s[4:5], s[2:3]
	s_mov_b32 s2, 0
.LBB32_11:                              ;   in Loop: Header=BB32_9 Depth=1
	s_wait_alu 0xfffe
	s_and_not1_b32 vcc_lo, exec_lo, s2
	s_wait_alu 0xfffe
	s_cbranch_vccnz .LBB32_13
; %bb.12:                               ;   in Loop: Header=BB32_9 Depth=1
	v_readfirstlane_b32 s1, v4
	s_sub_co_i32 s2, 0, s16
	s_wait_alu 0xfffe
	s_mul_i32 s2, s2, s1
	s_wait_alu 0xfffe
	s_mul_hi_u32 s2, s1, s2
	s_wait_alu 0xfffe
	s_add_co_i32 s1, s1, s2
	s_wait_alu 0xfffe
	s_mul_hi_u32 s1, s0, s1
	s_wait_alu 0xfffe
	s_mul_i32 s2, s1, s16
	s_wait_alu 0xfffe
	s_sub_co_i32 s0, s0, s2
	s_add_co_i32 s2, s1, 1
	s_wait_alu 0xfffe
	s_sub_co_i32 s3, s0, s16
	s_cmp_ge_u32 s0, s16
	s_cselect_b32 s1, s2, s1
	s_wait_alu 0xfffe
	s_cselect_b32 s0, s3, s0
	s_add_co_i32 s2, s1, 1
	s_wait_alu 0xfffe
	s_cmp_ge_u32 s0, s16
	s_cselect_b32 s38, s2, s1
.LBB32_13:                              ;   in Loop: Header=BB32_9 Depth=1
	v_readfirstlane_b32 s9, v0
	s_cmp_lg_u32 s20, s38
	s_mov_b32 s0, -1
                                        ; implicit-def: $sgpr21
                                        ; implicit-def: $vgpr6
                                        ; implicit-def: $vgpr7
                                        ; implicit-def: $sgpr17
                                        ; implicit-def: $sgpr27
	s_cbranch_scc1 .LBB32_16
; %bb.14:                               ;   in Loop: Header=BB32_9 Depth=1
	s_wait_alu 0xfffe
	s_and_not1_b32 vcc_lo, exec_lo, s0
	s_wait_alu 0xfffe
	s_cbranch_vccz .LBB32_19
.LBB32_15:                              ;   in Loop: Header=BB32_9 Depth=1
	s_and_not1_b32 vcc_lo, exec_lo, s21
	s_wait_alu 0xfffe
	s_cbranch_vccnz .LBB32_20
	s_branch .LBB32_23
.LBB32_16:                              ;   in Loop: Header=BB32_9 Depth=1
	s_add_co_i32 s0, s34, s16
	s_mov_b32 s1, s8
	s_wait_alu 0xfffe
	s_lshl_b32 s0, s0, 6
	v_max_num_f32_e64 v6, s26, s26
	s_wait_alu 0xfffe
	s_add_co_i32 s0, s0, s15
	s_mov_b32 s39, s8
	s_wait_alu 0xfffe
	s_lshl_b64 s[0:1], s[0:1], 3
	s_mul_u64 s[40:41], s[38:39], s[22:23]
	s_wait_alu 0xfffe
	s_add_nc_u64 s[0:1], s[10:11], s[0:1]
	s_mov_b32 s27, s20
	s_load_b64 s[36:37], s[0:1], 0x0
	v_readfirstlane_b32 s0, v6
	s_wait_kmcnt 0x0
	v_max_num_f32_e64 v7, s36, s36
	s_delay_alu instid0(VALU_DEP_1) | instskip(SKIP_2) | instid1(SALU_CYCLE_2)
	v_readfirstlane_b32 s1, v7
	s_max_num_f32 s9, s0, s1
	s_wait_alu 0xfffe
	s_sub_f32 s33, s26, s9
	s_sub_f32 s35, s36, s9
	s_wait_alu 0xfffe
	s_delay_alu instid0(SALU_CYCLE_1)
	s_cmp_nlt_f32 s33, 0xc2ce8ed0
	s_cselect_b32 s0, -1, 0
	s_cmp_ngt_f32 s33, 0x42b17218
	s_cselect_b32 s1, -1, 0
	s_cmp_ge_f32 s33, 0xc1a00000
	s_cselect_b32 s2, -1, 0
	s_cmp_nlt_f32 s35, 0xc2ce8ed0
	s_cselect_b32 s3, -1, 0
	s_cmp_ngt_f32 s35, 0x42b17218
	s_cselect_b32 s4, -1, 0
	s_cmp_ge_f32 s35, 0xc1a00000
	s_cselect_b32 s5, -1, 0
	s_add_co_i32 s17, s41, s38
	s_wait_alu 0xfffe
	s_lshr_b32 s17, s17, s13
	s_wait_alu 0xfffe
	s_mul_i32 s21, s17, s14
	s_delay_alu instid0(SALU_CYCLE_1)
	s_cmp_eq_u32 s21, s38
	s_cselect_b32 s21, -1, 0
	s_cmp_lt_u32 s17, s12
	s_cselect_b32 s17, -1, 0
	s_wait_alu 0xfffe
	s_or_b32 s17, s17, s21
	s_mov_b32 s21, -1
	s_wait_alu 0xfffe
	s_and_b32 vcc_lo, exec_lo, s17
	s_mov_b32 s17, s34
	s_wait_alu 0xfffe
	s_cbranch_vccnz .LBB32_18
; %bb.17:                               ;   in Loop: Header=BB32_9 Depth=1
	s_add_co_i32 s17, s34, -1
	s_mov_b32 s21, 0
	s_mov_b32 s27, s38
.LBB32_18:                              ;   in Loop: Header=BB32_9 Depth=1
	v_lshl_add_u32 v6, s34, 14, v0
	s_mul_f32 s36, s35, 0x3fb8aa3b
	s_mul_f32 s38, s33, 0x3fb8aa3b
	s_wait_alu 0xfffe
	s_delay_alu instid0(SALU_CYCLE_1)
	s_xor_b32 s39, s36, 0x80000000
	v_ashrrev_i32_e32 v7, 31, v6
	s_rndne_f32 s40, s36
	s_fmamk_f32 s39, s35, 0x3fb8aa3b, s39
	s_xor_b32 s41, s38, 0x80000000
	s_rndne_f32 s42, s38
	v_lshlrev_b64_e32 v[6:7], 2, v[6:7]
	s_sub_f32 s36, s36, s40
	s_fmamk_f32 s35, s35, 0x32a5705f, s39
	s_fmamk_f32 s39, s33, 0x3fb8aa3b, s41
	s_sub_f32 s38, s38, s42
	s_delay_alu instid0(VALU_DEP_1)
	v_add_co_u32 v6, vcc_lo, s24, v6
	s_wait_alu 0xfffd
	v_add_co_ci_u32_e64 v7, null, s25, v7, vcc_lo
	s_wait_alu 0xfffe
	s_add_f32 s35, s36, s35
	s_fmamk_f32 s33, s33, 0x32a5705f, s39
	s_cvt_i32_f32 s36, s40
	global_load_b32 v6, v[6:7], off
	s_wait_alu 0xfffe
	v_s_exp_f32 s35, s35
	s_add_f32 s33, s38, s33
	s_wait_alu 0xfffe
	s_delay_alu instid0(SALU_CYCLE_2) | instskip(NEXT) | instid1(TRANS32_DEP_2)
	v_s_exp_f32 s33, s33
	v_ldexp_f32 v7, s35, s36
	s_cvt_i32_f32 s35, s42
	s_wait_alu 0xf1fe
	s_delay_alu instid0(TRANS32_DEP_1) | instid1(SALU_CYCLE_2)
	v_ldexp_f32 v8, s33, s35
	s_delay_alu instid0(VALU_DEP_2) | instskip(NEXT) | instid1(VALU_DEP_2)
	v_cndmask_b32_e64 v7, 0, v7, s3
	v_cndmask_b32_e64 v8, 0, v8, s0
	s_delay_alu instid0(VALU_DEP_2) | instskip(NEXT) | instid1(VALU_DEP_2)
	v_cndmask_b32_e64 v7, 0x7f800000, v7, s4
	v_cndmask_b32_e64 v8, 0x7f800000, v8, s1
	;; [unrolled: 3-line block ×3, first 2 shown]
	s_wait_loadcnt 0x0
	s_delay_alu instid0(VALU_DEP_2) | instskip(SKIP_1) | instid1(VALU_DEP_1)
	v_mul_f32_e32 v6, v6, v7
	v_mul_f32_e32 v7, s37, v7
	v_fmac_f32_e32 v7, v5, v8
	s_delay_alu instid0(VALU_DEP_3)
	v_fmac_f32_e32 v6, v3, v8
	s_cbranch_execnz .LBB32_15
.LBB32_19:                              ;   in Loop: Header=BB32_9 Depth=1
	s_wait_loadcnt 0x0
	v_dual_mov_b32 v7, v5 :: v_dual_mov_b32 v6, v3
	s_add_co_i32 s17, s34, -1
	s_mov_b32 s27, s20
	s_mov_b32 s9, s26
	s_cbranch_execz .LBB32_23
.LBB32_20:                              ;   in Loop: Header=BB32_9 Depth=1
	v_mov_b32_e32 v5, v7
	s_wait_loadcnt 0x0
	v_mov_b32_e32 v3, v6
	s_wait_alu 0xfffe
	s_mov_b32 s20, s27
	s_mov_b32 s34, s17
	;; [unrolled: 1-line block ×3, first 2 shown]
	s_branch .LBB32_9
.LBB32_21:
                                        ; implicit-def: $sgpr20_sgpr21
	s_branch .LBB32_2
.LBB32_22:
                                        ; implicit-def: $sgpr10_sgpr11
	s_load_b96 s[12:14], s[0:1], 0x44
	s_branch .LBB32_5
.LBB32_23:
	v_div_scale_f32 v0, null, v7, v7, v6
	s_wait_loadcnt 0x0
	s_delay_alu instid0(VALU_DEP_1) | instskip(NEXT) | instid1(TRANS32_DEP_1)
	v_rcp_f32_e32 v3, v0
	v_fma_f32 v4, -v0, v3, 1.0
	s_delay_alu instid0(VALU_DEP_1) | instskip(SKIP_1) | instid1(VALU_DEP_1)
	v_fmac_f32_e32 v3, v4, v3
	v_div_scale_f32 v4, vcc_lo, v6, v7, v6
	v_mul_f32_e32 v5, v4, v3
	s_delay_alu instid0(VALU_DEP_1) | instskip(NEXT) | instid1(VALU_DEP_1)
	v_fma_f32 v8, -v0, v5, v4
	v_fmac_f32_e32 v5, v8, v3
	s_delay_alu instid0(VALU_DEP_1) | instskip(SKIP_1) | instid1(VALU_DEP_1)
	v_fma_f32 v0, -v0, v5, v4
	s_wait_alu 0xfffd
	v_div_fmas_f32 v0, v0, v3, v5
	s_delay_alu instid0(VALU_DEP_1)
	v_div_fixup_f32 v0, v0, v7, v6
	global_store_b32 v[1:2], v0, off
.LBB32_24:
	s_endpgm
	.section	.rodata,"a",@progbits
	.p2align	6, 0x0
	.amdhsa_kernel _ZL33flash_attn_stream_k_fixup_generalILi256ELi32ELi2EEvPfPK15HIP_vector_typeIfLj2EEiiiiS1_IjLj3EES5_S5_S5_
		.amdhsa_group_segment_fixed_size 0
		.amdhsa_private_segment_fixed_size 0
		.amdhsa_kernarg_size 336
		.amdhsa_user_sgpr_count 2
		.amdhsa_user_sgpr_dispatch_ptr 0
		.amdhsa_user_sgpr_queue_ptr 0
		.amdhsa_user_sgpr_kernarg_segment_ptr 1
		.amdhsa_user_sgpr_dispatch_id 0
		.amdhsa_user_sgpr_private_segment_size 0
		.amdhsa_wavefront_size32 1
		.amdhsa_uses_dynamic_stack 0
		.amdhsa_enable_private_segment 0
		.amdhsa_system_sgpr_workgroup_id_x 1
		.amdhsa_system_sgpr_workgroup_id_y 1
		.amdhsa_system_sgpr_workgroup_id_z 1
		.amdhsa_system_sgpr_workgroup_info 0
		.amdhsa_system_vgpr_workitem_id 0
		.amdhsa_next_free_vgpr 9
		.amdhsa_next_free_sgpr 44
		.amdhsa_reserve_vcc 1
		.amdhsa_float_round_mode_32 0
		.amdhsa_float_round_mode_16_64 0
		.amdhsa_float_denorm_mode_32 3
		.amdhsa_float_denorm_mode_16_64 3
		.amdhsa_fp16_overflow 0
		.amdhsa_workgroup_processor_mode 1
		.amdhsa_memory_ordered 1
		.amdhsa_forward_progress 1
		.amdhsa_inst_pref_size 28
		.amdhsa_round_robin_scheduling 0
		.amdhsa_exception_fp_ieee_invalid_op 0
		.amdhsa_exception_fp_denorm_src 0
		.amdhsa_exception_fp_ieee_div_zero 0
		.amdhsa_exception_fp_ieee_overflow 0
		.amdhsa_exception_fp_ieee_underflow 0
		.amdhsa_exception_fp_ieee_inexact 0
		.amdhsa_exception_int_div_zero 0
	.end_amdhsa_kernel
	.section	.text._ZL33flash_attn_stream_k_fixup_generalILi256ELi32ELi2EEvPfPK15HIP_vector_typeIfLj2EEiiiiS1_IjLj3EES5_S5_S5_,"axG",@progbits,_ZL33flash_attn_stream_k_fixup_generalILi256ELi32ELi2EEvPfPK15HIP_vector_typeIfLj2EEiiiiS1_IjLj3EES5_S5_S5_,comdat
.Lfunc_end32:
	.size	_ZL33flash_attn_stream_k_fixup_generalILi256ELi32ELi2EEvPfPK15HIP_vector_typeIfLj2EEiiiiS1_IjLj3EES5_S5_S5_, .Lfunc_end32-_ZL33flash_attn_stream_k_fixup_generalILi256ELi32ELi2EEvPfPK15HIP_vector_typeIfLj2EEiiiiS1_IjLj3EES5_S5_S5_
                                        ; -- End function
	.set _ZL33flash_attn_stream_k_fixup_generalILi256ELi32ELi2EEvPfPK15HIP_vector_typeIfLj2EEiiiiS1_IjLj3EES5_S5_S5_.num_vgpr, 9
	.set _ZL33flash_attn_stream_k_fixup_generalILi256ELi32ELi2EEvPfPK15HIP_vector_typeIfLj2EEiiiiS1_IjLj3EES5_S5_S5_.num_agpr, 0
	.set _ZL33flash_attn_stream_k_fixup_generalILi256ELi32ELi2EEvPfPK15HIP_vector_typeIfLj2EEiiiiS1_IjLj3EES5_S5_S5_.numbered_sgpr, 44
	.set _ZL33flash_attn_stream_k_fixup_generalILi256ELi32ELi2EEvPfPK15HIP_vector_typeIfLj2EEiiiiS1_IjLj3EES5_S5_S5_.num_named_barrier, 0
	.set _ZL33flash_attn_stream_k_fixup_generalILi256ELi32ELi2EEvPfPK15HIP_vector_typeIfLj2EEiiiiS1_IjLj3EES5_S5_S5_.private_seg_size, 0
	.set _ZL33flash_attn_stream_k_fixup_generalILi256ELi32ELi2EEvPfPK15HIP_vector_typeIfLj2EEiiiiS1_IjLj3EES5_S5_S5_.uses_vcc, 1
	.set _ZL33flash_attn_stream_k_fixup_generalILi256ELi32ELi2EEvPfPK15HIP_vector_typeIfLj2EEiiiiS1_IjLj3EES5_S5_S5_.uses_flat_scratch, 0
	.set _ZL33flash_attn_stream_k_fixup_generalILi256ELi32ELi2EEvPfPK15HIP_vector_typeIfLj2EEiiiiS1_IjLj3EES5_S5_S5_.has_dyn_sized_stack, 0
	.set _ZL33flash_attn_stream_k_fixup_generalILi256ELi32ELi2EEvPfPK15HIP_vector_typeIfLj2EEiiiiS1_IjLj3EES5_S5_S5_.has_recursion, 0
	.set _ZL33flash_attn_stream_k_fixup_generalILi256ELi32ELi2EEvPfPK15HIP_vector_typeIfLj2EEiiiiS1_IjLj3EES5_S5_S5_.has_indirect_call, 0
	.section	.AMDGPU.csdata,"",@progbits
; Kernel info:
; codeLenInByte = 3548
; TotalNumSgprs: 46
; NumVgprs: 9
; ScratchSize: 0
; MemoryBound: 0
; FloatMode: 240
; IeeeMode: 1
; LDSByteSize: 0 bytes/workgroup (compile time only)
; SGPRBlocks: 0
; VGPRBlocks: 1
; NumSGPRsForWavesPerEU: 46
; NumVGPRsForWavesPerEU: 9
; Occupancy: 16
; WaveLimiterHint : 0
; COMPUTE_PGM_RSRC2:SCRATCH_EN: 0
; COMPUTE_PGM_RSRC2:USER_SGPR: 2
; COMPUTE_PGM_RSRC2:TRAP_HANDLER: 0
; COMPUTE_PGM_RSRC2:TGID_X_EN: 1
; COMPUTE_PGM_RSRC2:TGID_Y_EN: 1
; COMPUTE_PGM_RSRC2:TGID_Z_EN: 1
; COMPUTE_PGM_RSRC2:TIDIG_COMP_CNT: 0
	.section	.text._ZL26flash_attn_combine_resultsILi256EEvPKfPK15HIP_vector_typeIfLj2EEPfi,"axG",@progbits,_ZL26flash_attn_combine_resultsILi256EEvPKfPK15HIP_vector_typeIfLj2EEPfi,comdat
	.globl	_ZL26flash_attn_combine_resultsILi256EEvPKfPK15HIP_vector_typeIfLj2EEPfi ; -- Begin function _ZL26flash_attn_combine_resultsILi256EEvPKfPK15HIP_vector_typeIfLj2EEPfi
	.p2align	8
	.type	_ZL26flash_attn_combine_resultsILi256EEvPKfPK15HIP_vector_typeIfLj2EEPfi,@function
_ZL26flash_attn_combine_resultsILi256EEvPKfPK15HIP_vector_typeIfLj2EEPfi: ; @_ZL26flash_attn_combine_resultsILi256EEvPKfPK15HIP_vector_typeIfLj2EEPfi
; %bb.0:
	s_clause 0x2
	s_load_b64 s[2:3], s[0:1], 0x20
	s_load_b96 s[8:10], s[0:1], 0x10
	s_load_b128 s[4:7], s[0:1], 0x0
	s_lshr_b32 s0, ttmp7, 16
	v_lshlrev_b32_e32 v5, 2, v0
	s_mov_b32 s12, exec_lo
	s_wait_kmcnt 0x0
	s_mul_i32 s0, s2, s0
	s_and_b32 s2, ttmp7, 0xffff
	s_add_co_i32 s0, s0, ttmp9
	s_lshl_b32 s1, s10, 1
	s_mul_i32 s11, s0, s3
	s_delay_alu instid0(SALU_CYCLE_1) | instskip(NEXT) | instid1(SALU_CYCLE_1)
	s_add_co_i32 s11, s11, s2
	s_mul_i32 s2, s11, s10
	v_cmpx_gt_i32_e64 s1, v0
	s_cbranch_execz .LBB33_3
; %bb.1:
	s_ashr_i32 s3, s2, 31
	v_dual_mov_b32 v4, v0 :: v_dual_add_nc_u32 v3, 0, v5
	s_lshl_b64 s[14:15], s[2:3], 3
	s_mov_b32 s3, 0
	s_add_nc_u64 s[6:7], s[6:7], s[14:15]
	s_delay_alu instid0(SALU_CYCLE_1)
	v_add_co_u32 v1, s0, s6, v5
	s_wait_alu 0xf1ff
	v_add_co_ci_u32_e64 v2, null, s7, 0, s0
.LBB33_2:                               ; =>This Inner Loop Header: Depth=1
	global_load_b32 v6, v[1:2], off
	v_add_nc_u32_e32 v4, 0x100, v4
	v_add_co_u32 v1, vcc_lo, 0x400, v1
	s_wait_alu 0xfffd
	v_add_co_ci_u32_e64 v2, null, 0, v2, vcc_lo
	s_delay_alu instid0(VALU_DEP_3)
	v_cmp_le_i32_e64 s0, s1, v4
	s_or_b32 s3, s0, s3
	s_wait_loadcnt 0x0
	ds_store_b32 v3, v6
	v_add_nc_u32_e32 v3, 0x400, v3
	s_and_not1_b32 exec_lo, exec_lo, s3
	s_cbranch_execnz .LBB33_2
.LBB33_3:
	s_or_b32 exec_lo, exec_lo, s12
	v_mov_b32_e32 v1, 0
	s_wait_dscnt 0x0
	s_barrier_signal -1
	s_barrier_wait -1
	global_inv scope:SCOPE_SE
	ds_load_b32 v6, v1
	s_cmp_lt_i32 s10, 2
	s_cbranch_scc1 .LBB33_11
; %bb.4:
	s_add_co_i32 s1, s10, -2
	s_add_co_i32 s0, s10, -1
	s_wait_alu 0xfffe
	s_cmp_lt_u32 s1, 7
	s_cbranch_scc1 .LBB33_8
; %bb.5:
	s_mov_b32 s3, 0
	s_add_co_i32 s1, 0, 8
	s_and_b32 s6, s0, -8
.LBB33_6:                               ; =>This Inner Loop Header: Depth=1
	s_wait_alu 0xfffe
	v_mov_b32_e32 v9, s1
	s_mov_b32 s7, s3
	s_add_co_i32 s3, s3, 8
	s_add_co_i32 s1, s1, 64
	s_cmp_eq_u32 s6, s3
	ds_load_2addr_b32 v[1:2], v9 offset1:2
	ds_load_2addr_b32 v[3:4], v9 offset0:4 offset1:6
	ds_load_2addr_b32 v[7:8], v9 offset0:8 offset1:10
	;; [unrolled: 1-line block ×3, first 2 shown]
	s_wait_dscnt 0x3
	v_max3_num_f32 v1, v6, v1, v2
	s_wait_dscnt 0x2
	s_delay_alu instid0(VALU_DEP_1) | instskip(SKIP_1) | instid1(VALU_DEP_1)
	v_max3_num_f32 v1, v1, v3, v4
	s_wait_dscnt 0x1
	v_max3_num_f32 v1, v1, v7, v8
	s_wait_dscnt 0x0
	s_delay_alu instid0(VALU_DEP_1)
	v_max3_num_f32 v6, v1, v9, v10
	s_cbranch_scc0 .LBB33_6
; %bb.7:
	s_wait_alu 0xfffe
	s_add_co_i32 s1, s7, 9
	s_and_b32 s0, s0, 7
	s_wait_alu 0xfffe
	s_cmp_eq_u32 s0, 0
	s_cbranch_scc0 .LBB33_9
	s_branch .LBB33_11
.LBB33_8:
	s_mov_b32 s1, 1
	s_and_b32 s0, s0, 7
	s_wait_alu 0xfffe
	s_cmp_eq_u32 s0, 0
	s_cbranch_scc1 .LBB33_11
.LBB33_9:
	s_lshl_b32 s1, s1, 3
	s_wait_alu 0xfffe
	s_add_co_i32 s1, s1, 0
.LBB33_10:                              ; =>This Inner Loop Header: Depth=1
	s_wait_dscnt 0x0
	s_wait_alu 0xfffe
	s_delay_alu instid0(VALU_DEP_1)
	v_dual_mov_b32 v1, s1 :: v_dual_max_num_f32 v2, v6, v6
	s_add_co_i32 s0, s0, -1
	s_add_co_i32 s1, s1, 8
	s_wait_alu 0xfffe
	s_cmp_lg_u32 s0, 0
	ds_load_b32 v1, v1
	s_wait_dscnt 0x0
	v_max_num_f32_e32 v1, v1, v1
	s_delay_alu instid0(VALU_DEP_1)
	v_max_num_f32_e32 v6, v2, v1
	s_cbranch_scc1 .LBB33_10
.LBB33_11:
	s_cmp_lt_i32 s10, 1
	s_cbranch_scc1 .LBB33_16
; %bb.12:
	s_lshl_b32 s0, s2, 8
	s_wait_alu 0xfffe
	s_ashr_i32 s1, s0, 31
	s_wait_alu 0xfffe
	s_lshl_b64 s[0:1], s[0:1], 2
	s_cmp_lt_u32 s10, 8
	s_wait_alu 0xfffe
	s_add_nc_u64 s[6:7], s[4:5], s[0:1]
	s_cbranch_scc1 .LBB33_17
; %bb.13:
	v_or_b32_e32 v1, 0x700, v0
	v_dual_mov_b32 v4, 0 :: v_dual_mov_b32 v7, 0
	v_mov_b32_e32 v8, 0
	s_and_b32 s12, s10, 0x7ffffff8
	s_mov_b32 s13, 0
	s_mov_b32 s14, 0
.LBB33_14:                              ; =>This Inner Loop Header: Depth=1
	v_dual_mov_b32 v2, v4 :: v_dual_add_nc_u32 v3, 0xfffff900, v1
	v_mov_b32_e32 v21, s14
	s_add_co_i32 s13, s13, 8
	s_add_co_i32 s14, s14, 64
	s_delay_alu instid0(VALU_DEP_2) | instskip(SKIP_3) | instid1(VALU_DEP_2)
	v_lshlrev_b64_e32 v[9:10], 2, v[3:4]
	v_add_nc_u32_e32 v3, 0xfffffa00, v1
	v_lshlrev_b64_e32 v[11:12], 2, v[1:2]
	s_cmp_eq_u32 s12, s13
	v_lshlrev_b64_e32 v[13:14], 2, v[3:4]
	s_wait_alu 0xfffe
	v_add_co_u32 v9, vcc_lo, s6, v9
	s_wait_alu 0xfffd
	v_add_co_ci_u32_e64 v10, null, s7, v10, vcc_lo
	v_add_nc_u32_e32 v3, 0xfffffb00, v1
	v_add_co_u32 v13, vcc_lo, s6, v13
	global_load_b32 v25, v[9:10], off
	s_wait_alu 0xfffd
	v_add_co_ci_u32_e64 v14, null, s7, v14, vcc_lo
	v_lshlrev_b64_e32 v[15:16], 2, v[3:4]
	v_add_nc_u32_e32 v3, 0xfffffc00, v1
	global_load_b32 v26, v[13:14], off
	v_add_co_u32 v13, vcc_lo, s6, v15
	s_wait_alu 0xfffd
	v_add_co_ci_u32_e64 v14, null, s7, v16, vcc_lo
	v_lshlrev_b64_e32 v[9:10], 2, v[3:4]
	v_add_nc_u32_e32 v3, 0xfffffd00, v1
	global_load_b32 v27, v[13:14], off
	v_add_co_u32 v9, vcc_lo, s6, v9
	v_lshlrev_b64_e32 v[15:16], 2, v[3:4]
	v_add_nc_u32_e32 v3, 0xfffffe00, v1
	s_wait_alu 0xfffd
	v_add_co_ci_u32_e64 v10, null, s7, v10, vcc_lo
	global_load_b32 v28, v[9:10], off
	v_lshlrev_b64_e32 v[13:14], 2, v[3:4]
	v_add_nc_u32_e32 v3, 0xffffff00, v1
	v_add_co_u32 v9, vcc_lo, s6, v15
	s_wait_alu 0xfffd
	v_add_co_ci_u32_e64 v10, null, s7, v16, vcc_lo
	s_delay_alu instid0(VALU_DEP_4)
	v_add_co_u32 v13, vcc_lo, s6, v13
	v_lshlrev_b64_e32 v[2:3], 2, v[3:4]
	s_wait_alu 0xfffd
	v_add_co_ci_u32_e64 v14, null, s7, v14, vcc_lo
	s_clause 0x1
	global_load_b32 v29, v[9:10], off
	global_load_b32 v30, v[13:14], off
	v_add_co_u32 v2, vcc_lo, s6, v2
	s_wait_alu 0xfffd
	v_add_co_ci_u32_e64 v3, null, s7, v3, vcc_lo
	v_add_co_u32 v9, vcc_lo, s6, v11
	s_wait_alu 0xfffd
	v_add_co_ci_u32_e64 v10, null, s7, v12, vcc_lo
	s_clause 0x1
	global_load_b32 v2, v[2:3], off
	global_load_b32 v3, v[9:10], off
	ds_load_2addr_b64 v[9:12], v21 offset1:1
	ds_load_2addr_b64 v[13:16], v21 offset0:2 offset1:3
	ds_load_2addr_b64 v[17:20], v21 offset0:4 offset1:5
	;; [unrolled: 1-line block ×3, first 2 shown]
	v_add_nc_u32_e32 v1, 0x800, v1
	s_wait_dscnt 0x1
	v_sub_f32_e32 v19, v19, v6
	v_sub_f32_e32 v11, v11, v6
	s_wait_dscnt 0x0
	v_sub_f32_e32 v23, v23, v6
	s_delay_alu instid0(VALU_DEP_3) | instskip(NEXT) | instid1(VALU_DEP_3)
	v_dual_sub_f32 v13, v13, v6 :: v_dual_mul_f32 v36, 0x3fb8aa3b, v19
	v_mul_f32_e32 v32, 0x3fb8aa3b, v11
	s_delay_alu instid0(VALU_DEP_2) | instskip(SKIP_1) | instid1(VALU_DEP_4)
	v_dual_mul_f32 v38, 0x3fb8aa3b, v23 :: v_dual_mul_f32 v33, 0x3fb8aa3b, v13
	v_cmp_ngt_f32_e32 vcc_lo, 0xc2ce8ed0, v13
	v_xor_b32_e32 v49, 0x80000000, v36
	s_delay_alu instid0(VALU_DEP_4) | instskip(SKIP_4) | instid1(VALU_DEP_4)
	v_xor_b32_e32 v41, 0x80000000, v32
	v_rndne_f32_e32 v42, v32
	v_xor_b32_e32 v43, 0x80000000, v33
	v_rndne_f32_e32 v44, v33
	v_rndne_f32_e32 v50, v36
	v_dual_fmac_f32 v41, 0x3fb8aa3b, v11 :: v_dual_sub_f32 v32, v32, v42
	s_delay_alu instid0(VALU_DEP_4) | instskip(NEXT) | instid1(VALU_DEP_4)
	v_fmac_f32_e32 v43, 0x3fb8aa3b, v13
	v_sub_f32_e32 v33, v33, v44
	v_cvt_i32_f32_e32 v42, v42
	s_delay_alu instid0(VALU_DEP_4) | instskip(SKIP_3) | instid1(VALU_DEP_4)
	v_fmac_f32_e32 v41, 0x32a5705f, v11
	v_sub_f32_e32 v15, v15, v6
	v_fmac_f32_e32 v43, 0x32a5705f, v13
	v_cvt_i32_f32_e32 v44, v44
	v_dual_fmac_f32 v49, 0x3fb8aa3b, v19 :: v_dual_add_f32 v32, v32, v41
	s_delay_alu instid0(VALU_DEP_4) | instskip(NEXT) | instid1(VALU_DEP_4)
	v_dual_sub_f32 v9, v9, v6 :: v_dual_mul_f32 v34, 0x3fb8aa3b, v15
	v_add_f32_e32 v33, v33, v43
	v_cmp_ngt_f32_e64 s0, 0xc2ce8ed0, v15
	s_delay_alu instid0(VALU_DEP_4) | instskip(NEXT) | instid1(VALU_DEP_3)
	v_exp_f32_e32 v32, v32
	v_mul_f32_e32 v31, 0x3fb8aa3b, v9
	v_xor_b32_e32 v45, 0x80000000, v34
	v_rndne_f32_e32 v46, v34
	v_exp_f32_e32 v33, v33
	v_cmp_ngt_f32_e64 s5, 0xc2ce8ed0, v9
	v_xor_b32_e32 v39, 0x80000000, v31
	v_rndne_f32_e32 v40, v31
	v_dual_fmac_f32 v45, 0x3fb8aa3b, v15 :: v_dual_sub_f32 v34, v34, v46
	s_delay_alu instid0(TRANS32_DEP_2) | instskip(NEXT) | instid1(VALU_DEP_4)
	v_ldexp_f32 v32, v32, v42
	v_fmac_f32_e32 v39, 0x3fb8aa3b, v9
	s_delay_alu instid0(VALU_DEP_4)
	v_sub_f32_e32 v31, v31, v40
	v_cvt_i32_f32_e32 v40, v40
	v_fmac_f32_e32 v45, 0x32a5705f, v15
	v_sub_f32_e32 v17, v17, v6
	v_fmac_f32_e32 v39, 0x32a5705f, v9
	v_ldexp_f32 v33, v33, v44
	v_cvt_i32_f32_e32 v46, v46
	v_add_f32_e32 v34, v34, v45
	s_delay_alu instid0(VALU_DEP_4) | instskip(SKIP_2) | instid1(VALU_DEP_4)
	v_dual_sub_f32 v36, v36, v50 :: v_dual_add_f32 v31, v31, v39
	v_fmac_f32_e32 v49, 0x32a5705f, v19
	v_xor_b32_e32 v53, 0x80000000, v38
	v_exp_f32_e32 v34, v34
	v_cvt_i32_f32_e32 v50, v50
	v_exp_f32_e32 v31, v31
	v_add_f32_e32 v36, v36, v49
	v_cmp_ngt_f32_e64 s1, 0xc2ce8ed0, v17
	v_rndne_f32_e32 v54, v38
	v_cmp_ngt_f32_e64 s2, 0xc2ce8ed0, v19
	s_delay_alu instid0(VALU_DEP_4) | instskip(NEXT) | instid1(TRANS32_DEP_3)
	v_exp_f32_e32 v36, v36
	v_ldexp_f32 v34, v34, v46
	s_delay_alu instid0(VALU_DEP_3) | instskip(NEXT) | instid1(TRANS32_DEP_2)
	v_sub_f32_e32 v38, v38, v54
	v_ldexp_f32 v31, v31, v40
	v_cvt_i32_f32_e32 v54, v54
	s_wait_alu 0xf1ff
	s_delay_alu instid0(VALU_DEP_2) | instskip(SKIP_1) | instid1(TRANS32_DEP_1)
	v_cndmask_b32_e64 v31, 0, v31, s5
	v_cmp_ngt_f32_e64 s5, 0xc2ce8ed0, v11
	v_ldexp_f32 v36, v36, v50
	s_wait_alu 0xf1ff
	s_delay_alu instid0(VALU_DEP_2) | instskip(SKIP_2) | instid1(VALU_DEP_1)
	v_cndmask_b32_e64 v32, 0, v32, s5
	v_cmp_nlt_f32_e64 s5, 0x42b17218, v9
	s_wait_alu 0xf1ff
	v_cndmask_b32_e64 v9, 0x7f800000, v31, s5
	s_wait_alu 0xfffd
	v_cndmask_b32_e32 v31, 0, v33, vcc_lo
	v_cmp_nlt_f32_e32 vcc_lo, 0x42b17218, v11
	s_wait_alu 0xfffd
	v_dual_fmac_f32 v8, v9, v10 :: v_dual_cndmask_b32 v11, 0x7f800000, v32
	v_cmp_nlt_f32_e32 vcc_lo, 0x42b17218, v13
	s_delay_alu instid0(VALU_DEP_2)
	v_fmac_f32_e32 v8, v11, v12
	s_wait_alu 0xfffd
	v_cndmask_b32_e32 v10, 0x7f800000, v31, vcc_lo
	v_cmp_nlt_f32_e32 vcc_lo, 0x42b17218, v15
	v_fmac_f32_e32 v53, 0x3fb8aa3b, v23
	v_cmp_ngt_f32_e64 s4, 0xc2ce8ed0, v23
	s_delay_alu instid0(VALU_DEP_2) | instskip(NEXT) | instid1(VALU_DEP_1)
	v_dual_fmac_f32 v8, v10, v14 :: v_dual_fmac_f32 v53, 0x32a5705f, v23
	v_dual_sub_f32 v21, v21, v6 :: v_dual_add_f32 v38, v38, v53
	s_delay_alu instid0(VALU_DEP_1) | instskip(NEXT) | instid1(VALU_DEP_2)
	v_cmp_ngt_f32_e64 s3, 0xc2ce8ed0, v21
	v_exp_f32_e32 v38, v38
	s_delay_alu instid0(TRANS32_DEP_1) | instskip(SKIP_4) | instid1(VALU_DEP_1)
	v_ldexp_f32 v38, v38, v54
	s_wait_loadcnt 0x7
	v_fmac_f32_e32 v7, v25, v9
	v_cndmask_b32_e64 v9, 0, v34, s0
	s_wait_alu 0xfffd
	v_cndmask_b32_e32 v9, 0x7f800000, v9, vcc_lo
	s_wait_loadcnt 0x6
	v_fmac_f32_e32 v7, v26, v11
	v_cmp_nlt_f32_e32 vcc_lo, 0x42b17218, v17
	s_delay_alu instid0(VALU_DEP_3) | instskip(SKIP_1) | instid1(VALU_DEP_3)
	v_dual_fmac_f32 v8, v9, v16 :: v_dual_mul_f32 v35, 0x3fb8aa3b, v17
	s_wait_loadcnt 0x5
	v_fmac_f32_e32 v7, v27, v10
	s_delay_alu instid0(VALU_DEP_2) | instskip(SKIP_2) | instid1(VALU_DEP_3)
	v_xor_b32_e32 v47, 0x80000000, v35
	v_rndne_f32_e32 v48, v35
	v_cndmask_b32_e64 v10, 0, v36, s2
	v_fmac_f32_e32 v47, 0x3fb8aa3b, v17
	s_delay_alu instid0(VALU_DEP_3) | instskip(SKIP_1) | instid1(VALU_DEP_3)
	v_sub_f32_e32 v35, v35, v48
	v_cvt_i32_f32_e32 v48, v48
	v_fmac_f32_e32 v47, 0x32a5705f, v17
	s_wait_loadcnt 0x4
	v_fmac_f32_e32 v7, v28, v9
	s_delay_alu instid0(VALU_DEP_2) | instskip(NEXT) | instid1(VALU_DEP_1)
	v_add_f32_e32 v35, v35, v47
	v_exp_f32_e32 v35, v35
	s_delay_alu instid0(TRANS32_DEP_1) | instskip(NEXT) | instid1(VALU_DEP_1)
	v_ldexp_f32 v35, v35, v48
	v_cndmask_b32_e64 v11, 0, v35, s1
	s_wait_alu 0xfffd
	s_delay_alu instid0(VALU_DEP_1) | instskip(SKIP_1) | instid1(VALU_DEP_2)
	v_cndmask_b32_e32 v11, 0x7f800000, v11, vcc_lo
	v_cmp_nlt_f32_e32 vcc_lo, 0x42b17218, v19
	v_fmac_f32_e32 v8, v11, v18
	s_wait_alu 0xfffd
	v_cndmask_b32_e32 v10, 0x7f800000, v10, vcc_lo
	v_mul_f32_e32 v37, 0x3fb8aa3b, v21
	s_wait_loadcnt 0x3
	v_fmac_f32_e32 v7, v29, v11
	v_cmp_nlt_f32_e32 vcc_lo, 0x42b17218, v21
	s_wait_alu 0xf1ff
	v_cndmask_b32_e64 v11, 0, v38, s4
	v_fmac_f32_e32 v8, v10, v20
	v_xor_b32_e32 v51, 0x80000000, v37
	v_rndne_f32_e32 v52, v37
	s_wait_loadcnt 0x2
	v_fmac_f32_e32 v7, v30, v10
	s_delay_alu instid0(VALU_DEP_3) | instskip(NEXT) | instid1(VALU_DEP_3)
	v_fmac_f32_e32 v51, 0x3fb8aa3b, v21
	v_sub_f32_e32 v37, v37, v52
	v_cvt_i32_f32_e32 v52, v52
	s_delay_alu instid0(VALU_DEP_3) | instskip(NEXT) | instid1(VALU_DEP_1)
	v_fmac_f32_e32 v51, 0x32a5705f, v21
	v_add_f32_e32 v37, v37, v51
	s_delay_alu instid0(VALU_DEP_1) | instskip(NEXT) | instid1(TRANS32_DEP_1)
	v_exp_f32_e32 v37, v37
	v_ldexp_f32 v37, v37, v52
	s_delay_alu instid0(VALU_DEP_1) | instskip(SKIP_1) | instid1(VALU_DEP_1)
	v_cndmask_b32_e64 v9, 0, v37, s3
	s_wait_alu 0xfffd
	v_cndmask_b32_e32 v9, 0x7f800000, v9, vcc_lo
	v_cmp_nlt_f32_e32 vcc_lo, 0x42b17218, v23
	s_delay_alu instid0(VALU_DEP_2) | instskip(SKIP_4) | instid1(VALU_DEP_1)
	v_fmac_f32_e32 v8, v9, v22
	s_wait_loadcnt 0x1
	s_wait_alu 0xfffd
	v_dual_cndmask_b32 v10, 0x7f800000, v11 :: v_dual_fmac_f32 v7, v2, v9
	s_wait_loadcnt 0x0
	v_dual_fmac_f32 v8, v10, v24 :: v_dual_fmac_f32 v7, v3, v10
	s_cbranch_scc0 .LBB33_14
; %bb.15:
	s_and_b32 s0, s10, 7
	s_wait_alu 0xfffe
	s_cmp_eq_u32 s0, 0
	s_cbranch_scc0 .LBB33_18
	s_branch .LBB33_20
.LBB33_16:
	v_mov_b32_e32 v0, 0x7fc00000
	s_branch .LBB33_21
.LBB33_17:
	v_dual_mov_b32 v7, 0 :: v_dual_mov_b32 v8, 0
	s_mov_b32 s12, 0
	s_and_b32 s0, s10, 7
	s_wait_alu 0xfffe
	s_cmp_eq_u32 s0, 0
	s_cbranch_scc1 .LBB33_20
.LBB33_18:
	v_lshl_or_b32 v0, s12, 8, v0
	v_mov_b32_e32 v1, 0
	s_lshl_b32 s1, s12, 3
	s_wait_alu 0xfffe
	s_add_co_i32 s1, s1, 0
.LBB33_19:                              ; =>This Inner Loop Header: Depth=1
	s_delay_alu instid0(VALU_DEP_1) | instskip(SKIP_2) | instid1(VALU_DEP_2)
	v_lshlrev_b64_e32 v[2:3], 2, v[0:1]
	s_add_co_i32 s0, s0, -1
	v_add_nc_u32_e32 v0, 0x100, v0
	v_add_co_u32 v2, vcc_lo, s6, v2
	s_wait_alu 0xfffd
	s_delay_alu instid0(VALU_DEP_3)
	v_add_co_ci_u32_e64 v3, null, s7, v3, vcc_lo
	global_load_b32 v4, v[2:3], off
	s_wait_alu 0xfffe
	v_mov_b32_e32 v2, s1
	s_add_co_i32 s1, s1, 8
	s_cmp_lg_u32 s0, 0
	ds_load_b64 v[2:3], v2
	s_wait_dscnt 0x0
	v_sub_f32_e32 v2, v2, v6
	s_delay_alu instid0(VALU_DEP_1) | instskip(SKIP_1) | instid1(VALU_DEP_2)
	v_mul_f32_e32 v9, 0x3fb8aa3b, v2
	v_cmp_ngt_f32_e32 vcc_lo, 0xc2ce8ed0, v2
	v_xor_b32_e32 v10, 0x80000000, v9
	v_rndne_f32_e32 v11, v9
	s_delay_alu instid0(VALU_DEP_1) | instskip(NEXT) | instid1(VALU_DEP_1)
	v_dual_fmac_f32 v10, 0x3fb8aa3b, v2 :: v_dual_sub_f32 v9, v9, v11
	v_fmac_f32_e32 v10, 0x32a5705f, v2
	s_delay_alu instid0(VALU_DEP_1) | instskip(SKIP_1) | instid1(VALU_DEP_2)
	v_add_f32_e32 v9, v9, v10
	v_cvt_i32_f32_e32 v10, v11
	v_exp_f32_e32 v9, v9
	s_delay_alu instid0(TRANS32_DEP_1) | instskip(SKIP_1) | instid1(VALU_DEP_1)
	v_ldexp_f32 v9, v9, v10
	s_wait_alu 0xfffd
	v_cndmask_b32_e32 v9, 0, v9, vcc_lo
	v_cmp_nlt_f32_e32 vcc_lo, 0x42b17218, v2
	s_wait_alu 0xfffd
	s_delay_alu instid0(VALU_DEP_2) | instskip(SKIP_1) | instid1(VALU_DEP_1)
	v_cndmask_b32_e32 v2, 0x7f800000, v9, vcc_lo
	s_wait_loadcnt 0x0
	v_dual_fmac_f32 v8, v2, v3 :: v_dual_fmac_f32 v7, v4, v2
	s_cbranch_scc1 .LBB33_19
.LBB33_20:
	s_delay_alu instid0(VALU_DEP_1) | instskip(NEXT) | instid1(VALU_DEP_1)
	v_div_scale_f32 v0, null, v8, v8, v7
	v_rcp_f32_e32 v1, v0
	s_delay_alu instid0(TRANS32_DEP_1) | instskip(NEXT) | instid1(VALU_DEP_1)
	v_fma_f32 v2, -v0, v1, 1.0
	v_fmac_f32_e32 v1, v2, v1
	v_div_scale_f32 v2, vcc_lo, v7, v8, v7
	s_delay_alu instid0(VALU_DEP_1) | instskip(NEXT) | instid1(VALU_DEP_1)
	v_mul_f32_e32 v3, v2, v1
	v_fma_f32 v4, -v0, v3, v2
	s_delay_alu instid0(VALU_DEP_1) | instskip(NEXT) | instid1(VALU_DEP_1)
	v_fmac_f32_e32 v3, v4, v1
	v_fma_f32 v0, -v0, v3, v2
	s_wait_alu 0xfffd
	s_delay_alu instid0(VALU_DEP_1) | instskip(NEXT) | instid1(VALU_DEP_1)
	v_div_fmas_f32 v0, v0, v1, v3
	v_div_fixup_f32 v0, v0, v8, v7
.LBB33_21:
	s_lshl_b32 s0, s11, 8
	s_wait_alu 0xfffe
	s_ashr_i32 s1, s0, 31
	s_wait_alu 0xfffe
	s_lshl_b64 s[0:1], s[0:1], 2
	s_wait_alu 0xfffe
	s_add_nc_u64 s[0:1], s[8:9], s[0:1]
	global_store_b32 v5, v0, s[0:1]
	s_endpgm
	.section	.rodata,"a",@progbits
	.p2align	6, 0x0
	.amdhsa_kernel _ZL26flash_attn_combine_resultsILi256EEvPKfPK15HIP_vector_typeIfLj2EEPfi
		.amdhsa_group_segment_fixed_size 0
		.amdhsa_private_segment_fixed_size 0
		.amdhsa_kernarg_size 288
		.amdhsa_user_sgpr_count 2
		.amdhsa_user_sgpr_dispatch_ptr 0
		.amdhsa_user_sgpr_queue_ptr 0
		.amdhsa_user_sgpr_kernarg_segment_ptr 1
		.amdhsa_user_sgpr_dispatch_id 0
		.amdhsa_user_sgpr_private_segment_size 0
		.amdhsa_wavefront_size32 1
		.amdhsa_uses_dynamic_stack 0
		.amdhsa_enable_private_segment 0
		.amdhsa_system_sgpr_workgroup_id_x 1
		.amdhsa_system_sgpr_workgroup_id_y 1
		.amdhsa_system_sgpr_workgroup_id_z 1
		.amdhsa_system_sgpr_workgroup_info 0
		.amdhsa_system_vgpr_workitem_id 0
		.amdhsa_next_free_vgpr 55
		.amdhsa_next_free_sgpr 16
		.amdhsa_reserve_vcc 1
		.amdhsa_float_round_mode_32 0
		.amdhsa_float_round_mode_16_64 0
		.amdhsa_float_denorm_mode_32 3
		.amdhsa_float_denorm_mode_16_64 3
		.amdhsa_fp16_overflow 0
		.amdhsa_workgroup_processor_mode 1
		.amdhsa_memory_ordered 1
		.amdhsa_forward_progress 1
		.amdhsa_inst_pref_size 21
		.amdhsa_round_robin_scheduling 0
		.amdhsa_exception_fp_ieee_invalid_op 0
		.amdhsa_exception_fp_denorm_src 0
		.amdhsa_exception_fp_ieee_div_zero 0
		.amdhsa_exception_fp_ieee_overflow 0
		.amdhsa_exception_fp_ieee_underflow 0
		.amdhsa_exception_fp_ieee_inexact 0
		.amdhsa_exception_int_div_zero 0
	.end_amdhsa_kernel
	.section	.text._ZL26flash_attn_combine_resultsILi256EEvPKfPK15HIP_vector_typeIfLj2EEPfi,"axG",@progbits,_ZL26flash_attn_combine_resultsILi256EEvPKfPK15HIP_vector_typeIfLj2EEPfi,comdat
.Lfunc_end33:
	.size	_ZL26flash_attn_combine_resultsILi256EEvPKfPK15HIP_vector_typeIfLj2EEPfi, .Lfunc_end33-_ZL26flash_attn_combine_resultsILi256EEvPKfPK15HIP_vector_typeIfLj2EEPfi
                                        ; -- End function
	.set _ZL26flash_attn_combine_resultsILi256EEvPKfPK15HIP_vector_typeIfLj2EEPfi.num_vgpr, 55
	.set _ZL26flash_attn_combine_resultsILi256EEvPKfPK15HIP_vector_typeIfLj2EEPfi.num_agpr, 0
	.set _ZL26flash_attn_combine_resultsILi256EEvPKfPK15HIP_vector_typeIfLj2EEPfi.numbered_sgpr, 16
	.set _ZL26flash_attn_combine_resultsILi256EEvPKfPK15HIP_vector_typeIfLj2EEPfi.num_named_barrier, 0
	.set _ZL26flash_attn_combine_resultsILi256EEvPKfPK15HIP_vector_typeIfLj2EEPfi.private_seg_size, 0
	.set _ZL26flash_attn_combine_resultsILi256EEvPKfPK15HIP_vector_typeIfLj2EEPfi.uses_vcc, 1
	.set _ZL26flash_attn_combine_resultsILi256EEvPKfPK15HIP_vector_typeIfLj2EEPfi.uses_flat_scratch, 0
	.set _ZL26flash_attn_combine_resultsILi256EEvPKfPK15HIP_vector_typeIfLj2EEPfi.has_dyn_sized_stack, 0
	.set _ZL26flash_attn_combine_resultsILi256EEvPKfPK15HIP_vector_typeIfLj2EEPfi.has_recursion, 0
	.set _ZL26flash_attn_combine_resultsILi256EEvPKfPK15HIP_vector_typeIfLj2EEPfi.has_indirect_call, 0
	.section	.AMDGPU.csdata,"",@progbits
; Kernel info:
; codeLenInByte = 2564
; TotalNumSgprs: 18
; NumVgprs: 55
; ScratchSize: 0
; MemoryBound: 0
; FloatMode: 240
; IeeeMode: 1
; LDSByteSize: 0 bytes/workgroup (compile time only)
; SGPRBlocks: 0
; VGPRBlocks: 6
; NumSGPRsForWavesPerEU: 18
; NumVGPRsForWavesPerEU: 55
; Occupancy: 16
; WaveLimiterHint : 0
; COMPUTE_PGM_RSRC2:SCRATCH_EN: 0
; COMPUTE_PGM_RSRC2:USER_SGPR: 2
; COMPUTE_PGM_RSRC2:TRAP_HANDLER: 0
; COMPUTE_PGM_RSRC2:TGID_X_EN: 1
; COMPUTE_PGM_RSRC2:TGID_Y_EN: 1
; COMPUTE_PGM_RSRC2:TGID_Z_EN: 1
; COMPUTE_PGM_RSRC2:TIDIG_COMP_CNT: 0
	.text
	.p2alignl 7, 3214868480
	.fill 96, 4, 3214868480
	.section	.AMDGPU.gpr_maximums,"",@progbits
	.set amdgpu.max_num_vgpr, 40
	.set amdgpu.max_num_agpr, 0
	.set amdgpu.max_num_sgpr, 34
	.text
	.type	.str.3,@object                  ; @.str.3
	.section	.rodata.str1.1,"aMS",@progbits,1
.str.3:
	.asciz	"/root/src/amdgpu-assembly/repos/ggml-org__llama.cpp/ggml/src/ggml-cuda/template-instances/../fattn-mma-f16.cuh"
	.size	.str.3, 111

	.type	__FUNCTION__._ZL18flash_attn_ext_f16ILi64ELi64ELi32ELi2ELb1ELb0EEvPKcS1_S1_S1_S1_PKiPfP15HIP_vector_typeIfLj2EEffffjfiS5_IjLj3EEiiiiiiiiiiiliiliiiiil,@object ; @__FUNCTION__._ZL18flash_attn_ext_f16ILi64ELi64ELi32ELi2ELb1ELb0EEvPKcS1_S1_S1_S1_PKiPfP15HIP_vector_typeIfLj2EEffffjfiS5_IjLj3EEiiiiiiiiiiiliiliiiiil
__FUNCTION__._ZL18flash_attn_ext_f16ILi64ELi64ELi32ELi2ELb1ELb0EEvPKcS1_S1_S1_S1_PKiPfP15HIP_vector_typeIfLj2EEffffjfiS5_IjLj3EEiiiiiiiiiiiliiliiiiil:
	.asciz	"flash_attn_ext_f16"
	.size	__FUNCTION__._ZL18flash_attn_ext_f16ILi64ELi64ELi32ELi2ELb1ELb0EEvPKcS1_S1_S1_S1_PKiPfP15HIP_vector_typeIfLj2EEffffjfiS5_IjLj3EEiiiiiiiiiiiliiliiiiil, 19

	.type	.str.5,@object                  ; @.str.5
.str.5:
	.asciz	"%s:%d: ERROR: HIP kernel %s has no device code compatible with HIP arch %d.\n"
	.size	.str.5, 77

	.type	__hip_cuid_d397a91b8299e198,@object ; @__hip_cuid_d397a91b8299e198
	.section	.bss,"aw",@nobits
	.globl	__hip_cuid_d397a91b8299e198
__hip_cuid_d397a91b8299e198:
	.byte	0                               ; 0x0
	.size	__hip_cuid_d397a91b8299e198, 1

	.ident	"AMD clang version 22.0.0git (https://github.com/RadeonOpenCompute/llvm-project roc-7.2.4 26084 f58b06dce1f9c15707c5f808fd002e18c2accf7e)"
	.section	".note.GNU-stack","",@progbits
	.addrsig
	.addrsig_sym __hip_cuid_d397a91b8299e198
	.amdgpu_metadata
---
amdhsa.kernels:
  - .args:
      - .address_space:  global
        .offset:         0
        .size:           8
        .value_kind:     global_buffer
      - .address_space:  global
        .offset:         8
        .size:           8
        .value_kind:     global_buffer
      - .address_space:  global
        .offset:         16
        .size:           8
        .value_kind:     global_buffer
      - .address_space:  global
        .offset:         24
        .size:           8
        .value_kind:     global_buffer
      - .address_space:  global
        .offset:         32
        .size:           8
        .value_kind:     global_buffer
      - .address_space:  global
        .offset:         40
        .size:           8
        .value_kind:     global_buffer
      - .address_space:  global
        .offset:         48
        .size:           8
        .value_kind:     global_buffer
      - .address_space:  global
        .offset:         56
        .size:           8
        .value_kind:     global_buffer
      - .offset:         64
        .size:           4
        .value_kind:     by_value
      - .offset:         68
        .size:           4
        .value_kind:     by_value
      - .offset:         72
        .size:           4
        .value_kind:     by_value
      - .offset:         76
        .size:           4
        .value_kind:     by_value
      - .offset:         80
        .size:           4
        .value_kind:     by_value
      - .offset:         84
        .size:           4
        .value_kind:     by_value
      - .offset:         88
        .size:           4
        .value_kind:     by_value
      - .offset:         92
        .size:           12
        .value_kind:     by_value
      - .offset:         104
        .size:           4
        .value_kind:     by_value
      - .offset:         108
        .size:           4
        .value_kind:     by_value
      - .offset:         112
        .size:           4
        .value_kind:     by_value
      - .offset:         116
        .size:           4
        .value_kind:     by_value
      - .offset:         120
        .size:           4
        .value_kind:     by_value
      - .offset:         124
        .size:           4
        .value_kind:     by_value
      - .offset:         128
        .size:           4
        .value_kind:     by_value
      - .offset:         132
        .size:           4
        .value_kind:     by_value
      - .offset:         136
        .size:           4
        .value_kind:     by_value
      - .offset:         140
        .size:           4
        .value_kind:     by_value
      - .offset:         144
        .size:           4
        .value_kind:     by_value
      - .offset:         152
        .size:           8
        .value_kind:     by_value
      - .offset:         160
        .size:           4
        .value_kind:     by_value
      - .offset:         164
        .size:           4
        .value_kind:     by_value
      - .offset:         168
        .size:           8
        .value_kind:     by_value
      - .offset:         176
        .size:           4
        .value_kind:     by_value
      - .offset:         180
        .size:           4
        .value_kind:     by_value
      - .offset:         184
        .size:           4
        .value_kind:     by_value
      - .offset:         188
        .size:           4
        .value_kind:     by_value
      - .offset:         192
        .size:           4
        .value_kind:     by_value
      - .offset:         200
        .size:           8
        .value_kind:     by_value
      - .offset:         208
        .size:           4
        .value_kind:     hidden_block_count_x
      - .offset:         212
        .size:           4
        .value_kind:     hidden_block_count_y
      - .offset:         216
        .size:           4
        .value_kind:     hidden_block_count_z
      - .offset:         220
        .size:           2
        .value_kind:     hidden_group_size_x
      - .offset:         222
        .size:           2
        .value_kind:     hidden_group_size_y
      - .offset:         224
        .size:           2
        .value_kind:     hidden_group_size_z
      - .offset:         226
        .size:           2
        .value_kind:     hidden_remainder_x
      - .offset:         228
        .size:           2
        .value_kind:     hidden_remainder_y
      - .offset:         230
        .size:           2
        .value_kind:     hidden_remainder_z
      - .offset:         248
        .size:           8
        .value_kind:     hidden_global_offset_x
      - .offset:         256
        .size:           8
        .value_kind:     hidden_global_offset_y
      - .offset:         264
        .size:           8
        .value_kind:     hidden_global_offset_z
      - .offset:         272
        .size:           2
        .value_kind:     hidden_grid_dims
      - .offset:         328
        .size:           4
        .value_kind:     hidden_dynamic_lds_size
    .group_segment_fixed_size: 0
    .kernarg_segment_align: 8
    .kernarg_segment_size: 464
    .language:       OpenCL C
    .language_version:
      - 2
      - 0
    .max_flat_workgroup_size: 128
    .name:           _ZL18flash_attn_ext_f16ILi64ELi64ELi32ELi2ELb0ELb0EEvPKcS1_S1_S1_S1_PKiPfP15HIP_vector_typeIfLj2EEffffjfiS5_IjLj3EEiiiiiiiiiiiliiliiiiil
    .private_segment_fixed_size: 104
    .sgpr_count:     107
    .sgpr_spill_count: 18
    .symbol:         _ZL18flash_attn_ext_f16ILi64ELi64ELi32ELi2ELb0ELb0EEvPKcS1_S1_S1_S1_PKiPfP15HIP_vector_typeIfLj2EEffffjfiS5_IjLj3EEiiiiiiiiiiiliiliiiiil.kd
    .uniform_work_group_size: 1
    .uses_dynamic_stack: false
    .vgpr_count:     256
    .vgpr_spill_count: 25
    .wavefront_size: 32
    .workgroup_processor_mode: 1
  - .args:
      - .address_space:  global
        .offset:         0
        .size:           8
        .value_kind:     global_buffer
      - .address_space:  global
        .offset:         8
        .size:           8
        .value_kind:     global_buffer
      - .address_space:  global
        .offset:         16
        .size:           8
        .value_kind:     global_buffer
      - .address_space:  global
        .offset:         24
        .size:           8
        .value_kind:     global_buffer
      - .address_space:  global
        .offset:         32
        .size:           8
        .value_kind:     global_buffer
      - .address_space:  global
        .offset:         40
        .size:           8
        .value_kind:     global_buffer
      - .address_space:  global
        .offset:         48
        .size:           8
        .value_kind:     global_buffer
      - .address_space:  global
        .offset:         56
        .size:           8
        .value_kind:     global_buffer
      - .offset:         64
        .size:           4
        .value_kind:     by_value
      - .offset:         68
        .size:           4
        .value_kind:     by_value
      - .offset:         72
        .size:           4
        .value_kind:     by_value
      - .offset:         76
        .size:           4
        .value_kind:     by_value
      - .offset:         80
        .size:           4
        .value_kind:     by_value
      - .offset:         84
        .size:           4
        .value_kind:     by_value
      - .offset:         88
        .size:           4
        .value_kind:     by_value
      - .offset:         92
        .size:           12
        .value_kind:     by_value
      - .offset:         104
        .size:           4
        .value_kind:     by_value
      - .offset:         108
        .size:           4
        .value_kind:     by_value
      - .offset:         112
        .size:           4
        .value_kind:     by_value
      - .offset:         116
        .size:           4
        .value_kind:     by_value
      - .offset:         120
        .size:           4
        .value_kind:     by_value
      - .offset:         124
        .size:           4
        .value_kind:     by_value
      - .offset:         128
        .size:           4
        .value_kind:     by_value
      - .offset:         132
        .size:           4
        .value_kind:     by_value
      - .offset:         136
        .size:           4
        .value_kind:     by_value
      - .offset:         140
        .size:           4
        .value_kind:     by_value
      - .offset:         144
        .size:           4
        .value_kind:     by_value
      - .offset:         152
        .size:           8
        .value_kind:     by_value
      - .offset:         160
        .size:           4
        .value_kind:     by_value
      - .offset:         164
        .size:           4
        .value_kind:     by_value
      - .offset:         168
        .size:           8
        .value_kind:     by_value
      - .offset:         176
        .size:           4
        .value_kind:     by_value
      - .offset:         180
        .size:           4
        .value_kind:     by_value
      - .offset:         184
        .size:           4
        .value_kind:     by_value
      - .offset:         188
        .size:           4
        .value_kind:     by_value
      - .offset:         192
        .size:           4
        .value_kind:     by_value
      - .offset:         200
        .size:           8
        .value_kind:     by_value
      - .offset:         208
        .size:           4
        .value_kind:     hidden_block_count_x
      - .offset:         212
        .size:           4
        .value_kind:     hidden_block_count_y
      - .offset:         216
        .size:           4
        .value_kind:     hidden_block_count_z
      - .offset:         220
        .size:           2
        .value_kind:     hidden_group_size_x
      - .offset:         222
        .size:           2
        .value_kind:     hidden_group_size_y
      - .offset:         224
        .size:           2
        .value_kind:     hidden_group_size_z
      - .offset:         226
        .size:           2
        .value_kind:     hidden_remainder_x
      - .offset:         228
        .size:           2
        .value_kind:     hidden_remainder_y
      - .offset:         230
        .size:           2
        .value_kind:     hidden_remainder_z
      - .offset:         248
        .size:           8
        .value_kind:     hidden_global_offset_x
      - .offset:         256
        .size:           8
        .value_kind:     hidden_global_offset_y
      - .offset:         264
        .size:           8
        .value_kind:     hidden_global_offset_z
      - .offset:         272
        .size:           2
        .value_kind:     hidden_grid_dims
      - .offset:         288
        .size:           8
        .value_kind:     hidden_hostcall_buffer
    .group_segment_fixed_size: 0
    .kernarg_segment_align: 8
    .kernarg_segment_size: 464
    .language:       OpenCL C
    .language_version:
      - 2
      - 0
    .max_flat_workgroup_size: 128
    .name:           _ZL18flash_attn_ext_f16ILi64ELi64ELi32ELi2ELb1ELb0EEvPKcS1_S1_S1_S1_PKiPfP15HIP_vector_typeIfLj2EEffffjfiS5_IjLj3EEiiiiiiiiiiiliiliiiiil
    .private_segment_fixed_size: 16
    .sgpr_count:     36
    .sgpr_spill_count: 0
    .symbol:         _ZL18flash_attn_ext_f16ILi64ELi64ELi32ELi2ELb1ELb0EEvPKcS1_S1_S1_S1_PKiPfP15HIP_vector_typeIfLj2EEffffjfiS5_IjLj3EEiiiiiiiiiiiliiliiiiil.kd
    .uniform_work_group_size: 1
    .uses_dynamic_stack: false
    .vgpr_count:     40
    .vgpr_spill_count: 0
    .wavefront_size: 32
    .workgroup_processor_mode: 1
  - .args:
      - .actual_access:  read_only
        .address_space:  global
        .offset:         0
        .size:           8
        .value_kind:     global_buffer
      - .actual_access:  write_only
        .address_space:  global
        .offset:         8
        .size:           8
        .value_kind:     global_buffer
      - .offset:         16
        .size:           4
        .value_kind:     by_value
      - .offset:         20
        .size:           4
        .value_kind:     by_value
      - .offset:         24
        .size:           4
        .value_kind:     by_value
      - .offset:         32
        .size:           4
        .value_kind:     hidden_block_count_x
      - .offset:         36
        .size:           4
        .value_kind:     hidden_block_count_y
      - .offset:         40
        .size:           4
        .value_kind:     hidden_block_count_z
      - .offset:         44
        .size:           2
        .value_kind:     hidden_group_size_x
      - .offset:         46
        .size:           2
        .value_kind:     hidden_group_size_y
      - .offset:         48
        .size:           2
        .value_kind:     hidden_group_size_z
      - .offset:         50
        .size:           2
        .value_kind:     hidden_remainder_x
      - .offset:         52
        .size:           2
        .value_kind:     hidden_remainder_y
      - .offset:         54
        .size:           2
        .value_kind:     hidden_remainder_z
      - .offset:         72
        .size:           8
        .value_kind:     hidden_global_offset_x
      - .offset:         80
        .size:           8
        .value_kind:     hidden_global_offset_y
      - .offset:         88
        .size:           8
        .value_kind:     hidden_global_offset_z
      - .offset:         96
        .size:           2
        .value_kind:     hidden_grid_dims
    .group_segment_fixed_size: 128
    .kernarg_segment_align: 8
    .kernarg_segment_size: 288
    .language:       OpenCL C
    .language_version:
      - 2
      - 0
    .max_flat_workgroup_size: 128
    .name:           _ZL25flash_attn_mask_to_KV_maxILi32EEvPK7__half2Piiii
    .private_segment_fixed_size: 0
    .sgpr_count:     76
    .sgpr_spill_count: 0
    .symbol:         _ZL25flash_attn_mask_to_KV_maxILi32EEvPK7__half2Piiii.kd
    .uniform_work_group_size: 1
    .uses_dynamic_stack: false
    .vgpr_count:     9
    .vgpr_spill_count: 0
    .wavefront_size: 32
    .workgroup_processor_mode: 1
  - .args:
      - .address_space:  global
        .offset:         0
        .size:           8
        .value_kind:     global_buffer
      - .address_space:  global
        .offset:         8
        .size:           8
        .value_kind:     global_buffer
      - .offset:         16
        .size:           4
        .value_kind:     by_value
      - .offset:         20
        .size:           4
        .value_kind:     by_value
      - .offset:         24
        .size:           4
        .value_kind:     by_value
      - .offset:         28
        .size:           4
        .value_kind:     by_value
      - .offset:         32
        .size:           4
        .value_kind:     by_value
      - .offset:         36
        .size:           4
        .value_kind:     by_value
      - .offset:         40
        .size:           12
        .value_kind:     by_value
      - .offset:         52
        .size:           12
        .value_kind:     by_value
      - .offset:         64
        .size:           12
        .value_kind:     by_value
    .group_segment_fixed_size: 0
    .kernarg_segment_align: 8
    .kernarg_segment_size: 76
    .language:       OpenCL C
    .language_version:
      - 2
      - 0
    .max_flat_workgroup_size: 64
    .name:           _ZL33flash_attn_stream_k_fixup_uniformILi64ELi32ELi2EEvPfPK15HIP_vector_typeIfLj2EEiiiiiiS1_IjLj3EES5_S5_
    .private_segment_fixed_size: 0
    .sgpr_count:     18
    .sgpr_spill_count: 0
    .symbol:         _ZL33flash_attn_stream_k_fixup_uniformILi64ELi32ELi2EEvPfPK15HIP_vector_typeIfLj2EEiiiiiiS1_IjLj3EES5_S5_.kd
    .uniform_work_group_size: 1
    .uses_dynamic_stack: false
    .vgpr_count:     11
    .vgpr_spill_count: 0
    .wavefront_size: 32
    .workgroup_processor_mode: 1
  - .args:
      - .address_space:  global
        .offset:         0
        .size:           8
        .value_kind:     global_buffer
      - .address_space:  global
        .offset:         8
        .size:           8
        .value_kind:     global_buffer
      - .offset:         16
        .size:           4
        .value_kind:     by_value
      - .offset:         20
        .size:           4
        .value_kind:     by_value
      - .offset:         24
        .size:           4
        .value_kind:     by_value
      - .offset:         28
        .size:           4
        .value_kind:     by_value
      - .offset:         32
        .size:           12
        .value_kind:     by_value
      - .offset:         44
        .size:           12
        .value_kind:     by_value
      - .offset:         56
        .size:           12
        .value_kind:     by_value
      - .offset:         68
        .size:           12
        .value_kind:     by_value
      - .offset:         80
        .size:           4
        .value_kind:     hidden_block_count_x
      - .offset:         84
        .size:           4
        .value_kind:     hidden_block_count_y
      - .offset:         88
        .size:           4
        .value_kind:     hidden_block_count_z
      - .offset:         92
        .size:           2
        .value_kind:     hidden_group_size_x
      - .offset:         94
        .size:           2
        .value_kind:     hidden_group_size_y
      - .offset:         96
        .size:           2
        .value_kind:     hidden_group_size_z
      - .offset:         98
        .size:           2
        .value_kind:     hidden_remainder_x
      - .offset:         100
        .size:           2
        .value_kind:     hidden_remainder_y
      - .offset:         102
        .size:           2
        .value_kind:     hidden_remainder_z
      - .offset:         120
        .size:           8
        .value_kind:     hidden_global_offset_x
      - .offset:         128
        .size:           8
        .value_kind:     hidden_global_offset_y
      - .offset:         136
        .size:           8
        .value_kind:     hidden_global_offset_z
      - .offset:         144
        .size:           2
        .value_kind:     hidden_grid_dims
    .group_segment_fixed_size: 0
    .kernarg_segment_align: 8
    .kernarg_segment_size: 336
    .language:       OpenCL C
    .language_version:
      - 2
      - 0
    .max_flat_workgroup_size: 64
    .name:           _ZL33flash_attn_stream_k_fixup_generalILi64ELi32ELi2EEvPfPK15HIP_vector_typeIfLj2EEiiiiS1_IjLj3EES5_S5_S5_
    .private_segment_fixed_size: 0
    .sgpr_count:     46
    .sgpr_spill_count: 0
    .symbol:         _ZL33flash_attn_stream_k_fixup_generalILi64ELi32ELi2EEvPfPK15HIP_vector_typeIfLj2EEiiiiS1_IjLj3EES5_S5_S5_.kd
    .uniform_work_group_size: 1
    .uses_dynamic_stack: false
    .vgpr_count:     9
    .vgpr_spill_count: 0
    .wavefront_size: 32
    .workgroup_processor_mode: 1
  - .args:
      - .address_space:  global
        .offset:         0
        .size:           8
        .value_kind:     global_buffer
      - .address_space:  global
        .offset:         8
        .size:           8
        .value_kind:     global_buffer
      - .address_space:  global
        .offset:         16
        .size:           8
        .value_kind:     global_buffer
      - .offset:         24
        .size:           4
        .value_kind:     by_value
      - .offset:         32
        .size:           4
        .value_kind:     hidden_block_count_x
      - .offset:         36
        .size:           4
        .value_kind:     hidden_block_count_y
      - .offset:         40
        .size:           4
        .value_kind:     hidden_block_count_z
      - .offset:         44
        .size:           2
        .value_kind:     hidden_group_size_x
      - .offset:         46
        .size:           2
        .value_kind:     hidden_group_size_y
      - .offset:         48
        .size:           2
        .value_kind:     hidden_group_size_z
      - .offset:         50
        .size:           2
        .value_kind:     hidden_remainder_x
      - .offset:         52
        .size:           2
        .value_kind:     hidden_remainder_y
      - .offset:         54
        .size:           2
        .value_kind:     hidden_remainder_z
      - .offset:         72
        .size:           8
        .value_kind:     hidden_global_offset_x
      - .offset:         80
        .size:           8
        .value_kind:     hidden_global_offset_y
      - .offset:         88
        .size:           8
        .value_kind:     hidden_global_offset_z
      - .offset:         96
        .size:           2
        .value_kind:     hidden_grid_dims
      - .offset:         152
        .size:           4
        .value_kind:     hidden_dynamic_lds_size
    .group_segment_fixed_size: 0
    .kernarg_segment_align: 8
    .kernarg_segment_size: 288
    .language:       OpenCL C
    .language_version:
      - 2
      - 0
    .max_flat_workgroup_size: 64
    .name:           _ZL26flash_attn_combine_resultsILi64EEvPKfPK15HIP_vector_typeIfLj2EEPfi
    .private_segment_fixed_size: 0
    .sgpr_count:     18
    .sgpr_spill_count: 0
    .symbol:         _ZL26flash_attn_combine_resultsILi64EEvPKfPK15HIP_vector_typeIfLj2EEPfi.kd
    .uniform_work_group_size: 1
    .uses_dynamic_stack: false
    .vgpr_count:     55
    .vgpr_spill_count: 0
    .wavefront_size: 32
    .workgroup_processor_mode: 1
  - .args:
      - .address_space:  global
        .offset:         0
        .size:           8
        .value_kind:     global_buffer
      - .address_space:  global
        .offset:         8
        .size:           8
        .value_kind:     global_buffer
      - .address_space:  global
        .offset:         16
        .size:           8
        .value_kind:     global_buffer
      - .address_space:  global
        .offset:         24
        .size:           8
        .value_kind:     global_buffer
      - .address_space:  global
        .offset:         32
        .size:           8
        .value_kind:     global_buffer
      - .address_space:  global
        .offset:         40
        .size:           8
        .value_kind:     global_buffer
      - .address_space:  global
        .offset:         48
        .size:           8
        .value_kind:     global_buffer
      - .address_space:  global
        .offset:         56
        .size:           8
        .value_kind:     global_buffer
      - .offset:         64
        .size:           4
        .value_kind:     by_value
      - .offset:         68
        .size:           4
        .value_kind:     by_value
      - .offset:         72
        .size:           4
        .value_kind:     by_value
      - .offset:         76
        .size:           4
        .value_kind:     by_value
      - .offset:         80
        .size:           4
        .value_kind:     by_value
      - .offset:         84
        .size:           4
        .value_kind:     by_value
      - .offset:         88
        .size:           4
        .value_kind:     by_value
      - .offset:         92
        .size:           12
        .value_kind:     by_value
      - .offset:         104
        .size:           4
        .value_kind:     by_value
      - .offset:         108
        .size:           4
        .value_kind:     by_value
      - .offset:         112
        .size:           4
        .value_kind:     by_value
      - .offset:         116
        .size:           4
        .value_kind:     by_value
      - .offset:         120
        .size:           4
        .value_kind:     by_value
      - .offset:         124
        .size:           4
        .value_kind:     by_value
      - .offset:         128
        .size:           4
        .value_kind:     by_value
      - .offset:         132
        .size:           4
        .value_kind:     by_value
      - .offset:         136
        .size:           4
        .value_kind:     by_value
      - .offset:         140
        .size:           4
        .value_kind:     by_value
      - .offset:         144
        .size:           4
        .value_kind:     by_value
      - .offset:         152
        .size:           8
        .value_kind:     by_value
      - .offset:         160
        .size:           4
        .value_kind:     by_value
      - .offset:         164
        .size:           4
        .value_kind:     by_value
      - .offset:         168
        .size:           8
        .value_kind:     by_value
      - .offset:         176
        .size:           4
        .value_kind:     by_value
      - .offset:         180
        .size:           4
        .value_kind:     by_value
      - .offset:         184
        .size:           4
        .value_kind:     by_value
      - .offset:         188
        .size:           4
        .value_kind:     by_value
      - .offset:         192
        .size:           4
        .value_kind:     by_value
      - .offset:         200
        .size:           8
        .value_kind:     by_value
      - .offset:         208
        .size:           4
        .value_kind:     hidden_block_count_x
      - .offset:         212
        .size:           4
        .value_kind:     hidden_block_count_y
      - .offset:         216
        .size:           4
        .value_kind:     hidden_block_count_z
      - .offset:         220
        .size:           2
        .value_kind:     hidden_group_size_x
      - .offset:         222
        .size:           2
        .value_kind:     hidden_group_size_y
      - .offset:         224
        .size:           2
        .value_kind:     hidden_group_size_z
      - .offset:         226
        .size:           2
        .value_kind:     hidden_remainder_x
      - .offset:         228
        .size:           2
        .value_kind:     hidden_remainder_y
      - .offset:         230
        .size:           2
        .value_kind:     hidden_remainder_z
      - .offset:         248
        .size:           8
        .value_kind:     hidden_global_offset_x
      - .offset:         256
        .size:           8
        .value_kind:     hidden_global_offset_y
      - .offset:         264
        .size:           8
        .value_kind:     hidden_global_offset_z
      - .offset:         272
        .size:           2
        .value_kind:     hidden_grid_dims
      - .offset:         328
        .size:           4
        .value_kind:     hidden_dynamic_lds_size
    .group_segment_fixed_size: 0
    .kernarg_segment_align: 8
    .kernarg_segment_size: 464
    .language:       OpenCL C
    .language_version:
      - 2
      - 0
    .max_flat_workgroup_size: 128
    .name:           _ZL18flash_attn_ext_f16ILi80ELi80ELi32ELi2ELb0ELb0EEvPKcS1_S1_S1_S1_PKiPfP15HIP_vector_typeIfLj2EEffffjfiS5_IjLj3EEiiiiiiiiiiiliiliiiiil
    .private_segment_fixed_size: 464
    .sgpr_count:     107
    .sgpr_spill_count: 23
    .symbol:         _ZL18flash_attn_ext_f16ILi80ELi80ELi32ELi2ELb0ELb0EEvPKcS1_S1_S1_S1_PKiPfP15HIP_vector_typeIfLj2EEffffjfiS5_IjLj3EEiiiiiiiiiiiliiliiiiil.kd
    .uniform_work_group_size: 1
    .uses_dynamic_stack: false
    .vgpr_count:     256
    .vgpr_spill_count: 115
    .wavefront_size: 32
    .workgroup_processor_mode: 1
  - .args:
      - .address_space:  global
        .offset:         0
        .size:           8
        .value_kind:     global_buffer
      - .address_space:  global
        .offset:         8
        .size:           8
        .value_kind:     global_buffer
      - .address_space:  global
        .offset:         16
        .size:           8
        .value_kind:     global_buffer
      - .address_space:  global
        .offset:         24
        .size:           8
        .value_kind:     global_buffer
      - .address_space:  global
        .offset:         32
        .size:           8
        .value_kind:     global_buffer
      - .address_space:  global
        .offset:         40
        .size:           8
        .value_kind:     global_buffer
      - .address_space:  global
        .offset:         48
        .size:           8
        .value_kind:     global_buffer
      - .address_space:  global
        .offset:         56
        .size:           8
        .value_kind:     global_buffer
      - .offset:         64
        .size:           4
        .value_kind:     by_value
      - .offset:         68
        .size:           4
        .value_kind:     by_value
      - .offset:         72
        .size:           4
        .value_kind:     by_value
      - .offset:         76
        .size:           4
        .value_kind:     by_value
      - .offset:         80
        .size:           4
        .value_kind:     by_value
      - .offset:         84
        .size:           4
        .value_kind:     by_value
      - .offset:         88
        .size:           4
        .value_kind:     by_value
      - .offset:         92
        .size:           12
        .value_kind:     by_value
      - .offset:         104
        .size:           4
        .value_kind:     by_value
      - .offset:         108
        .size:           4
        .value_kind:     by_value
      - .offset:         112
        .size:           4
        .value_kind:     by_value
      - .offset:         116
        .size:           4
        .value_kind:     by_value
      - .offset:         120
        .size:           4
        .value_kind:     by_value
      - .offset:         124
        .size:           4
        .value_kind:     by_value
      - .offset:         128
        .size:           4
        .value_kind:     by_value
      - .offset:         132
        .size:           4
        .value_kind:     by_value
      - .offset:         136
        .size:           4
        .value_kind:     by_value
      - .offset:         140
        .size:           4
        .value_kind:     by_value
      - .offset:         144
        .size:           4
        .value_kind:     by_value
      - .offset:         152
        .size:           8
        .value_kind:     by_value
      - .offset:         160
        .size:           4
        .value_kind:     by_value
      - .offset:         164
        .size:           4
        .value_kind:     by_value
      - .offset:         168
        .size:           8
        .value_kind:     by_value
      - .offset:         176
        .size:           4
        .value_kind:     by_value
      - .offset:         180
        .size:           4
        .value_kind:     by_value
      - .offset:         184
        .size:           4
        .value_kind:     by_value
      - .offset:         188
        .size:           4
        .value_kind:     by_value
      - .offset:         192
        .size:           4
        .value_kind:     by_value
      - .offset:         200
        .size:           8
        .value_kind:     by_value
      - .offset:         208
        .size:           4
        .value_kind:     hidden_block_count_x
      - .offset:         212
        .size:           4
        .value_kind:     hidden_block_count_y
      - .offset:         216
        .size:           4
        .value_kind:     hidden_block_count_z
      - .offset:         220
        .size:           2
        .value_kind:     hidden_group_size_x
      - .offset:         222
        .size:           2
        .value_kind:     hidden_group_size_y
      - .offset:         224
        .size:           2
        .value_kind:     hidden_group_size_z
      - .offset:         226
        .size:           2
        .value_kind:     hidden_remainder_x
      - .offset:         228
        .size:           2
        .value_kind:     hidden_remainder_y
      - .offset:         230
        .size:           2
        .value_kind:     hidden_remainder_z
      - .offset:         248
        .size:           8
        .value_kind:     hidden_global_offset_x
      - .offset:         256
        .size:           8
        .value_kind:     hidden_global_offset_y
      - .offset:         264
        .size:           8
        .value_kind:     hidden_global_offset_z
      - .offset:         272
        .size:           2
        .value_kind:     hidden_grid_dims
      - .offset:         288
        .size:           8
        .value_kind:     hidden_hostcall_buffer
    .group_segment_fixed_size: 0
    .kernarg_segment_align: 8
    .kernarg_segment_size: 464
    .language:       OpenCL C
    .language_version:
      - 2
      - 0
    .max_flat_workgroup_size: 128
    .name:           _ZL18flash_attn_ext_f16ILi80ELi80ELi32ELi2ELb1ELb0EEvPKcS1_S1_S1_S1_PKiPfP15HIP_vector_typeIfLj2EEffffjfiS5_IjLj3EEiiiiiiiiiiiliiliiiiil
    .private_segment_fixed_size: 16
    .sgpr_count:     36
    .sgpr_spill_count: 0
    .symbol:         _ZL18flash_attn_ext_f16ILi80ELi80ELi32ELi2ELb1ELb0EEvPKcS1_S1_S1_S1_PKiPfP15HIP_vector_typeIfLj2EEffffjfiS5_IjLj3EEiiiiiiiiiiiliiliiiiil.kd
    .uniform_work_group_size: 1
    .uses_dynamic_stack: false
    .vgpr_count:     40
    .vgpr_spill_count: 0
    .wavefront_size: 32
    .workgroup_processor_mode: 1
  - .args:
      - .address_space:  global
        .offset:         0
        .size:           8
        .value_kind:     global_buffer
      - .address_space:  global
        .offset:         8
        .size:           8
        .value_kind:     global_buffer
      - .offset:         16
        .size:           4
        .value_kind:     by_value
      - .offset:         20
        .size:           4
        .value_kind:     by_value
      - .offset:         24
        .size:           4
        .value_kind:     by_value
      - .offset:         28
        .size:           4
        .value_kind:     by_value
      - .offset:         32
        .size:           4
        .value_kind:     by_value
      - .offset:         36
        .size:           4
        .value_kind:     by_value
      - .offset:         40
        .size:           12
        .value_kind:     by_value
      - .offset:         52
        .size:           12
        .value_kind:     by_value
      - .offset:         64
        .size:           12
        .value_kind:     by_value
    .group_segment_fixed_size: 0
    .kernarg_segment_align: 8
    .kernarg_segment_size: 76
    .language:       OpenCL C
    .language_version:
      - 2
      - 0
    .max_flat_workgroup_size: 80
    .name:           _ZL33flash_attn_stream_k_fixup_uniformILi80ELi32ELi2EEvPfPK15HIP_vector_typeIfLj2EEiiiiiiS1_IjLj3EES5_S5_
    .private_segment_fixed_size: 0
    .sgpr_count:     18
    .sgpr_spill_count: 0
    .symbol:         _ZL33flash_attn_stream_k_fixup_uniformILi80ELi32ELi2EEvPfPK15HIP_vector_typeIfLj2EEiiiiiiS1_IjLj3EES5_S5_.kd
    .uniform_work_group_size: 1
    .uses_dynamic_stack: false
    .vgpr_count:     11
    .vgpr_spill_count: 0
    .wavefront_size: 32
    .workgroup_processor_mode: 1
  - .args:
      - .address_space:  global
        .offset:         0
        .size:           8
        .value_kind:     global_buffer
      - .address_space:  global
        .offset:         8
        .size:           8
        .value_kind:     global_buffer
      - .offset:         16
        .size:           4
        .value_kind:     by_value
      - .offset:         20
        .size:           4
        .value_kind:     by_value
      - .offset:         24
        .size:           4
        .value_kind:     by_value
      - .offset:         28
        .size:           4
        .value_kind:     by_value
      - .offset:         32
        .size:           12
        .value_kind:     by_value
      - .offset:         44
        .size:           12
        .value_kind:     by_value
      - .offset:         56
        .size:           12
        .value_kind:     by_value
      - .offset:         68
        .size:           12
        .value_kind:     by_value
      - .offset:         80
        .size:           4
        .value_kind:     hidden_block_count_x
      - .offset:         84
        .size:           4
        .value_kind:     hidden_block_count_y
      - .offset:         88
        .size:           4
        .value_kind:     hidden_block_count_z
      - .offset:         92
        .size:           2
        .value_kind:     hidden_group_size_x
      - .offset:         94
        .size:           2
        .value_kind:     hidden_group_size_y
      - .offset:         96
        .size:           2
        .value_kind:     hidden_group_size_z
      - .offset:         98
        .size:           2
        .value_kind:     hidden_remainder_x
      - .offset:         100
        .size:           2
        .value_kind:     hidden_remainder_y
      - .offset:         102
        .size:           2
        .value_kind:     hidden_remainder_z
      - .offset:         120
        .size:           8
        .value_kind:     hidden_global_offset_x
      - .offset:         128
        .size:           8
        .value_kind:     hidden_global_offset_y
      - .offset:         136
        .size:           8
        .value_kind:     hidden_global_offset_z
      - .offset:         144
        .size:           2
        .value_kind:     hidden_grid_dims
    .group_segment_fixed_size: 0
    .kernarg_segment_align: 8
    .kernarg_segment_size: 336
    .language:       OpenCL C
    .language_version:
      - 2
      - 0
    .max_flat_workgroup_size: 80
    .name:           _ZL33flash_attn_stream_k_fixup_generalILi80ELi32ELi2EEvPfPK15HIP_vector_typeIfLj2EEiiiiS1_IjLj3EES5_S5_S5_
    .private_segment_fixed_size: 0
    .sgpr_count:     46
    .sgpr_spill_count: 0
    .symbol:         _ZL33flash_attn_stream_k_fixup_generalILi80ELi32ELi2EEvPfPK15HIP_vector_typeIfLj2EEiiiiS1_IjLj3EES5_S5_S5_.kd
    .uniform_work_group_size: 1
    .uses_dynamic_stack: false
    .vgpr_count:     9
    .vgpr_spill_count: 0
    .wavefront_size: 32
    .workgroup_processor_mode: 1
  - .args:
      - .address_space:  global
        .offset:         0
        .size:           8
        .value_kind:     global_buffer
      - .address_space:  global
        .offset:         8
        .size:           8
        .value_kind:     global_buffer
      - .address_space:  global
        .offset:         16
        .size:           8
        .value_kind:     global_buffer
      - .offset:         24
        .size:           4
        .value_kind:     by_value
      - .offset:         32
        .size:           4
        .value_kind:     hidden_block_count_x
      - .offset:         36
        .size:           4
        .value_kind:     hidden_block_count_y
      - .offset:         40
        .size:           4
        .value_kind:     hidden_block_count_z
      - .offset:         44
        .size:           2
        .value_kind:     hidden_group_size_x
      - .offset:         46
        .size:           2
        .value_kind:     hidden_group_size_y
      - .offset:         48
        .size:           2
        .value_kind:     hidden_group_size_z
      - .offset:         50
        .size:           2
        .value_kind:     hidden_remainder_x
      - .offset:         52
        .size:           2
        .value_kind:     hidden_remainder_y
      - .offset:         54
        .size:           2
        .value_kind:     hidden_remainder_z
      - .offset:         72
        .size:           8
        .value_kind:     hidden_global_offset_x
      - .offset:         80
        .size:           8
        .value_kind:     hidden_global_offset_y
      - .offset:         88
        .size:           8
        .value_kind:     hidden_global_offset_z
      - .offset:         96
        .size:           2
        .value_kind:     hidden_grid_dims
      - .offset:         152
        .size:           4
        .value_kind:     hidden_dynamic_lds_size
    .group_segment_fixed_size: 0
    .kernarg_segment_align: 8
    .kernarg_segment_size: 288
    .language:       OpenCL C
    .language_version:
      - 2
      - 0
    .max_flat_workgroup_size: 80
    .name:           _ZL26flash_attn_combine_resultsILi80EEvPKfPK15HIP_vector_typeIfLj2EEPfi
    .private_segment_fixed_size: 0
    .sgpr_count:     21
    .sgpr_spill_count: 0
    .symbol:         _ZL26flash_attn_combine_resultsILi80EEvPKfPK15HIP_vector_typeIfLj2EEPfi.kd
    .uniform_work_group_size: 1
    .uses_dynamic_stack: false
    .vgpr_count:     55
    .vgpr_spill_count: 0
    .wavefront_size: 32
    .workgroup_processor_mode: 1
  - .args:
      - .address_space:  global
        .offset:         0
        .size:           8
        .value_kind:     global_buffer
      - .address_space:  global
        .offset:         8
        .size:           8
        .value_kind:     global_buffer
      - .address_space:  global
        .offset:         16
        .size:           8
        .value_kind:     global_buffer
      - .address_space:  global
        .offset:         24
        .size:           8
        .value_kind:     global_buffer
      - .address_space:  global
        .offset:         32
        .size:           8
        .value_kind:     global_buffer
      - .address_space:  global
        .offset:         40
        .size:           8
        .value_kind:     global_buffer
      - .address_space:  global
        .offset:         48
        .size:           8
        .value_kind:     global_buffer
      - .address_space:  global
        .offset:         56
        .size:           8
        .value_kind:     global_buffer
      - .offset:         64
        .size:           4
        .value_kind:     by_value
      - .offset:         68
        .size:           4
        .value_kind:     by_value
      - .offset:         72
        .size:           4
        .value_kind:     by_value
      - .offset:         76
        .size:           4
        .value_kind:     by_value
      - .offset:         80
        .size:           4
        .value_kind:     by_value
      - .offset:         84
        .size:           4
        .value_kind:     by_value
      - .offset:         88
        .size:           4
        .value_kind:     by_value
      - .offset:         92
        .size:           12
        .value_kind:     by_value
      - .offset:         104
        .size:           4
        .value_kind:     by_value
      - .offset:         108
        .size:           4
        .value_kind:     by_value
      - .offset:         112
        .size:           4
        .value_kind:     by_value
      - .offset:         116
        .size:           4
        .value_kind:     by_value
      - .offset:         120
        .size:           4
        .value_kind:     by_value
      - .offset:         124
        .size:           4
        .value_kind:     by_value
      - .offset:         128
        .size:           4
        .value_kind:     by_value
      - .offset:         132
        .size:           4
        .value_kind:     by_value
      - .offset:         136
        .size:           4
        .value_kind:     by_value
      - .offset:         140
        .size:           4
        .value_kind:     by_value
      - .offset:         144
        .size:           4
        .value_kind:     by_value
      - .offset:         152
        .size:           8
        .value_kind:     by_value
      - .offset:         160
        .size:           4
        .value_kind:     by_value
      - .offset:         164
        .size:           4
        .value_kind:     by_value
      - .offset:         168
        .size:           8
        .value_kind:     by_value
      - .offset:         176
        .size:           4
        .value_kind:     by_value
      - .offset:         180
        .size:           4
        .value_kind:     by_value
      - .offset:         184
        .size:           4
        .value_kind:     by_value
      - .offset:         188
        .size:           4
        .value_kind:     by_value
      - .offset:         192
        .size:           4
        .value_kind:     by_value
      - .offset:         200
        .size:           8
        .value_kind:     by_value
      - .offset:         208
        .size:           4
        .value_kind:     hidden_block_count_x
      - .offset:         212
        .size:           4
        .value_kind:     hidden_block_count_y
      - .offset:         216
        .size:           4
        .value_kind:     hidden_block_count_z
      - .offset:         220
        .size:           2
        .value_kind:     hidden_group_size_x
      - .offset:         222
        .size:           2
        .value_kind:     hidden_group_size_y
      - .offset:         224
        .size:           2
        .value_kind:     hidden_group_size_z
      - .offset:         226
        .size:           2
        .value_kind:     hidden_remainder_x
      - .offset:         228
        .size:           2
        .value_kind:     hidden_remainder_y
      - .offset:         230
        .size:           2
        .value_kind:     hidden_remainder_z
      - .offset:         248
        .size:           8
        .value_kind:     hidden_global_offset_x
      - .offset:         256
        .size:           8
        .value_kind:     hidden_global_offset_y
      - .offset:         264
        .size:           8
        .value_kind:     hidden_global_offset_z
      - .offset:         272
        .size:           2
        .value_kind:     hidden_grid_dims
      - .offset:         328
        .size:           4
        .value_kind:     hidden_dynamic_lds_size
    .group_segment_fixed_size: 0
    .kernarg_segment_align: 8
    .kernarg_segment_size: 464
    .language:       OpenCL C
    .language_version:
      - 2
      - 0
    .max_flat_workgroup_size: 128
    .name:           _ZL18flash_attn_ext_f16ILi96ELi96ELi32ELi2ELb0ELb0EEvPKcS1_S1_S1_S1_PKiPfP15HIP_vector_typeIfLj2EEffffjfiS5_IjLj3EEiiiiiiiiiiiliiliiiiil
    .private_segment_fixed_size: 636
    .sgpr_count:     107
    .sgpr_spill_count: 27
    .symbol:         _ZL18flash_attn_ext_f16ILi96ELi96ELi32ELi2ELb0ELb0EEvPKcS1_S1_S1_S1_PKiPfP15HIP_vector_typeIfLj2EEffffjfiS5_IjLj3EEiiiiiiiiiiiliiliiiiil.kd
    .uniform_work_group_size: 1
    .uses_dynamic_stack: false
    .vgpr_count:     256
    .vgpr_spill_count: 171
    .wavefront_size: 32
    .workgroup_processor_mode: 1
  - .args:
      - .address_space:  global
        .offset:         0
        .size:           8
        .value_kind:     global_buffer
      - .address_space:  global
        .offset:         8
        .size:           8
        .value_kind:     global_buffer
      - .address_space:  global
        .offset:         16
        .size:           8
        .value_kind:     global_buffer
      - .address_space:  global
        .offset:         24
        .size:           8
        .value_kind:     global_buffer
      - .address_space:  global
        .offset:         32
        .size:           8
        .value_kind:     global_buffer
      - .address_space:  global
        .offset:         40
        .size:           8
        .value_kind:     global_buffer
      - .address_space:  global
        .offset:         48
        .size:           8
        .value_kind:     global_buffer
      - .address_space:  global
        .offset:         56
        .size:           8
        .value_kind:     global_buffer
      - .offset:         64
        .size:           4
        .value_kind:     by_value
      - .offset:         68
        .size:           4
        .value_kind:     by_value
      - .offset:         72
        .size:           4
        .value_kind:     by_value
      - .offset:         76
        .size:           4
        .value_kind:     by_value
      - .offset:         80
        .size:           4
        .value_kind:     by_value
      - .offset:         84
        .size:           4
        .value_kind:     by_value
      - .offset:         88
        .size:           4
        .value_kind:     by_value
      - .offset:         92
        .size:           12
        .value_kind:     by_value
      - .offset:         104
        .size:           4
        .value_kind:     by_value
      - .offset:         108
        .size:           4
        .value_kind:     by_value
      - .offset:         112
        .size:           4
        .value_kind:     by_value
      - .offset:         116
        .size:           4
        .value_kind:     by_value
      - .offset:         120
        .size:           4
        .value_kind:     by_value
      - .offset:         124
        .size:           4
        .value_kind:     by_value
      - .offset:         128
        .size:           4
        .value_kind:     by_value
      - .offset:         132
        .size:           4
        .value_kind:     by_value
      - .offset:         136
        .size:           4
        .value_kind:     by_value
      - .offset:         140
        .size:           4
        .value_kind:     by_value
      - .offset:         144
        .size:           4
        .value_kind:     by_value
      - .offset:         152
        .size:           8
        .value_kind:     by_value
      - .offset:         160
        .size:           4
        .value_kind:     by_value
      - .offset:         164
        .size:           4
        .value_kind:     by_value
      - .offset:         168
        .size:           8
        .value_kind:     by_value
      - .offset:         176
        .size:           4
        .value_kind:     by_value
      - .offset:         180
        .size:           4
        .value_kind:     by_value
      - .offset:         184
        .size:           4
        .value_kind:     by_value
      - .offset:         188
        .size:           4
        .value_kind:     by_value
      - .offset:         192
        .size:           4
        .value_kind:     by_value
      - .offset:         200
        .size:           8
        .value_kind:     by_value
      - .offset:         208
        .size:           4
        .value_kind:     hidden_block_count_x
      - .offset:         212
        .size:           4
        .value_kind:     hidden_block_count_y
      - .offset:         216
        .size:           4
        .value_kind:     hidden_block_count_z
      - .offset:         220
        .size:           2
        .value_kind:     hidden_group_size_x
      - .offset:         222
        .size:           2
        .value_kind:     hidden_group_size_y
      - .offset:         224
        .size:           2
        .value_kind:     hidden_group_size_z
      - .offset:         226
        .size:           2
        .value_kind:     hidden_remainder_x
      - .offset:         228
        .size:           2
        .value_kind:     hidden_remainder_y
      - .offset:         230
        .size:           2
        .value_kind:     hidden_remainder_z
      - .offset:         248
        .size:           8
        .value_kind:     hidden_global_offset_x
      - .offset:         256
        .size:           8
        .value_kind:     hidden_global_offset_y
      - .offset:         264
        .size:           8
        .value_kind:     hidden_global_offset_z
      - .offset:         272
        .size:           2
        .value_kind:     hidden_grid_dims
      - .offset:         288
        .size:           8
        .value_kind:     hidden_hostcall_buffer
    .group_segment_fixed_size: 0
    .kernarg_segment_align: 8
    .kernarg_segment_size: 464
    .language:       OpenCL C
    .language_version:
      - 2
      - 0
    .max_flat_workgroup_size: 128
    .name:           _ZL18flash_attn_ext_f16ILi96ELi96ELi32ELi2ELb1ELb0EEvPKcS1_S1_S1_S1_PKiPfP15HIP_vector_typeIfLj2EEffffjfiS5_IjLj3EEiiiiiiiiiiiliiliiiiil
    .private_segment_fixed_size: 16
    .sgpr_count:     36
    .sgpr_spill_count: 0
    .symbol:         _ZL18flash_attn_ext_f16ILi96ELi96ELi32ELi2ELb1ELb0EEvPKcS1_S1_S1_S1_PKiPfP15HIP_vector_typeIfLj2EEffffjfiS5_IjLj3EEiiiiiiiiiiiliiliiiiil.kd
    .uniform_work_group_size: 1
    .uses_dynamic_stack: false
    .vgpr_count:     40
    .vgpr_spill_count: 0
    .wavefront_size: 32
    .workgroup_processor_mode: 1
  - .args:
      - .address_space:  global
        .offset:         0
        .size:           8
        .value_kind:     global_buffer
      - .address_space:  global
        .offset:         8
        .size:           8
        .value_kind:     global_buffer
      - .offset:         16
        .size:           4
        .value_kind:     by_value
      - .offset:         20
        .size:           4
        .value_kind:     by_value
      - .offset:         24
        .size:           4
        .value_kind:     by_value
      - .offset:         28
        .size:           4
        .value_kind:     by_value
      - .offset:         32
        .size:           4
        .value_kind:     by_value
      - .offset:         36
        .size:           4
        .value_kind:     by_value
      - .offset:         40
        .size:           12
        .value_kind:     by_value
      - .offset:         52
        .size:           12
        .value_kind:     by_value
      - .offset:         64
        .size:           12
        .value_kind:     by_value
    .group_segment_fixed_size: 0
    .kernarg_segment_align: 8
    .kernarg_segment_size: 76
    .language:       OpenCL C
    .language_version:
      - 2
      - 0
    .max_flat_workgroup_size: 96
    .name:           _ZL33flash_attn_stream_k_fixup_uniformILi96ELi32ELi2EEvPfPK15HIP_vector_typeIfLj2EEiiiiiiS1_IjLj3EES5_S5_
    .private_segment_fixed_size: 0
    .sgpr_count:     18
    .sgpr_spill_count: 0
    .symbol:         _ZL33flash_attn_stream_k_fixup_uniformILi96ELi32ELi2EEvPfPK15HIP_vector_typeIfLj2EEiiiiiiS1_IjLj3EES5_S5_.kd
    .uniform_work_group_size: 1
    .uses_dynamic_stack: false
    .vgpr_count:     11
    .vgpr_spill_count: 0
    .wavefront_size: 32
    .workgroup_processor_mode: 1
  - .args:
      - .address_space:  global
        .offset:         0
        .size:           8
        .value_kind:     global_buffer
      - .address_space:  global
        .offset:         8
        .size:           8
        .value_kind:     global_buffer
      - .offset:         16
        .size:           4
        .value_kind:     by_value
      - .offset:         20
        .size:           4
        .value_kind:     by_value
      - .offset:         24
        .size:           4
        .value_kind:     by_value
      - .offset:         28
        .size:           4
        .value_kind:     by_value
      - .offset:         32
        .size:           12
        .value_kind:     by_value
      - .offset:         44
        .size:           12
        .value_kind:     by_value
      - .offset:         56
        .size:           12
        .value_kind:     by_value
      - .offset:         68
        .size:           12
        .value_kind:     by_value
      - .offset:         80
        .size:           4
        .value_kind:     hidden_block_count_x
      - .offset:         84
        .size:           4
        .value_kind:     hidden_block_count_y
      - .offset:         88
        .size:           4
        .value_kind:     hidden_block_count_z
      - .offset:         92
        .size:           2
        .value_kind:     hidden_group_size_x
      - .offset:         94
        .size:           2
        .value_kind:     hidden_group_size_y
      - .offset:         96
        .size:           2
        .value_kind:     hidden_group_size_z
      - .offset:         98
        .size:           2
        .value_kind:     hidden_remainder_x
      - .offset:         100
        .size:           2
        .value_kind:     hidden_remainder_y
      - .offset:         102
        .size:           2
        .value_kind:     hidden_remainder_z
      - .offset:         120
        .size:           8
        .value_kind:     hidden_global_offset_x
      - .offset:         128
        .size:           8
        .value_kind:     hidden_global_offset_y
      - .offset:         136
        .size:           8
        .value_kind:     hidden_global_offset_z
      - .offset:         144
        .size:           2
        .value_kind:     hidden_grid_dims
    .group_segment_fixed_size: 0
    .kernarg_segment_align: 8
    .kernarg_segment_size: 336
    .language:       OpenCL C
    .language_version:
      - 2
      - 0
    .max_flat_workgroup_size: 96
    .name:           _ZL33flash_attn_stream_k_fixup_generalILi96ELi32ELi2EEvPfPK15HIP_vector_typeIfLj2EEiiiiS1_IjLj3EES5_S5_S5_
    .private_segment_fixed_size: 0
    .sgpr_count:     46
    .sgpr_spill_count: 0
    .symbol:         _ZL33flash_attn_stream_k_fixup_generalILi96ELi32ELi2EEvPfPK15HIP_vector_typeIfLj2EEiiiiS1_IjLj3EES5_S5_S5_.kd
    .uniform_work_group_size: 1
    .uses_dynamic_stack: false
    .vgpr_count:     9
    .vgpr_spill_count: 0
    .wavefront_size: 32
    .workgroup_processor_mode: 1
  - .args:
      - .address_space:  global
        .offset:         0
        .size:           8
        .value_kind:     global_buffer
      - .address_space:  global
        .offset:         8
        .size:           8
        .value_kind:     global_buffer
      - .address_space:  global
        .offset:         16
        .size:           8
        .value_kind:     global_buffer
      - .offset:         24
        .size:           4
        .value_kind:     by_value
      - .offset:         32
        .size:           4
        .value_kind:     hidden_block_count_x
      - .offset:         36
        .size:           4
        .value_kind:     hidden_block_count_y
      - .offset:         40
        .size:           4
        .value_kind:     hidden_block_count_z
      - .offset:         44
        .size:           2
        .value_kind:     hidden_group_size_x
      - .offset:         46
        .size:           2
        .value_kind:     hidden_group_size_y
      - .offset:         48
        .size:           2
        .value_kind:     hidden_group_size_z
      - .offset:         50
        .size:           2
        .value_kind:     hidden_remainder_x
      - .offset:         52
        .size:           2
        .value_kind:     hidden_remainder_y
      - .offset:         54
        .size:           2
        .value_kind:     hidden_remainder_z
      - .offset:         72
        .size:           8
        .value_kind:     hidden_global_offset_x
      - .offset:         80
        .size:           8
        .value_kind:     hidden_global_offset_y
      - .offset:         88
        .size:           8
        .value_kind:     hidden_global_offset_z
      - .offset:         96
        .size:           2
        .value_kind:     hidden_grid_dims
      - .offset:         152
        .size:           4
        .value_kind:     hidden_dynamic_lds_size
    .group_segment_fixed_size: 0
    .kernarg_segment_align: 8
    .kernarg_segment_size: 288
    .language:       OpenCL C
    .language_version:
      - 2
      - 0
    .max_flat_workgroup_size: 96
    .name:           _ZL26flash_attn_combine_resultsILi96EEvPKfPK15HIP_vector_typeIfLj2EEPfi
    .private_segment_fixed_size: 0
    .sgpr_count:     22
    .sgpr_spill_count: 0
    .symbol:         _ZL26flash_attn_combine_resultsILi96EEvPKfPK15HIP_vector_typeIfLj2EEPfi.kd
    .uniform_work_group_size: 1
    .uses_dynamic_stack: false
    .vgpr_count:     57
    .vgpr_spill_count: 0
    .wavefront_size: 32
    .workgroup_processor_mode: 1
  - .args:
      - .address_space:  global
        .offset:         0
        .size:           8
        .value_kind:     global_buffer
      - .address_space:  global
        .offset:         8
        .size:           8
        .value_kind:     global_buffer
      - .address_space:  global
        .offset:         16
        .size:           8
        .value_kind:     global_buffer
      - .address_space:  global
        .offset:         24
        .size:           8
        .value_kind:     global_buffer
      - .address_space:  global
        .offset:         32
        .size:           8
        .value_kind:     global_buffer
      - .address_space:  global
        .offset:         40
        .size:           8
        .value_kind:     global_buffer
      - .address_space:  global
        .offset:         48
        .size:           8
        .value_kind:     global_buffer
      - .address_space:  global
        .offset:         56
        .size:           8
        .value_kind:     global_buffer
      - .offset:         64
        .size:           4
        .value_kind:     by_value
      - .offset:         68
        .size:           4
        .value_kind:     by_value
      - .offset:         72
        .size:           4
        .value_kind:     by_value
      - .offset:         76
        .size:           4
        .value_kind:     by_value
      - .offset:         80
        .size:           4
        .value_kind:     by_value
      - .offset:         84
        .size:           4
        .value_kind:     by_value
      - .offset:         88
        .size:           4
        .value_kind:     by_value
      - .offset:         92
        .size:           12
        .value_kind:     by_value
      - .offset:         104
        .size:           4
        .value_kind:     by_value
      - .offset:         108
        .size:           4
        .value_kind:     by_value
      - .offset:         112
        .size:           4
        .value_kind:     by_value
      - .offset:         116
        .size:           4
        .value_kind:     by_value
      - .offset:         120
        .size:           4
        .value_kind:     by_value
      - .offset:         124
        .size:           4
        .value_kind:     by_value
      - .offset:         128
        .size:           4
        .value_kind:     by_value
      - .offset:         132
        .size:           4
        .value_kind:     by_value
      - .offset:         136
        .size:           4
        .value_kind:     by_value
      - .offset:         140
        .size:           4
        .value_kind:     by_value
      - .offset:         144
        .size:           4
        .value_kind:     by_value
      - .offset:         152
        .size:           8
        .value_kind:     by_value
      - .offset:         160
        .size:           4
        .value_kind:     by_value
      - .offset:         164
        .size:           4
        .value_kind:     by_value
      - .offset:         168
        .size:           8
        .value_kind:     by_value
      - .offset:         176
        .size:           4
        .value_kind:     by_value
      - .offset:         180
        .size:           4
        .value_kind:     by_value
      - .offset:         184
        .size:           4
        .value_kind:     by_value
      - .offset:         188
        .size:           4
        .value_kind:     by_value
      - .offset:         192
        .size:           4
        .value_kind:     by_value
      - .offset:         200
        .size:           8
        .value_kind:     by_value
      - .offset:         208
        .size:           4
        .value_kind:     hidden_block_count_x
      - .offset:         212
        .size:           4
        .value_kind:     hidden_block_count_y
      - .offset:         216
        .size:           4
        .value_kind:     hidden_block_count_z
      - .offset:         220
        .size:           2
        .value_kind:     hidden_group_size_x
      - .offset:         222
        .size:           2
        .value_kind:     hidden_group_size_y
      - .offset:         224
        .size:           2
        .value_kind:     hidden_group_size_z
      - .offset:         226
        .size:           2
        .value_kind:     hidden_remainder_x
      - .offset:         228
        .size:           2
        .value_kind:     hidden_remainder_y
      - .offset:         230
        .size:           2
        .value_kind:     hidden_remainder_z
      - .offset:         248
        .size:           8
        .value_kind:     hidden_global_offset_x
      - .offset:         256
        .size:           8
        .value_kind:     hidden_global_offset_y
      - .offset:         264
        .size:           8
        .value_kind:     hidden_global_offset_z
      - .offset:         272
        .size:           2
        .value_kind:     hidden_grid_dims
      - .offset:         328
        .size:           4
        .value_kind:     hidden_dynamic_lds_size
    .group_segment_fixed_size: 0
    .kernarg_segment_align: 8
    .kernarg_segment_size: 464
    .language:       OpenCL C
    .language_version:
      - 2
      - 0
    .max_flat_workgroup_size: 128
    .name:           _ZL18flash_attn_ext_f16ILi112ELi112ELi32ELi2ELb0ELb0EEvPKcS1_S1_S1_S1_PKiPfP15HIP_vector_typeIfLj2EEffffjfiS5_IjLj3EEiiiiiiiiiiiliiliiiiil
    .private_segment_fixed_size: 916
    .sgpr_count:     107
    .sgpr_spill_count: 31
    .symbol:         _ZL18flash_attn_ext_f16ILi112ELi112ELi32ELi2ELb0ELb0EEvPKcS1_S1_S1_S1_PKiPfP15HIP_vector_typeIfLj2EEffffjfiS5_IjLj3EEiiiiiiiiiiiliiliiiiil.kd
    .uniform_work_group_size: 1
    .uses_dynamic_stack: false
    .vgpr_count:     256
    .vgpr_spill_count: 290
    .wavefront_size: 32
    .workgroup_processor_mode: 1
  - .args:
      - .address_space:  global
        .offset:         0
        .size:           8
        .value_kind:     global_buffer
      - .address_space:  global
        .offset:         8
        .size:           8
        .value_kind:     global_buffer
      - .address_space:  global
        .offset:         16
        .size:           8
        .value_kind:     global_buffer
      - .address_space:  global
        .offset:         24
        .size:           8
        .value_kind:     global_buffer
      - .address_space:  global
        .offset:         32
        .size:           8
        .value_kind:     global_buffer
      - .address_space:  global
        .offset:         40
        .size:           8
        .value_kind:     global_buffer
      - .address_space:  global
        .offset:         48
        .size:           8
        .value_kind:     global_buffer
      - .address_space:  global
        .offset:         56
        .size:           8
        .value_kind:     global_buffer
      - .offset:         64
        .size:           4
        .value_kind:     by_value
      - .offset:         68
        .size:           4
        .value_kind:     by_value
      - .offset:         72
        .size:           4
        .value_kind:     by_value
      - .offset:         76
        .size:           4
        .value_kind:     by_value
      - .offset:         80
        .size:           4
        .value_kind:     by_value
      - .offset:         84
        .size:           4
        .value_kind:     by_value
      - .offset:         88
        .size:           4
        .value_kind:     by_value
      - .offset:         92
        .size:           12
        .value_kind:     by_value
      - .offset:         104
        .size:           4
        .value_kind:     by_value
      - .offset:         108
        .size:           4
        .value_kind:     by_value
      - .offset:         112
        .size:           4
        .value_kind:     by_value
      - .offset:         116
        .size:           4
        .value_kind:     by_value
      - .offset:         120
        .size:           4
        .value_kind:     by_value
      - .offset:         124
        .size:           4
        .value_kind:     by_value
      - .offset:         128
        .size:           4
        .value_kind:     by_value
      - .offset:         132
        .size:           4
        .value_kind:     by_value
      - .offset:         136
        .size:           4
        .value_kind:     by_value
      - .offset:         140
        .size:           4
        .value_kind:     by_value
      - .offset:         144
        .size:           4
        .value_kind:     by_value
      - .offset:         152
        .size:           8
        .value_kind:     by_value
      - .offset:         160
        .size:           4
        .value_kind:     by_value
      - .offset:         164
        .size:           4
        .value_kind:     by_value
      - .offset:         168
        .size:           8
        .value_kind:     by_value
      - .offset:         176
        .size:           4
        .value_kind:     by_value
      - .offset:         180
        .size:           4
        .value_kind:     by_value
      - .offset:         184
        .size:           4
        .value_kind:     by_value
      - .offset:         188
        .size:           4
        .value_kind:     by_value
      - .offset:         192
        .size:           4
        .value_kind:     by_value
      - .offset:         200
        .size:           8
        .value_kind:     by_value
      - .offset:         208
        .size:           4
        .value_kind:     hidden_block_count_x
      - .offset:         212
        .size:           4
        .value_kind:     hidden_block_count_y
      - .offset:         216
        .size:           4
        .value_kind:     hidden_block_count_z
      - .offset:         220
        .size:           2
        .value_kind:     hidden_group_size_x
      - .offset:         222
        .size:           2
        .value_kind:     hidden_group_size_y
      - .offset:         224
        .size:           2
        .value_kind:     hidden_group_size_z
      - .offset:         226
        .size:           2
        .value_kind:     hidden_remainder_x
      - .offset:         228
        .size:           2
        .value_kind:     hidden_remainder_y
      - .offset:         230
        .size:           2
        .value_kind:     hidden_remainder_z
      - .offset:         248
        .size:           8
        .value_kind:     hidden_global_offset_x
      - .offset:         256
        .size:           8
        .value_kind:     hidden_global_offset_y
      - .offset:         264
        .size:           8
        .value_kind:     hidden_global_offset_z
      - .offset:         272
        .size:           2
        .value_kind:     hidden_grid_dims
      - .offset:         288
        .size:           8
        .value_kind:     hidden_hostcall_buffer
    .group_segment_fixed_size: 0
    .kernarg_segment_align: 8
    .kernarg_segment_size: 464
    .language:       OpenCL C
    .language_version:
      - 2
      - 0
    .max_flat_workgroup_size: 128
    .name:           _ZL18flash_attn_ext_f16ILi112ELi112ELi32ELi2ELb1ELb0EEvPKcS1_S1_S1_S1_PKiPfP15HIP_vector_typeIfLj2EEffffjfiS5_IjLj3EEiiiiiiiiiiiliiliiiiil
    .private_segment_fixed_size: 16
    .sgpr_count:     36
    .sgpr_spill_count: 0
    .symbol:         _ZL18flash_attn_ext_f16ILi112ELi112ELi32ELi2ELb1ELb0EEvPKcS1_S1_S1_S1_PKiPfP15HIP_vector_typeIfLj2EEffffjfiS5_IjLj3EEiiiiiiiiiiiliiliiiiil.kd
    .uniform_work_group_size: 1
    .uses_dynamic_stack: false
    .vgpr_count:     40
    .vgpr_spill_count: 0
    .wavefront_size: 32
    .workgroup_processor_mode: 1
  - .args:
      - .address_space:  global
        .offset:         0
        .size:           8
        .value_kind:     global_buffer
      - .address_space:  global
        .offset:         8
        .size:           8
        .value_kind:     global_buffer
      - .offset:         16
        .size:           4
        .value_kind:     by_value
      - .offset:         20
        .size:           4
        .value_kind:     by_value
      - .offset:         24
        .size:           4
        .value_kind:     by_value
      - .offset:         28
        .size:           4
        .value_kind:     by_value
      - .offset:         32
        .size:           4
        .value_kind:     by_value
      - .offset:         36
        .size:           4
        .value_kind:     by_value
      - .offset:         40
        .size:           12
        .value_kind:     by_value
      - .offset:         52
        .size:           12
        .value_kind:     by_value
      - .offset:         64
        .size:           12
        .value_kind:     by_value
    .group_segment_fixed_size: 0
    .kernarg_segment_align: 8
    .kernarg_segment_size: 76
    .language:       OpenCL C
    .language_version:
      - 2
      - 0
    .max_flat_workgroup_size: 112
    .name:           _ZL33flash_attn_stream_k_fixup_uniformILi112ELi32ELi2EEvPfPK15HIP_vector_typeIfLj2EEiiiiiiS1_IjLj3EES5_S5_
    .private_segment_fixed_size: 0
    .sgpr_count:     18
    .sgpr_spill_count: 0
    .symbol:         _ZL33flash_attn_stream_k_fixup_uniformILi112ELi32ELi2EEvPfPK15HIP_vector_typeIfLj2EEiiiiiiS1_IjLj3EES5_S5_.kd
    .uniform_work_group_size: 1
    .uses_dynamic_stack: false
    .vgpr_count:     11
    .vgpr_spill_count: 0
    .wavefront_size: 32
    .workgroup_processor_mode: 1
  - .args:
      - .address_space:  global
        .offset:         0
        .size:           8
        .value_kind:     global_buffer
      - .address_space:  global
        .offset:         8
        .size:           8
        .value_kind:     global_buffer
      - .offset:         16
        .size:           4
        .value_kind:     by_value
      - .offset:         20
        .size:           4
        .value_kind:     by_value
      - .offset:         24
        .size:           4
        .value_kind:     by_value
      - .offset:         28
        .size:           4
        .value_kind:     by_value
      - .offset:         32
        .size:           12
        .value_kind:     by_value
      - .offset:         44
        .size:           12
        .value_kind:     by_value
      - .offset:         56
        .size:           12
        .value_kind:     by_value
      - .offset:         68
        .size:           12
        .value_kind:     by_value
      - .offset:         80
        .size:           4
        .value_kind:     hidden_block_count_x
      - .offset:         84
        .size:           4
        .value_kind:     hidden_block_count_y
      - .offset:         88
        .size:           4
        .value_kind:     hidden_block_count_z
      - .offset:         92
        .size:           2
        .value_kind:     hidden_group_size_x
      - .offset:         94
        .size:           2
        .value_kind:     hidden_group_size_y
      - .offset:         96
        .size:           2
        .value_kind:     hidden_group_size_z
      - .offset:         98
        .size:           2
        .value_kind:     hidden_remainder_x
      - .offset:         100
        .size:           2
        .value_kind:     hidden_remainder_y
      - .offset:         102
        .size:           2
        .value_kind:     hidden_remainder_z
      - .offset:         120
        .size:           8
        .value_kind:     hidden_global_offset_x
      - .offset:         128
        .size:           8
        .value_kind:     hidden_global_offset_y
      - .offset:         136
        .size:           8
        .value_kind:     hidden_global_offset_z
      - .offset:         144
        .size:           2
        .value_kind:     hidden_grid_dims
    .group_segment_fixed_size: 0
    .kernarg_segment_align: 8
    .kernarg_segment_size: 336
    .language:       OpenCL C
    .language_version:
      - 2
      - 0
    .max_flat_workgroup_size: 112
    .name:           _ZL33flash_attn_stream_k_fixup_generalILi112ELi32ELi2EEvPfPK15HIP_vector_typeIfLj2EEiiiiS1_IjLj3EES5_S5_S5_
    .private_segment_fixed_size: 0
    .sgpr_count:     46
    .sgpr_spill_count: 0
    .symbol:         _ZL33flash_attn_stream_k_fixup_generalILi112ELi32ELi2EEvPfPK15HIP_vector_typeIfLj2EEiiiiS1_IjLj3EES5_S5_S5_.kd
    .uniform_work_group_size: 1
    .uses_dynamic_stack: false
    .vgpr_count:     9
    .vgpr_spill_count: 0
    .wavefront_size: 32
    .workgroup_processor_mode: 1
  - .args:
      - .address_space:  global
        .offset:         0
        .size:           8
        .value_kind:     global_buffer
      - .address_space:  global
        .offset:         8
        .size:           8
        .value_kind:     global_buffer
      - .address_space:  global
        .offset:         16
        .size:           8
        .value_kind:     global_buffer
      - .offset:         24
        .size:           4
        .value_kind:     by_value
      - .offset:         32
        .size:           4
        .value_kind:     hidden_block_count_x
      - .offset:         36
        .size:           4
        .value_kind:     hidden_block_count_y
      - .offset:         40
        .size:           4
        .value_kind:     hidden_block_count_z
      - .offset:         44
        .size:           2
        .value_kind:     hidden_group_size_x
      - .offset:         46
        .size:           2
        .value_kind:     hidden_group_size_y
      - .offset:         48
        .size:           2
        .value_kind:     hidden_group_size_z
      - .offset:         50
        .size:           2
        .value_kind:     hidden_remainder_x
      - .offset:         52
        .size:           2
        .value_kind:     hidden_remainder_y
      - .offset:         54
        .size:           2
        .value_kind:     hidden_remainder_z
      - .offset:         72
        .size:           8
        .value_kind:     hidden_global_offset_x
      - .offset:         80
        .size:           8
        .value_kind:     hidden_global_offset_y
      - .offset:         88
        .size:           8
        .value_kind:     hidden_global_offset_z
      - .offset:         96
        .size:           2
        .value_kind:     hidden_grid_dims
      - .offset:         152
        .size:           4
        .value_kind:     hidden_dynamic_lds_size
    .group_segment_fixed_size: 0
    .kernarg_segment_align: 8
    .kernarg_segment_size: 288
    .language:       OpenCL C
    .language_version:
      - 2
      - 0
    .max_flat_workgroup_size: 112
    .name:           _ZL26flash_attn_combine_resultsILi112EEvPKfPK15HIP_vector_typeIfLj2EEPfi
    .private_segment_fixed_size: 0
    .sgpr_count:     21
    .sgpr_spill_count: 0
    .symbol:         _ZL26flash_attn_combine_resultsILi112EEvPKfPK15HIP_vector_typeIfLj2EEPfi.kd
    .uniform_work_group_size: 1
    .uses_dynamic_stack: false
    .vgpr_count:     55
    .vgpr_spill_count: 0
    .wavefront_size: 32
    .workgroup_processor_mode: 1
  - .args:
      - .address_space:  global
        .offset:         0
        .size:           8
        .value_kind:     global_buffer
      - .address_space:  global
        .offset:         8
        .size:           8
        .value_kind:     global_buffer
      - .address_space:  global
        .offset:         16
        .size:           8
        .value_kind:     global_buffer
      - .address_space:  global
        .offset:         24
        .size:           8
        .value_kind:     global_buffer
      - .address_space:  global
        .offset:         32
        .size:           8
        .value_kind:     global_buffer
      - .address_space:  global
        .offset:         40
        .size:           8
        .value_kind:     global_buffer
      - .address_space:  global
        .offset:         48
        .size:           8
        .value_kind:     global_buffer
      - .address_space:  global
        .offset:         56
        .size:           8
        .value_kind:     global_buffer
      - .offset:         64
        .size:           4
        .value_kind:     by_value
      - .offset:         68
        .size:           4
        .value_kind:     by_value
      - .offset:         72
        .size:           4
        .value_kind:     by_value
      - .offset:         76
        .size:           4
        .value_kind:     by_value
      - .offset:         80
        .size:           4
        .value_kind:     by_value
      - .offset:         84
        .size:           4
        .value_kind:     by_value
      - .offset:         88
        .size:           4
        .value_kind:     by_value
      - .offset:         92
        .size:           12
        .value_kind:     by_value
      - .offset:         104
        .size:           4
        .value_kind:     by_value
      - .offset:         108
        .size:           4
        .value_kind:     by_value
      - .offset:         112
        .size:           4
        .value_kind:     by_value
      - .offset:         116
        .size:           4
        .value_kind:     by_value
      - .offset:         120
        .size:           4
        .value_kind:     by_value
      - .offset:         124
        .size:           4
        .value_kind:     by_value
      - .offset:         128
        .size:           4
        .value_kind:     by_value
      - .offset:         132
        .size:           4
        .value_kind:     by_value
      - .offset:         136
        .size:           4
        .value_kind:     by_value
      - .offset:         140
        .size:           4
        .value_kind:     by_value
      - .offset:         144
        .size:           4
        .value_kind:     by_value
      - .offset:         152
        .size:           8
        .value_kind:     by_value
      - .offset:         160
        .size:           4
        .value_kind:     by_value
      - .offset:         164
        .size:           4
        .value_kind:     by_value
      - .offset:         168
        .size:           8
        .value_kind:     by_value
      - .offset:         176
        .size:           4
        .value_kind:     by_value
      - .offset:         180
        .size:           4
        .value_kind:     by_value
      - .offset:         184
        .size:           4
        .value_kind:     by_value
      - .offset:         188
        .size:           4
        .value_kind:     by_value
      - .offset:         192
        .size:           4
        .value_kind:     by_value
      - .offset:         200
        .size:           8
        .value_kind:     by_value
      - .offset:         208
        .size:           4
        .value_kind:     hidden_block_count_x
      - .offset:         212
        .size:           4
        .value_kind:     hidden_block_count_y
      - .offset:         216
        .size:           4
        .value_kind:     hidden_block_count_z
      - .offset:         220
        .size:           2
        .value_kind:     hidden_group_size_x
      - .offset:         222
        .size:           2
        .value_kind:     hidden_group_size_y
      - .offset:         224
        .size:           2
        .value_kind:     hidden_group_size_z
      - .offset:         226
        .size:           2
        .value_kind:     hidden_remainder_x
      - .offset:         228
        .size:           2
        .value_kind:     hidden_remainder_y
      - .offset:         230
        .size:           2
        .value_kind:     hidden_remainder_z
      - .offset:         248
        .size:           8
        .value_kind:     hidden_global_offset_x
      - .offset:         256
        .size:           8
        .value_kind:     hidden_global_offset_y
      - .offset:         264
        .size:           8
        .value_kind:     hidden_global_offset_z
      - .offset:         272
        .size:           2
        .value_kind:     hidden_grid_dims
      - .offset:         328
        .size:           4
        .value_kind:     hidden_dynamic_lds_size
    .group_segment_fixed_size: 0
    .kernarg_segment_align: 8
    .kernarg_segment_size: 464
    .language:       OpenCL C
    .language_version:
      - 2
      - 0
    .max_flat_workgroup_size: 128
    .name:           _ZL18flash_attn_ext_f16ILi128ELi128ELi32ELi2ELb0ELb0EEvPKcS1_S1_S1_S1_PKiPfP15HIP_vector_typeIfLj2EEffffjfiS5_IjLj3EEiiiiiiiiiiiliiliiiiil
    .private_segment_fixed_size: 884
    .sgpr_count:     107
    .sgpr_spill_count: 18
    .symbol:         _ZL18flash_attn_ext_f16ILi128ELi128ELi32ELi2ELb0ELb0EEvPKcS1_S1_S1_S1_PKiPfP15HIP_vector_typeIfLj2EEffffjfiS5_IjLj3EEiiiiiiiiiiiliiliiiiil.kd
    .uniform_work_group_size: 1
    .uses_dynamic_stack: false
    .vgpr_count:     256
    .vgpr_spill_count: 267
    .wavefront_size: 32
    .workgroup_processor_mode: 1
  - .args:
      - .address_space:  global
        .offset:         0
        .size:           8
        .value_kind:     global_buffer
      - .address_space:  global
        .offset:         8
        .size:           8
        .value_kind:     global_buffer
      - .address_space:  global
        .offset:         16
        .size:           8
        .value_kind:     global_buffer
      - .address_space:  global
        .offset:         24
        .size:           8
        .value_kind:     global_buffer
      - .address_space:  global
        .offset:         32
        .size:           8
        .value_kind:     global_buffer
      - .address_space:  global
        .offset:         40
        .size:           8
        .value_kind:     global_buffer
      - .address_space:  global
        .offset:         48
        .size:           8
        .value_kind:     global_buffer
      - .address_space:  global
        .offset:         56
        .size:           8
        .value_kind:     global_buffer
      - .offset:         64
        .size:           4
        .value_kind:     by_value
      - .offset:         68
        .size:           4
        .value_kind:     by_value
      - .offset:         72
        .size:           4
        .value_kind:     by_value
      - .offset:         76
        .size:           4
        .value_kind:     by_value
      - .offset:         80
        .size:           4
        .value_kind:     by_value
      - .offset:         84
        .size:           4
        .value_kind:     by_value
      - .offset:         88
        .size:           4
        .value_kind:     by_value
      - .offset:         92
        .size:           12
        .value_kind:     by_value
      - .offset:         104
        .size:           4
        .value_kind:     by_value
      - .offset:         108
        .size:           4
        .value_kind:     by_value
      - .offset:         112
        .size:           4
        .value_kind:     by_value
      - .offset:         116
        .size:           4
        .value_kind:     by_value
      - .offset:         120
        .size:           4
        .value_kind:     by_value
      - .offset:         124
        .size:           4
        .value_kind:     by_value
      - .offset:         128
        .size:           4
        .value_kind:     by_value
      - .offset:         132
        .size:           4
        .value_kind:     by_value
      - .offset:         136
        .size:           4
        .value_kind:     by_value
      - .offset:         140
        .size:           4
        .value_kind:     by_value
      - .offset:         144
        .size:           4
        .value_kind:     by_value
      - .offset:         152
        .size:           8
        .value_kind:     by_value
      - .offset:         160
        .size:           4
        .value_kind:     by_value
      - .offset:         164
        .size:           4
        .value_kind:     by_value
      - .offset:         168
        .size:           8
        .value_kind:     by_value
      - .offset:         176
        .size:           4
        .value_kind:     by_value
      - .offset:         180
        .size:           4
        .value_kind:     by_value
      - .offset:         184
        .size:           4
        .value_kind:     by_value
      - .offset:         188
        .size:           4
        .value_kind:     by_value
      - .offset:         192
        .size:           4
        .value_kind:     by_value
      - .offset:         200
        .size:           8
        .value_kind:     by_value
      - .offset:         208
        .size:           4
        .value_kind:     hidden_block_count_x
      - .offset:         212
        .size:           4
        .value_kind:     hidden_block_count_y
      - .offset:         216
        .size:           4
        .value_kind:     hidden_block_count_z
      - .offset:         220
        .size:           2
        .value_kind:     hidden_group_size_x
      - .offset:         222
        .size:           2
        .value_kind:     hidden_group_size_y
      - .offset:         224
        .size:           2
        .value_kind:     hidden_group_size_z
      - .offset:         226
        .size:           2
        .value_kind:     hidden_remainder_x
      - .offset:         228
        .size:           2
        .value_kind:     hidden_remainder_y
      - .offset:         230
        .size:           2
        .value_kind:     hidden_remainder_z
      - .offset:         248
        .size:           8
        .value_kind:     hidden_global_offset_x
      - .offset:         256
        .size:           8
        .value_kind:     hidden_global_offset_y
      - .offset:         264
        .size:           8
        .value_kind:     hidden_global_offset_z
      - .offset:         272
        .size:           2
        .value_kind:     hidden_grid_dims
      - .offset:         328
        .size:           4
        .value_kind:     hidden_dynamic_lds_size
    .group_segment_fixed_size: 0
    .kernarg_segment_align: 8
    .kernarg_segment_size: 464
    .language:       OpenCL C
    .language_version:
      - 2
      - 0
    .max_flat_workgroup_size: 128
    .name:           _ZL18flash_attn_ext_f16ILi128ELi128ELi32ELi2ELb1ELb0EEvPKcS1_S1_S1_S1_PKiPfP15HIP_vector_typeIfLj2EEffffjfiS5_IjLj3EEiiiiiiiiiiiliiliiiiil
    .private_segment_fixed_size: 752
    .sgpr_count:     107
    .sgpr_spill_count: 23
    .symbol:         _ZL18flash_attn_ext_f16ILi128ELi128ELi32ELi2ELb1ELb0EEvPKcS1_S1_S1_S1_PKiPfP15HIP_vector_typeIfLj2EEffffjfiS5_IjLj3EEiiiiiiiiiiiliiliiiiil.kd
    .uniform_work_group_size: 1
    .uses_dynamic_stack: false
    .vgpr_count:     256
    .vgpr_spill_count: 270
    .wavefront_size: 32
    .workgroup_processor_mode: 1
  - .args:
      - .address_space:  global
        .offset:         0
        .size:           8
        .value_kind:     global_buffer
      - .address_space:  global
        .offset:         8
        .size:           8
        .value_kind:     global_buffer
      - .offset:         16
        .size:           4
        .value_kind:     by_value
      - .offset:         20
        .size:           4
        .value_kind:     by_value
      - .offset:         24
        .size:           4
        .value_kind:     by_value
      - .offset:         28
        .size:           4
        .value_kind:     by_value
      - .offset:         32
        .size:           4
        .value_kind:     by_value
      - .offset:         36
        .size:           4
        .value_kind:     by_value
      - .offset:         40
        .size:           12
        .value_kind:     by_value
      - .offset:         52
        .size:           12
        .value_kind:     by_value
      - .offset:         64
        .size:           12
        .value_kind:     by_value
    .group_segment_fixed_size: 0
    .kernarg_segment_align: 8
    .kernarg_segment_size: 76
    .language:       OpenCL C
    .language_version:
      - 2
      - 0
    .max_flat_workgroup_size: 128
    .name:           _ZL33flash_attn_stream_k_fixup_uniformILi128ELi32ELi2EEvPfPK15HIP_vector_typeIfLj2EEiiiiiiS1_IjLj3EES5_S5_
    .private_segment_fixed_size: 0
    .sgpr_count:     18
    .sgpr_spill_count: 0
    .symbol:         _ZL33flash_attn_stream_k_fixup_uniformILi128ELi32ELi2EEvPfPK15HIP_vector_typeIfLj2EEiiiiiiS1_IjLj3EES5_S5_.kd
    .uniform_work_group_size: 1
    .uses_dynamic_stack: false
    .vgpr_count:     11
    .vgpr_spill_count: 0
    .wavefront_size: 32
    .workgroup_processor_mode: 1
  - .args:
      - .address_space:  global
        .offset:         0
        .size:           8
        .value_kind:     global_buffer
      - .address_space:  global
        .offset:         8
        .size:           8
        .value_kind:     global_buffer
      - .offset:         16
        .size:           4
        .value_kind:     by_value
      - .offset:         20
        .size:           4
        .value_kind:     by_value
      - .offset:         24
        .size:           4
        .value_kind:     by_value
      - .offset:         28
        .size:           4
        .value_kind:     by_value
      - .offset:         32
        .size:           12
        .value_kind:     by_value
      - .offset:         44
        .size:           12
        .value_kind:     by_value
      - .offset:         56
        .size:           12
        .value_kind:     by_value
      - .offset:         68
        .size:           12
        .value_kind:     by_value
      - .offset:         80
        .size:           4
        .value_kind:     hidden_block_count_x
      - .offset:         84
        .size:           4
        .value_kind:     hidden_block_count_y
      - .offset:         88
        .size:           4
        .value_kind:     hidden_block_count_z
      - .offset:         92
        .size:           2
        .value_kind:     hidden_group_size_x
      - .offset:         94
        .size:           2
        .value_kind:     hidden_group_size_y
      - .offset:         96
        .size:           2
        .value_kind:     hidden_group_size_z
      - .offset:         98
        .size:           2
        .value_kind:     hidden_remainder_x
      - .offset:         100
        .size:           2
        .value_kind:     hidden_remainder_y
      - .offset:         102
        .size:           2
        .value_kind:     hidden_remainder_z
      - .offset:         120
        .size:           8
        .value_kind:     hidden_global_offset_x
      - .offset:         128
        .size:           8
        .value_kind:     hidden_global_offset_y
      - .offset:         136
        .size:           8
        .value_kind:     hidden_global_offset_z
      - .offset:         144
        .size:           2
        .value_kind:     hidden_grid_dims
    .group_segment_fixed_size: 0
    .kernarg_segment_align: 8
    .kernarg_segment_size: 336
    .language:       OpenCL C
    .language_version:
      - 2
      - 0
    .max_flat_workgroup_size: 128
    .name:           _ZL33flash_attn_stream_k_fixup_generalILi128ELi32ELi2EEvPfPK15HIP_vector_typeIfLj2EEiiiiS1_IjLj3EES5_S5_S5_
    .private_segment_fixed_size: 0
    .sgpr_count:     46
    .sgpr_spill_count: 0
    .symbol:         _ZL33flash_attn_stream_k_fixup_generalILi128ELi32ELi2EEvPfPK15HIP_vector_typeIfLj2EEiiiiS1_IjLj3EES5_S5_S5_.kd
    .uniform_work_group_size: 1
    .uses_dynamic_stack: false
    .vgpr_count:     9
    .vgpr_spill_count: 0
    .wavefront_size: 32
    .workgroup_processor_mode: 1
  - .args:
      - .address_space:  global
        .offset:         0
        .size:           8
        .value_kind:     global_buffer
      - .address_space:  global
        .offset:         8
        .size:           8
        .value_kind:     global_buffer
      - .address_space:  global
        .offset:         16
        .size:           8
        .value_kind:     global_buffer
      - .offset:         24
        .size:           4
        .value_kind:     by_value
      - .offset:         32
        .size:           4
        .value_kind:     hidden_block_count_x
      - .offset:         36
        .size:           4
        .value_kind:     hidden_block_count_y
      - .offset:         40
        .size:           4
        .value_kind:     hidden_block_count_z
      - .offset:         44
        .size:           2
        .value_kind:     hidden_group_size_x
      - .offset:         46
        .size:           2
        .value_kind:     hidden_group_size_y
      - .offset:         48
        .size:           2
        .value_kind:     hidden_group_size_z
      - .offset:         50
        .size:           2
        .value_kind:     hidden_remainder_x
      - .offset:         52
        .size:           2
        .value_kind:     hidden_remainder_y
      - .offset:         54
        .size:           2
        .value_kind:     hidden_remainder_z
      - .offset:         72
        .size:           8
        .value_kind:     hidden_global_offset_x
      - .offset:         80
        .size:           8
        .value_kind:     hidden_global_offset_y
      - .offset:         88
        .size:           8
        .value_kind:     hidden_global_offset_z
      - .offset:         96
        .size:           2
        .value_kind:     hidden_grid_dims
      - .offset:         152
        .size:           4
        .value_kind:     hidden_dynamic_lds_size
    .group_segment_fixed_size: 0
    .kernarg_segment_align: 8
    .kernarg_segment_size: 288
    .language:       OpenCL C
    .language_version:
      - 2
      - 0
    .max_flat_workgroup_size: 128
    .name:           _ZL26flash_attn_combine_resultsILi128EEvPKfPK15HIP_vector_typeIfLj2EEPfi
    .private_segment_fixed_size: 0
    .sgpr_count:     18
    .sgpr_spill_count: 0
    .symbol:         _ZL26flash_attn_combine_resultsILi128EEvPKfPK15HIP_vector_typeIfLj2EEPfi.kd
    .uniform_work_group_size: 1
    .uses_dynamic_stack: false
    .vgpr_count:     55
    .vgpr_spill_count: 0
    .wavefront_size: 32
    .workgroup_processor_mode: 1
  - .args:
      - .address_space:  global
        .offset:         0
        .size:           8
        .value_kind:     global_buffer
      - .address_space:  global
        .offset:         8
        .size:           8
        .value_kind:     global_buffer
      - .address_space:  global
        .offset:         16
        .size:           8
        .value_kind:     global_buffer
      - .address_space:  global
        .offset:         24
        .size:           8
        .value_kind:     global_buffer
      - .address_space:  global
        .offset:         32
        .size:           8
        .value_kind:     global_buffer
      - .address_space:  global
        .offset:         40
        .size:           8
        .value_kind:     global_buffer
      - .address_space:  global
        .offset:         48
        .size:           8
        .value_kind:     global_buffer
      - .address_space:  global
        .offset:         56
        .size:           8
        .value_kind:     global_buffer
      - .offset:         64
        .size:           4
        .value_kind:     by_value
      - .offset:         68
        .size:           4
        .value_kind:     by_value
      - .offset:         72
        .size:           4
        .value_kind:     by_value
      - .offset:         76
        .size:           4
        .value_kind:     by_value
      - .offset:         80
        .size:           4
        .value_kind:     by_value
      - .offset:         84
        .size:           4
        .value_kind:     by_value
      - .offset:         88
        .size:           4
        .value_kind:     by_value
      - .offset:         92
        .size:           12
        .value_kind:     by_value
      - .offset:         104
        .size:           4
        .value_kind:     by_value
      - .offset:         108
        .size:           4
        .value_kind:     by_value
      - .offset:         112
        .size:           4
        .value_kind:     by_value
      - .offset:         116
        .size:           4
        .value_kind:     by_value
      - .offset:         120
        .size:           4
        .value_kind:     by_value
      - .offset:         124
        .size:           4
        .value_kind:     by_value
      - .offset:         128
        .size:           4
        .value_kind:     by_value
      - .offset:         132
        .size:           4
        .value_kind:     by_value
      - .offset:         136
        .size:           4
        .value_kind:     by_value
      - .offset:         140
        .size:           4
        .value_kind:     by_value
      - .offset:         144
        .size:           4
        .value_kind:     by_value
      - .offset:         152
        .size:           8
        .value_kind:     by_value
      - .offset:         160
        .size:           4
        .value_kind:     by_value
      - .offset:         164
        .size:           4
        .value_kind:     by_value
      - .offset:         168
        .size:           8
        .value_kind:     by_value
      - .offset:         176
        .size:           4
        .value_kind:     by_value
      - .offset:         180
        .size:           4
        .value_kind:     by_value
      - .offset:         184
        .size:           4
        .value_kind:     by_value
      - .offset:         188
        .size:           4
        .value_kind:     by_value
      - .offset:         192
        .size:           4
        .value_kind:     by_value
      - .offset:         200
        .size:           8
        .value_kind:     by_value
      - .offset:         208
        .size:           4
        .value_kind:     hidden_block_count_x
      - .offset:         212
        .size:           4
        .value_kind:     hidden_block_count_y
      - .offset:         216
        .size:           4
        .value_kind:     hidden_block_count_z
      - .offset:         220
        .size:           2
        .value_kind:     hidden_group_size_x
      - .offset:         222
        .size:           2
        .value_kind:     hidden_group_size_y
      - .offset:         224
        .size:           2
        .value_kind:     hidden_group_size_z
      - .offset:         226
        .size:           2
        .value_kind:     hidden_remainder_x
      - .offset:         228
        .size:           2
        .value_kind:     hidden_remainder_y
      - .offset:         230
        .size:           2
        .value_kind:     hidden_remainder_z
      - .offset:         248
        .size:           8
        .value_kind:     hidden_global_offset_x
      - .offset:         256
        .size:           8
        .value_kind:     hidden_global_offset_y
      - .offset:         264
        .size:           8
        .value_kind:     hidden_global_offset_z
      - .offset:         272
        .size:           2
        .value_kind:     hidden_grid_dims
      - .offset:         288
        .size:           8
        .value_kind:     hidden_hostcall_buffer
    .group_segment_fixed_size: 0
    .kernarg_segment_align: 8
    .kernarg_segment_size: 464
    .language:       OpenCL C
    .language_version:
      - 2
      - 0
    .max_flat_workgroup_size: 128
    .name:           _ZL18flash_attn_ext_f16ILi256ELi256ELi32ELi2ELb0ELb0EEvPKcS1_S1_S1_S1_PKiPfP15HIP_vector_typeIfLj2EEffffjfiS5_IjLj3EEiiiiiiiiiiiliiliiiiil
    .private_segment_fixed_size: 16
    .sgpr_count:     36
    .sgpr_spill_count: 0
    .symbol:         _ZL18flash_attn_ext_f16ILi256ELi256ELi32ELi2ELb0ELb0EEvPKcS1_S1_S1_S1_PKiPfP15HIP_vector_typeIfLj2EEffffjfiS5_IjLj3EEiiiiiiiiiiiliiliiiiil.kd
    .uniform_work_group_size: 1
    .uses_dynamic_stack: false
    .vgpr_count:     40
    .vgpr_spill_count: 0
    .wavefront_size: 32
    .workgroup_processor_mode: 1
  - .args:
      - .address_space:  global
        .offset:         0
        .size:           8
        .value_kind:     global_buffer
      - .address_space:  global
        .offset:         8
        .size:           8
        .value_kind:     global_buffer
      - .address_space:  global
        .offset:         16
        .size:           8
        .value_kind:     global_buffer
      - .address_space:  global
        .offset:         24
        .size:           8
        .value_kind:     global_buffer
      - .address_space:  global
        .offset:         32
        .size:           8
        .value_kind:     global_buffer
      - .address_space:  global
        .offset:         40
        .size:           8
        .value_kind:     global_buffer
      - .address_space:  global
        .offset:         48
        .size:           8
        .value_kind:     global_buffer
      - .address_space:  global
        .offset:         56
        .size:           8
        .value_kind:     global_buffer
      - .offset:         64
        .size:           4
        .value_kind:     by_value
      - .offset:         68
        .size:           4
        .value_kind:     by_value
      - .offset:         72
        .size:           4
        .value_kind:     by_value
      - .offset:         76
        .size:           4
        .value_kind:     by_value
      - .offset:         80
        .size:           4
        .value_kind:     by_value
      - .offset:         84
        .size:           4
        .value_kind:     by_value
      - .offset:         88
        .size:           4
        .value_kind:     by_value
      - .offset:         92
        .size:           12
        .value_kind:     by_value
      - .offset:         104
        .size:           4
        .value_kind:     by_value
      - .offset:         108
        .size:           4
        .value_kind:     by_value
      - .offset:         112
        .size:           4
        .value_kind:     by_value
      - .offset:         116
        .size:           4
        .value_kind:     by_value
      - .offset:         120
        .size:           4
        .value_kind:     by_value
      - .offset:         124
        .size:           4
        .value_kind:     by_value
      - .offset:         128
        .size:           4
        .value_kind:     by_value
      - .offset:         132
        .size:           4
        .value_kind:     by_value
      - .offset:         136
        .size:           4
        .value_kind:     by_value
      - .offset:         140
        .size:           4
        .value_kind:     by_value
      - .offset:         144
        .size:           4
        .value_kind:     by_value
      - .offset:         152
        .size:           8
        .value_kind:     by_value
      - .offset:         160
        .size:           4
        .value_kind:     by_value
      - .offset:         164
        .size:           4
        .value_kind:     by_value
      - .offset:         168
        .size:           8
        .value_kind:     by_value
      - .offset:         176
        .size:           4
        .value_kind:     by_value
      - .offset:         180
        .size:           4
        .value_kind:     by_value
      - .offset:         184
        .size:           4
        .value_kind:     by_value
      - .offset:         188
        .size:           4
        .value_kind:     by_value
      - .offset:         192
        .size:           4
        .value_kind:     by_value
      - .offset:         200
        .size:           8
        .value_kind:     by_value
      - .offset:         208
        .size:           4
        .value_kind:     hidden_block_count_x
      - .offset:         212
        .size:           4
        .value_kind:     hidden_block_count_y
      - .offset:         216
        .size:           4
        .value_kind:     hidden_block_count_z
      - .offset:         220
        .size:           2
        .value_kind:     hidden_group_size_x
      - .offset:         222
        .size:           2
        .value_kind:     hidden_group_size_y
      - .offset:         224
        .size:           2
        .value_kind:     hidden_group_size_z
      - .offset:         226
        .size:           2
        .value_kind:     hidden_remainder_x
      - .offset:         228
        .size:           2
        .value_kind:     hidden_remainder_y
      - .offset:         230
        .size:           2
        .value_kind:     hidden_remainder_z
      - .offset:         248
        .size:           8
        .value_kind:     hidden_global_offset_x
      - .offset:         256
        .size:           8
        .value_kind:     hidden_global_offset_y
      - .offset:         264
        .size:           8
        .value_kind:     hidden_global_offset_z
      - .offset:         272
        .size:           2
        .value_kind:     hidden_grid_dims
      - .offset:         288
        .size:           8
        .value_kind:     hidden_hostcall_buffer
    .group_segment_fixed_size: 0
    .kernarg_segment_align: 8
    .kernarg_segment_size: 464
    .language:       OpenCL C
    .language_version:
      - 2
      - 0
    .max_flat_workgroup_size: 128
    .name:           _ZL18flash_attn_ext_f16ILi256ELi256ELi32ELi2ELb1ELb0EEvPKcS1_S1_S1_S1_PKiPfP15HIP_vector_typeIfLj2EEffffjfiS5_IjLj3EEiiiiiiiiiiiliiliiiiil
    .private_segment_fixed_size: 16
    .sgpr_count:     36
    .sgpr_spill_count: 0
    .symbol:         _ZL18flash_attn_ext_f16ILi256ELi256ELi32ELi2ELb1ELb0EEvPKcS1_S1_S1_S1_PKiPfP15HIP_vector_typeIfLj2EEffffjfiS5_IjLj3EEiiiiiiiiiiiliiliiiiil.kd
    .uniform_work_group_size: 1
    .uses_dynamic_stack: false
    .vgpr_count:     40
    .vgpr_spill_count: 0
    .wavefront_size: 32
    .workgroup_processor_mode: 1
  - .args:
      - .address_space:  global
        .offset:         0
        .size:           8
        .value_kind:     global_buffer
      - .address_space:  global
        .offset:         8
        .size:           8
        .value_kind:     global_buffer
      - .offset:         16
        .size:           4
        .value_kind:     by_value
      - .offset:         20
        .size:           4
        .value_kind:     by_value
      - .offset:         24
        .size:           4
        .value_kind:     by_value
      - .offset:         28
        .size:           4
        .value_kind:     by_value
      - .offset:         32
        .size:           4
        .value_kind:     by_value
      - .offset:         36
        .size:           4
        .value_kind:     by_value
      - .offset:         40
        .size:           12
        .value_kind:     by_value
      - .offset:         52
        .size:           12
        .value_kind:     by_value
      - .offset:         64
        .size:           12
        .value_kind:     by_value
    .group_segment_fixed_size: 0
    .kernarg_segment_align: 8
    .kernarg_segment_size: 76
    .language:       OpenCL C
    .language_version:
      - 2
      - 0
    .max_flat_workgroup_size: 256
    .name:           _ZL33flash_attn_stream_k_fixup_uniformILi256ELi32ELi2EEvPfPK15HIP_vector_typeIfLj2EEiiiiiiS1_IjLj3EES5_S5_
    .private_segment_fixed_size: 0
    .sgpr_count:     18
    .sgpr_spill_count: 0
    .symbol:         _ZL33flash_attn_stream_k_fixup_uniformILi256ELi32ELi2EEvPfPK15HIP_vector_typeIfLj2EEiiiiiiS1_IjLj3EES5_S5_.kd
    .uniform_work_group_size: 1
    .uses_dynamic_stack: false
    .vgpr_count:     11
    .vgpr_spill_count: 0
    .wavefront_size: 32
    .workgroup_processor_mode: 1
  - .args:
      - .address_space:  global
        .offset:         0
        .size:           8
        .value_kind:     global_buffer
      - .address_space:  global
        .offset:         8
        .size:           8
        .value_kind:     global_buffer
      - .offset:         16
        .size:           4
        .value_kind:     by_value
      - .offset:         20
        .size:           4
        .value_kind:     by_value
      - .offset:         24
        .size:           4
        .value_kind:     by_value
      - .offset:         28
        .size:           4
        .value_kind:     by_value
      - .offset:         32
        .size:           12
        .value_kind:     by_value
      - .offset:         44
        .size:           12
        .value_kind:     by_value
      - .offset:         56
        .size:           12
        .value_kind:     by_value
      - .offset:         68
        .size:           12
        .value_kind:     by_value
      - .offset:         80
        .size:           4
        .value_kind:     hidden_block_count_x
      - .offset:         84
        .size:           4
        .value_kind:     hidden_block_count_y
      - .offset:         88
        .size:           4
        .value_kind:     hidden_block_count_z
      - .offset:         92
        .size:           2
        .value_kind:     hidden_group_size_x
      - .offset:         94
        .size:           2
        .value_kind:     hidden_group_size_y
      - .offset:         96
        .size:           2
        .value_kind:     hidden_group_size_z
      - .offset:         98
        .size:           2
        .value_kind:     hidden_remainder_x
      - .offset:         100
        .size:           2
        .value_kind:     hidden_remainder_y
      - .offset:         102
        .size:           2
        .value_kind:     hidden_remainder_z
      - .offset:         120
        .size:           8
        .value_kind:     hidden_global_offset_x
      - .offset:         128
        .size:           8
        .value_kind:     hidden_global_offset_y
      - .offset:         136
        .size:           8
        .value_kind:     hidden_global_offset_z
      - .offset:         144
        .size:           2
        .value_kind:     hidden_grid_dims
    .group_segment_fixed_size: 0
    .kernarg_segment_align: 8
    .kernarg_segment_size: 336
    .language:       OpenCL C
    .language_version:
      - 2
      - 0
    .max_flat_workgroup_size: 256
    .name:           _ZL33flash_attn_stream_k_fixup_generalILi256ELi32ELi2EEvPfPK15HIP_vector_typeIfLj2EEiiiiS1_IjLj3EES5_S5_S5_
    .private_segment_fixed_size: 0
    .sgpr_count:     46
    .sgpr_spill_count: 0
    .symbol:         _ZL33flash_attn_stream_k_fixup_generalILi256ELi32ELi2EEvPfPK15HIP_vector_typeIfLj2EEiiiiS1_IjLj3EES5_S5_S5_.kd
    .uniform_work_group_size: 1
    .uses_dynamic_stack: false
    .vgpr_count:     9
    .vgpr_spill_count: 0
    .wavefront_size: 32
    .workgroup_processor_mode: 1
  - .args:
      - .address_space:  global
        .offset:         0
        .size:           8
        .value_kind:     global_buffer
      - .address_space:  global
        .offset:         8
        .size:           8
        .value_kind:     global_buffer
      - .address_space:  global
        .offset:         16
        .size:           8
        .value_kind:     global_buffer
      - .offset:         24
        .size:           4
        .value_kind:     by_value
      - .offset:         32
        .size:           4
        .value_kind:     hidden_block_count_x
      - .offset:         36
        .size:           4
        .value_kind:     hidden_block_count_y
      - .offset:         40
        .size:           4
        .value_kind:     hidden_block_count_z
      - .offset:         44
        .size:           2
        .value_kind:     hidden_group_size_x
      - .offset:         46
        .size:           2
        .value_kind:     hidden_group_size_y
      - .offset:         48
        .size:           2
        .value_kind:     hidden_group_size_z
      - .offset:         50
        .size:           2
        .value_kind:     hidden_remainder_x
      - .offset:         52
        .size:           2
        .value_kind:     hidden_remainder_y
      - .offset:         54
        .size:           2
        .value_kind:     hidden_remainder_z
      - .offset:         72
        .size:           8
        .value_kind:     hidden_global_offset_x
      - .offset:         80
        .size:           8
        .value_kind:     hidden_global_offset_y
      - .offset:         88
        .size:           8
        .value_kind:     hidden_global_offset_z
      - .offset:         96
        .size:           2
        .value_kind:     hidden_grid_dims
      - .offset:         152
        .size:           4
        .value_kind:     hidden_dynamic_lds_size
    .group_segment_fixed_size: 0
    .kernarg_segment_align: 8
    .kernarg_segment_size: 288
    .language:       OpenCL C
    .language_version:
      - 2
      - 0
    .max_flat_workgroup_size: 256
    .name:           _ZL26flash_attn_combine_resultsILi256EEvPKfPK15HIP_vector_typeIfLj2EEPfi
    .private_segment_fixed_size: 0
    .sgpr_count:     18
    .sgpr_spill_count: 0
    .symbol:         _ZL26flash_attn_combine_resultsILi256EEvPKfPK15HIP_vector_typeIfLj2EEPfi.kd
    .uniform_work_group_size: 1
    .uses_dynamic_stack: false
    .vgpr_count:     55
    .vgpr_spill_count: 0
    .wavefront_size: 32
    .workgroup_processor_mode: 1
amdhsa.target:   amdgcn-amd-amdhsa--gfx1201
amdhsa.version:
  - 1
  - 2
...

	.end_amdgpu_metadata
